;; amdgpu-corpus repo=ROCm/rccl kind=compiled arch=gfx1250 opt=O3
	.amdgcn_target "amdgcn-amd-amdhsa--gfx1250"
	.amdhsa_code_object_version 6
	.text
	.p2align	2                               ; -- Begin function __ockl_fprintf_append_string_n
	.type	__ockl_fprintf_append_string_n,@function
__ockl_fprintf_append_string_n:         ; @__ockl_fprintf_append_string_n
; %bb.0:
	s_wait_loadcnt_dscnt 0x0
	s_wait_kmcnt 0x0
	v_or_b32_e32 v2, 2, v0
	v_cmp_eq_u32_e32 vcc_lo, 0, v6
	v_mbcnt_lo_u32_b32 v30, -1, 0
	s_get_pc_i64 s[0:1]
	s_add_nc_u64 s[0:1], s[0:1], .str.3@rel64+4
	s_mov_b32 s6, 0
	s_cmp_lg_u64 s[0:1], 0
	v_cndmask_b32_e32 v3, v2, v0, vcc_lo
	s_cbranch_scc0 .LBB0_113
; %bb.1:
	s_load_b64 s[2:3], s[8:9], 0x50
	s_delay_alu instid0(VALU_DEP_1) | instskip(SKIP_3) | instid1(VALU_DEP_4)
	v_dual_mov_b32 v7, 0 :: v_dual_bitop2_b32 v0, -3, v3 bitop3:0x40
	v_mov_b64_e32 v[8:9], 0x100000002
	v_mov_b64_e32 v[32:33], s[0:1]
	v_and_b32_e32 v2, 2, v3
	v_mov_b64_e32 v[10:11], v[0:1]
	s_mov_b32 s7, 0
	s_branch .LBB0_3
.LBB0_2:                                ;   in Loop: Header=BB0_3 Depth=1
	s_or_b32 exec_lo, exec_lo, s10
	v_sub_nc_u64_e32 v[4:5], v[4:5], v[34:35]
	v_add_nc_u64_e32 v[32:33], v[32:33], v[34:35]
	s_delay_alu instid0(VALU_DEP_2) | instskip(SKIP_1) | instid1(SALU_CYCLE_1)
	v_cmp_eq_u64_e32 vcc_lo, 0, v[4:5]
	s_or_b32 s7, vcc_lo, s7
	s_and_not1_b32 exec_lo, exec_lo, s7
	s_cbranch_execz .LBB0_85
.LBB0_3:                                ; =>This Loop Header: Depth=1
                                        ;     Child Loop BB0_6 Depth 2
                                        ;     Child Loop BB0_14 Depth 2
	;; [unrolled: 1-line block ×11, first 2 shown]
	v_min_u64 v[34:35], v[4:5], 56
	s_delay_alu instid0(VALU_DEP_3)
	v_add_nc_u64_e32 v[16:17], 8, v[32:33]
	s_mov_b32 s0, exec_lo
	v_cmpx_gt_u64_e32 8, v[4:5]
	s_xor_b32 s4, exec_lo, s0
	s_cbranch_execz .LBB0_9
; %bb.4:                                ;   in Loop: Header=BB0_3 Depth=1
	s_wait_loadcnt 0x0
	v_mov_b64_e32 v[12:13], 0
	s_mov_b32 s5, exec_lo
	v_cmpx_ne_u64_e32 0, v[4:5]
	s_cbranch_execz .LBB0_8
; %bb.5:                                ;   in Loop: Header=BB0_3 Depth=1
	v_mov_b64_e32 v[12:13], 0
	v_mov_b64_e32 v[14:15], v[32:33]
	v_lshlrev_b32_e32 v0, 3, v34
	s_mov_b64 s[0:1], 0
	s_mov_b32 s10, 0
.LBB0_6:                                ;   Parent Loop BB0_3 Depth=1
                                        ; =>  This Inner Loop Header: Depth=2
	global_load_u8 v6, v[14:15], off
	v_mov_b32_e32 v17, s6
	s_wait_xcnt 0x0
	v_add_nc_u64_e32 v[14:15], 1, v[14:15]
	s_wait_loadcnt 0x0
	v_and_b32_e32 v16, 0xffff, v6
	s_delay_alu instid0(VALU_DEP_1) | instskip(SKIP_1) | instid1(SALU_CYCLE_1)
	v_lshlrev_b64_e32 v[16:17], s0, v[16:17]
	s_add_nc_u64 s[0:1], s[0:1], 8
	v_cmp_eq_u32_e32 vcc_lo, s0, v0
	s_delay_alu instid0(VALU_DEP_2) | instskip(NEXT) | instid1(VALU_DEP_3)
	v_or_b32_e32 v13, v17, v13
	v_or_b32_e32 v12, v16, v12
	s_or_b32 s10, vcc_lo, s10
	s_delay_alu instid0(SALU_CYCLE_1)
	s_and_not1_b32 exec_lo, exec_lo, s10
	s_cbranch_execnz .LBB0_6
; %bb.7:                                ;   in Loop: Header=BB0_3 Depth=1
	s_or_b32 exec_lo, exec_lo, s10
.LBB0_8:                                ;   in Loop: Header=BB0_3 Depth=1
	s_delay_alu instid0(SALU_CYCLE_1)
	s_or_b32 exec_lo, exec_lo, s5
	v_mov_b64_e32 v[16:17], v[32:33]
.LBB0_9:                                ;   in Loop: Header=BB0_3 Depth=1
	s_or_saveexec_b32 s0, s4
	v_mov_b32_e32 v0, 0
	s_xor_b32 exec_lo, exec_lo, s0
	s_cbranch_execz .LBB0_11
; %bb.10:                               ;   in Loop: Header=BB0_3 Depth=1
	s_wait_loadcnt 0x0
	global_load_b64 v[12:13], v[32:33], off
	v_add_nc_u32_e32 v0, -8, v34
.LBB0_11:                               ;   in Loop: Header=BB0_3 Depth=1
	s_wait_xcnt 0x0
	s_or_b32 exec_lo, exec_lo, s0
	v_add_nc_u64_e32 v[18:19], 8, v[16:17]
                                        ; implicit-def: $vgpr14_vgpr15
	s_mov_b32 s0, exec_lo
	v_cmpx_gt_u32_e32 8, v0
	s_xor_b32 s10, exec_lo, s0
	s_cbranch_execz .LBB0_17
; %bb.12:                               ;   in Loop: Header=BB0_3 Depth=1
	v_mov_b64_e32 v[14:15], 0
	s_mov_b32 s11, exec_lo
	v_cmpx_ne_u32_e32 0, v0
	s_cbranch_execz .LBB0_16
; %bb.13:                               ;   in Loop: Header=BB0_3 Depth=1
	v_mov_b64_e32 v[14:15], 0
	s_mov_b64 s[0:1], 0
	s_mov_b32 s12, 0
	s_mov_b64 s[4:5], 0
.LBB0_14:                               ;   Parent Loop BB0_3 Depth=1
                                        ; =>  This Inner Loop Header: Depth=2
	s_delay_alu instid0(SALU_CYCLE_1) | instskip(SKIP_1) | instid1(SALU_CYCLE_1)
	v_add_nc_u64_e32 v[18:19], s[4:5], v[16:17]
	s_add_nc_u64 s[4:5], s[4:5], 1
	v_cmp_eq_u32_e32 vcc_lo, s4, v0
	global_load_u8 v6, v[18:19], off
	s_wait_xcnt 0x0
	v_mov_b32_e32 v19, s6
	s_or_b32 s12, vcc_lo, s12
	s_wait_loadcnt 0x0
	v_and_b32_e32 v18, 0xffff, v6
	s_delay_alu instid0(VALU_DEP_1) | instskip(SKIP_1) | instid1(VALU_DEP_1)
	v_lshlrev_b64_e32 v[18:19], s0, v[18:19]
	s_add_nc_u64 s[0:1], s[0:1], 8
	v_or_b32_e32 v15, v19, v15
	s_delay_alu instid0(VALU_DEP_2)
	v_or_b32_e32 v14, v18, v14
	s_and_not1_b32 exec_lo, exec_lo, s12
	s_cbranch_execnz .LBB0_14
; %bb.15:                               ;   in Loop: Header=BB0_3 Depth=1
	s_or_b32 exec_lo, exec_lo, s12
.LBB0_16:                               ;   in Loop: Header=BB0_3 Depth=1
	s_delay_alu instid0(SALU_CYCLE_1)
	s_or_b32 exec_lo, exec_lo, s11
	v_mov_b64_e32 v[18:19], v[16:17]
                                        ; implicit-def: $vgpr0
.LBB0_17:                               ;   in Loop: Header=BB0_3 Depth=1
	s_or_saveexec_b32 s0, s10
	v_mov_b32_e32 v6, 0
	s_xor_b32 exec_lo, exec_lo, s0
	s_cbranch_execz .LBB0_19
; %bb.18:                               ;   in Loop: Header=BB0_3 Depth=1
	global_load_b64 v[14:15], v[16:17], off
	v_add_nc_u32_e32 v6, -8, v0
.LBB0_19:                               ;   in Loop: Header=BB0_3 Depth=1
	s_wait_xcnt 0x0
	s_or_b32 exec_lo, exec_lo, s0
	v_add_nc_u64_e32 v[20:21], 8, v[18:19]
	s_mov_b32 s0, exec_lo
	v_cmpx_gt_u32_e32 8, v6
	s_xor_b32 s10, exec_lo, s0
	s_cbranch_execz .LBB0_25
; %bb.20:                               ;   in Loop: Header=BB0_3 Depth=1
	v_mov_b64_e32 v[16:17], 0
	s_mov_b32 s11, exec_lo
	v_cmpx_ne_u32_e32 0, v6
	s_cbranch_execz .LBB0_24
; %bb.21:                               ;   in Loop: Header=BB0_3 Depth=1
	v_mov_b64_e32 v[16:17], 0
	s_mov_b64 s[0:1], 0
	s_mov_b32 s12, 0
	s_mov_b64 s[4:5], 0
.LBB0_22:                               ;   Parent Loop BB0_3 Depth=1
                                        ; =>  This Inner Loop Header: Depth=2
	s_delay_alu instid0(SALU_CYCLE_1) | instskip(SKIP_1) | instid1(SALU_CYCLE_1)
	v_add_nc_u64_e32 v[20:21], s[4:5], v[18:19]
	s_add_nc_u64 s[4:5], s[4:5], 1
	v_cmp_eq_u32_e32 vcc_lo, s4, v6
	global_load_u8 v0, v[20:21], off
	s_wait_xcnt 0x0
	v_mov_b32_e32 v21, s6
	s_or_b32 s12, vcc_lo, s12
	s_wait_loadcnt 0x0
	v_and_b32_e32 v20, 0xffff, v0
	s_delay_alu instid0(VALU_DEP_1) | instskip(SKIP_1) | instid1(VALU_DEP_1)
	v_lshlrev_b64_e32 v[20:21], s0, v[20:21]
	s_add_nc_u64 s[0:1], s[0:1], 8
	v_or_b32_e32 v17, v21, v17
	s_delay_alu instid0(VALU_DEP_2)
	v_or_b32_e32 v16, v20, v16
	s_and_not1_b32 exec_lo, exec_lo, s12
	s_cbranch_execnz .LBB0_22
; %bb.23:                               ;   in Loop: Header=BB0_3 Depth=1
	s_or_b32 exec_lo, exec_lo, s12
.LBB0_24:                               ;   in Loop: Header=BB0_3 Depth=1
	s_delay_alu instid0(SALU_CYCLE_1)
	s_or_b32 exec_lo, exec_lo, s11
	v_mov_b64_e32 v[20:21], v[18:19]
                                        ; implicit-def: $vgpr6
.LBB0_25:                               ;   in Loop: Header=BB0_3 Depth=1
	s_or_saveexec_b32 s0, s10
	v_mov_b32_e32 v0, 0
	s_xor_b32 exec_lo, exec_lo, s0
	s_cbranch_execz .LBB0_27
; %bb.26:                               ;   in Loop: Header=BB0_3 Depth=1
	global_load_b64 v[16:17], v[18:19], off
	v_add_nc_u32_e32 v0, -8, v6
.LBB0_27:                               ;   in Loop: Header=BB0_3 Depth=1
	s_wait_xcnt 0x0
	s_or_b32 exec_lo, exec_lo, s0
	v_add_nc_u64_e32 v[22:23], 8, v[20:21]
                                        ; implicit-def: $vgpr18_vgpr19
	s_mov_b32 s0, exec_lo
	v_cmpx_gt_u32_e32 8, v0
	s_xor_b32 s10, exec_lo, s0
	s_cbranch_execz .LBB0_33
; %bb.28:                               ;   in Loop: Header=BB0_3 Depth=1
	v_mov_b64_e32 v[18:19], 0
	s_mov_b32 s11, exec_lo
	v_cmpx_ne_u32_e32 0, v0
	s_cbranch_execz .LBB0_32
; %bb.29:                               ;   in Loop: Header=BB0_3 Depth=1
	v_mov_b64_e32 v[18:19], 0
	s_mov_b64 s[0:1], 0
	s_mov_b32 s12, 0
	s_mov_b64 s[4:5], 0
.LBB0_30:                               ;   Parent Loop BB0_3 Depth=1
                                        ; =>  This Inner Loop Header: Depth=2
	s_delay_alu instid0(SALU_CYCLE_1) | instskip(SKIP_1) | instid1(SALU_CYCLE_1)
	v_add_nc_u64_e32 v[22:23], s[4:5], v[20:21]
	s_add_nc_u64 s[4:5], s[4:5], 1
	v_cmp_eq_u32_e32 vcc_lo, s4, v0
	global_load_u8 v6, v[22:23], off
	s_wait_xcnt 0x0
	v_mov_b32_e32 v23, s6
	s_or_b32 s12, vcc_lo, s12
	s_wait_loadcnt 0x0
	v_and_b32_e32 v22, 0xffff, v6
	s_delay_alu instid0(VALU_DEP_1) | instskip(SKIP_1) | instid1(VALU_DEP_1)
	v_lshlrev_b64_e32 v[22:23], s0, v[22:23]
	s_add_nc_u64 s[0:1], s[0:1], 8
	v_or_b32_e32 v19, v23, v19
	s_delay_alu instid0(VALU_DEP_2)
	v_or_b32_e32 v18, v22, v18
	s_and_not1_b32 exec_lo, exec_lo, s12
	s_cbranch_execnz .LBB0_30
; %bb.31:                               ;   in Loop: Header=BB0_3 Depth=1
	s_or_b32 exec_lo, exec_lo, s12
.LBB0_32:                               ;   in Loop: Header=BB0_3 Depth=1
	s_delay_alu instid0(SALU_CYCLE_1)
	s_or_b32 exec_lo, exec_lo, s11
	v_mov_b64_e32 v[22:23], v[20:21]
                                        ; implicit-def: $vgpr0
.LBB0_33:                               ;   in Loop: Header=BB0_3 Depth=1
	s_or_saveexec_b32 s0, s10
	v_mov_b32_e32 v6, 0
	s_xor_b32 exec_lo, exec_lo, s0
	s_cbranch_execz .LBB0_35
; %bb.34:                               ;   in Loop: Header=BB0_3 Depth=1
	global_load_b64 v[18:19], v[20:21], off
	v_add_nc_u32_e32 v6, -8, v0
.LBB0_35:                               ;   in Loop: Header=BB0_3 Depth=1
	s_wait_xcnt 0x0
	s_or_b32 exec_lo, exec_lo, s0
	v_add_nc_u64_e32 v[24:25], 8, v[22:23]
	s_mov_b32 s0, exec_lo
	v_cmpx_gt_u32_e32 8, v6
	s_xor_b32 s10, exec_lo, s0
	s_cbranch_execz .LBB0_41
; %bb.36:                               ;   in Loop: Header=BB0_3 Depth=1
	v_mov_b64_e32 v[20:21], 0
	s_mov_b32 s11, exec_lo
	v_cmpx_ne_u32_e32 0, v6
	s_cbranch_execz .LBB0_40
; %bb.37:                               ;   in Loop: Header=BB0_3 Depth=1
	v_mov_b64_e32 v[20:21], 0
	s_mov_b64 s[0:1], 0
	s_mov_b32 s12, 0
	s_mov_b64 s[4:5], 0
.LBB0_38:                               ;   Parent Loop BB0_3 Depth=1
                                        ; =>  This Inner Loop Header: Depth=2
	s_delay_alu instid0(SALU_CYCLE_1) | instskip(SKIP_1) | instid1(SALU_CYCLE_1)
	v_add_nc_u64_e32 v[24:25], s[4:5], v[22:23]
	s_add_nc_u64 s[4:5], s[4:5], 1
	v_cmp_eq_u32_e32 vcc_lo, s4, v6
	global_load_u8 v0, v[24:25], off
	s_wait_xcnt 0x0
	v_mov_b32_e32 v25, s6
	s_or_b32 s12, vcc_lo, s12
	s_wait_loadcnt 0x0
	v_and_b32_e32 v24, 0xffff, v0
	s_delay_alu instid0(VALU_DEP_1) | instskip(SKIP_1) | instid1(VALU_DEP_1)
	v_lshlrev_b64_e32 v[24:25], s0, v[24:25]
	s_add_nc_u64 s[0:1], s[0:1], 8
	v_or_b32_e32 v21, v25, v21
	s_delay_alu instid0(VALU_DEP_2)
	v_or_b32_e32 v20, v24, v20
	s_and_not1_b32 exec_lo, exec_lo, s12
	s_cbranch_execnz .LBB0_38
; %bb.39:                               ;   in Loop: Header=BB0_3 Depth=1
	s_or_b32 exec_lo, exec_lo, s12
.LBB0_40:                               ;   in Loop: Header=BB0_3 Depth=1
	s_delay_alu instid0(SALU_CYCLE_1)
	s_or_b32 exec_lo, exec_lo, s11
	v_mov_b64_e32 v[24:25], v[22:23]
                                        ; implicit-def: $vgpr6
.LBB0_41:                               ;   in Loop: Header=BB0_3 Depth=1
	s_or_saveexec_b32 s0, s10
	v_mov_b32_e32 v0, 0
	s_xor_b32 exec_lo, exec_lo, s0
	s_cbranch_execz .LBB0_43
; %bb.42:                               ;   in Loop: Header=BB0_3 Depth=1
	global_load_b64 v[20:21], v[22:23], off
	v_add_nc_u32_e32 v0, -8, v6
.LBB0_43:                               ;   in Loop: Header=BB0_3 Depth=1
	s_wait_xcnt 0x0
	s_or_b32 exec_lo, exec_lo, s0
	v_add_nc_u64_e32 v[26:27], 8, v[24:25]
                                        ; implicit-def: $vgpr22_vgpr23
	s_mov_b32 s0, exec_lo
	v_cmpx_gt_u32_e32 8, v0
	s_xor_b32 s10, exec_lo, s0
	s_cbranch_execz .LBB0_49
; %bb.44:                               ;   in Loop: Header=BB0_3 Depth=1
	v_mov_b64_e32 v[22:23], 0
	s_mov_b32 s11, exec_lo
	v_cmpx_ne_u32_e32 0, v0
	s_cbranch_execz .LBB0_48
; %bb.45:                               ;   in Loop: Header=BB0_3 Depth=1
	v_mov_b64_e32 v[22:23], 0
	s_mov_b64 s[0:1], 0
	s_mov_b32 s12, 0
	s_mov_b64 s[4:5], 0
.LBB0_46:                               ;   Parent Loop BB0_3 Depth=1
                                        ; =>  This Inner Loop Header: Depth=2
	s_delay_alu instid0(SALU_CYCLE_1) | instskip(SKIP_1) | instid1(SALU_CYCLE_1)
	v_add_nc_u64_e32 v[26:27], s[4:5], v[24:25]
	s_add_nc_u64 s[4:5], s[4:5], 1
	v_cmp_eq_u32_e32 vcc_lo, s4, v0
	global_load_u8 v6, v[26:27], off
	s_wait_xcnt 0x0
	v_mov_b32_e32 v27, s6
	s_or_b32 s12, vcc_lo, s12
	s_wait_loadcnt 0x0
	v_and_b32_e32 v26, 0xffff, v6
	s_delay_alu instid0(VALU_DEP_1) | instskip(SKIP_1) | instid1(VALU_DEP_1)
	v_lshlrev_b64_e32 v[26:27], s0, v[26:27]
	s_add_nc_u64 s[0:1], s[0:1], 8
	v_or_b32_e32 v23, v27, v23
	s_delay_alu instid0(VALU_DEP_2)
	v_or_b32_e32 v22, v26, v22
	s_and_not1_b32 exec_lo, exec_lo, s12
	s_cbranch_execnz .LBB0_46
; %bb.47:                               ;   in Loop: Header=BB0_3 Depth=1
	s_or_b32 exec_lo, exec_lo, s12
.LBB0_48:                               ;   in Loop: Header=BB0_3 Depth=1
	s_delay_alu instid0(SALU_CYCLE_1)
	s_or_b32 exec_lo, exec_lo, s11
	v_mov_b64_e32 v[26:27], v[24:25]
                                        ; implicit-def: $vgpr0
.LBB0_49:                               ;   in Loop: Header=BB0_3 Depth=1
	s_or_saveexec_b32 s0, s10
	v_mov_b32_e32 v6, 0
	s_xor_b32 exec_lo, exec_lo, s0
	s_cbranch_execz .LBB0_51
; %bb.50:                               ;   in Loop: Header=BB0_3 Depth=1
	global_load_b64 v[22:23], v[24:25], off
	v_add_nc_u32_e32 v6, -8, v0
.LBB0_51:                               ;   in Loop: Header=BB0_3 Depth=1
	s_wait_xcnt 0x0
	s_or_b32 exec_lo, exec_lo, s0
	s_delay_alu instid0(SALU_CYCLE_1) | instskip(NEXT) | instid1(VALU_DEP_1)
	s_mov_b32 s0, exec_lo
	v_cmpx_gt_u32_e32 8, v6
	s_xor_b32 s4, exec_lo, s0
	s_cbranch_execz .LBB0_57
; %bb.52:                               ;   in Loop: Header=BB0_3 Depth=1
	v_mov_b64_e32 v[24:25], 0
	s_mov_b32 s5, exec_lo
	v_cmpx_ne_u32_e32 0, v6
	s_cbranch_execz .LBB0_56
; %bb.53:                               ;   in Loop: Header=BB0_3 Depth=1
	v_mov_b64_e32 v[24:25], 0
	s_mov_b64 s[0:1], 0
	s_mov_b32 s10, 0
.LBB0_54:                               ;   Parent Loop BB0_3 Depth=1
                                        ; =>  This Inner Loop Header: Depth=2
	global_load_u8 v0, v[26:27], off
	v_dual_mov_b32 v29, s6 :: v_dual_add_nc_u32 v6, -1, v6
	s_wait_xcnt 0x0
	v_add_nc_u64_e32 v[26:27], 1, v[26:27]
	s_delay_alu instid0(VALU_DEP_2) | instskip(SKIP_3) | instid1(VALU_DEP_1)
	v_cmp_eq_u32_e32 vcc_lo, 0, v6
	s_or_b32 s10, vcc_lo, s10
	s_wait_loadcnt 0x0
	v_and_b32_e32 v28, 0xffff, v0
	v_lshlrev_b64_e32 v[28:29], s0, v[28:29]
	s_add_nc_u64 s[0:1], s[0:1], 8
	s_delay_alu instid0(VALU_DEP_1) | instskip(NEXT) | instid1(VALU_DEP_2)
	v_or_b32_e32 v25, v29, v25
	v_or_b32_e32 v24, v28, v24
	s_and_not1_b32 exec_lo, exec_lo, s10
	s_cbranch_execnz .LBB0_54
; %bb.55:                               ;   in Loop: Header=BB0_3 Depth=1
	s_or_b32 exec_lo, exec_lo, s10
.LBB0_56:                               ;   in Loop: Header=BB0_3 Depth=1
	s_delay_alu instid0(SALU_CYCLE_1)
	s_or_b32 exec_lo, exec_lo, s5
                                        ; implicit-def: $vgpr26_vgpr27
.LBB0_57:                               ;   in Loop: Header=BB0_3 Depth=1
	s_and_not1_saveexec_b32 s0, s4
	s_cbranch_execz .LBB0_59
; %bb.58:                               ;   in Loop: Header=BB0_3 Depth=1
	global_load_b64 v[24:25], v[26:27], off
.LBB0_59:                               ;   in Loop: Header=BB0_3 Depth=1
	s_wait_xcnt 0x0
	s_or_b32 exec_lo, exec_lo, s0
	v_readfirstlane_b32 s0, v30
	v_mov_b64_e32 v[36:37], 0
	s_delay_alu instid0(VALU_DEP_2)
	v_cmp_eq_u32_e64 s0, s0, v30
	s_and_saveexec_b32 s1, s0
	s_cbranch_execz .LBB0_65
; %bb.60:                               ;   in Loop: Header=BB0_3 Depth=1
	s_wait_kmcnt 0x0
	global_load_b64 v[28:29], v7, s[2:3] offset:24 scope:SCOPE_SYS
	s_wait_loadcnt 0x0
	global_inv scope:SCOPE_SYS
	s_clause 0x1
	global_load_b64 v[26:27], v7, s[2:3] offset:40
	global_load_b64 v[36:37], v7, s[2:3]
	s_mov_b32 s4, exec_lo
	s_wait_loadcnt 0x1
	v_and_b32_e32 v26, v26, v28
	v_and_b32_e32 v27, v27, v29
	s_delay_alu instid0(VALU_DEP_1) | instskip(SKIP_1) | instid1(VALU_DEP_1)
	v_mul_u64_e32 v[26:27], 24, v[26:27]
	s_wait_loadcnt 0x0
	v_add_nc_u64_e32 v[26:27], v[36:37], v[26:27]
	global_load_b64 v[26:27], v[26:27], off scope:SCOPE_SYS
	s_wait_xcnt 0x0
	s_wait_loadcnt 0x0
	global_atomic_cmpswap_b64 v[36:37], v7, v[26:29], s[2:3] offset:24 th:TH_ATOMIC_RETURN scope:SCOPE_SYS
	s_wait_loadcnt 0x0
	global_inv scope:SCOPE_SYS
	s_wait_xcnt 0x0
	v_cmpx_ne_u64_e64 v[36:37], v[28:29]
	s_cbranch_execz .LBB0_64
; %bb.61:                               ;   in Loop: Header=BB0_3 Depth=1
	s_mov_b32 s5, 0
.LBB0_62:                               ;   Parent Loop BB0_3 Depth=1
                                        ; =>  This Inner Loop Header: Depth=2
	s_sleep 1
	s_clause 0x1
	global_load_b64 v[26:27], v7, s[2:3] offset:40
	global_load_b64 v[38:39], v7, s[2:3]
	v_mov_b64_e32 v[28:29], v[36:37]
	s_wait_loadcnt 0x1
	s_delay_alu instid0(VALU_DEP_1) | instskip(SKIP_1) | instid1(VALU_DEP_1)
	v_and_b32_e32 v0, v26, v28
	s_wait_loadcnt 0x0
	v_mad_nc_u64_u32 v[36:37], v0, 24, v[38:39]
	s_delay_alu instid0(VALU_DEP_3) | instskip(NEXT) | instid1(VALU_DEP_1)
	v_and_b32_e32 v0, v27, v29
	v_mad_u32 v37, v0, 24, v37
	global_load_b64 v[26:27], v[36:37], off scope:SCOPE_SYS
	s_wait_xcnt 0x0
	s_wait_loadcnt 0x0
	global_atomic_cmpswap_b64 v[36:37], v7, v[26:29], s[2:3] offset:24 th:TH_ATOMIC_RETURN scope:SCOPE_SYS
	s_wait_loadcnt 0x0
	global_inv scope:SCOPE_SYS
	v_cmp_eq_u64_e32 vcc_lo, v[36:37], v[28:29]
	s_or_b32 s5, vcc_lo, s5
	s_wait_xcnt 0x0
	s_and_not1_b32 exec_lo, exec_lo, s5
	s_cbranch_execnz .LBB0_62
; %bb.63:                               ;   in Loop: Header=BB0_3 Depth=1
	s_or_b32 exec_lo, exec_lo, s5
.LBB0_64:                               ;   in Loop: Header=BB0_3 Depth=1
	s_delay_alu instid0(SALU_CYCLE_1)
	s_or_b32 exec_lo, exec_lo, s4
.LBB0_65:                               ;   in Loop: Header=BB0_3 Depth=1
	s_delay_alu instid0(SALU_CYCLE_1)
	s_or_b32 exec_lo, exec_lo, s1
	s_wait_kmcnt 0x0
	s_clause 0x1
	global_load_b64 v[38:39], v7, s[2:3] offset:40
	global_load_b128 v[26:29], v7, s[2:3]
	v_readfirstlane_b32 s4, v36
	v_readfirstlane_b32 s5, v37
	s_mov_b32 s1, exec_lo
	s_wait_loadcnt 0x1
	v_and_b32_e32 v38, s4, v38
	v_and_b32_e32 v39, s5, v39
	s_delay_alu instid0(VALU_DEP_1) | instskip(SKIP_1) | instid1(VALU_DEP_1)
	v_mul_u64_e32 v[36:37], 24, v[38:39]
	s_wait_loadcnt 0x0
	v_add_nc_u64_e32 v[36:37], v[26:27], v[36:37]
	s_wait_xcnt 0x0
	s_and_saveexec_b32 s10, s0
	s_cbranch_execz .LBB0_67
; %bb.66:                               ;   in Loop: Header=BB0_3 Depth=1
	v_mov_b32_e32 v6, s1
	global_store_b128 v[36:37], v[6:9], off offset:8
.LBB0_67:                               ;   in Loop: Header=BB0_3 Depth=1
	s_wait_xcnt 0x0
	s_or_b32 exec_lo, exec_lo, s10
	v_cmp_gt_u64_e32 vcc_lo, 57, v[4:5]
	v_lshlrev_b64_e32 v[38:39], 12, v[38:39]
	v_and_b32_e32 v6, 0xffffff1f, v10
	v_lshl_add_u32 v10, v34, 2, 28
	v_cndmask_b32_e32 v0, 0, v2, vcc_lo
	s_delay_alu instid0(VALU_DEP_4) | instskip(NEXT) | instid1(VALU_DEP_2)
	v_add_nc_u64_e32 v[28:29], v[28:29], v[38:39]
	v_dual_lshlrev_b32 v6, 6, v30 :: v_dual_bitop2_b32 v0, v6, v0 bitop3:0x54
	s_delay_alu instid0(VALU_DEP_2) | instskip(NEXT) | instid1(VALU_DEP_3)
	v_readfirstlane_b32 s10, v28
	v_readfirstlane_b32 s11, v29
	s_delay_alu instid0(VALU_DEP_3)
	v_and_or_b32 v10, 0x1e0, v10, v0
	s_clause 0x3
	global_store_b128 v6, v[10:13], s[10:11]
	global_store_b128 v6, v[14:17], s[10:11] offset:16
	global_store_b128 v6, v[18:21], s[10:11] offset:32
	;; [unrolled: 1-line block ×3, first 2 shown]
	s_wait_xcnt 0x0
	s_and_saveexec_b32 s1, s0
	s_cbranch_execz .LBB0_75
; %bb.68:                               ;   in Loop: Header=BB0_3 Depth=1
	s_clause 0x1
	global_load_b64 v[18:19], v7, s[2:3] offset:32 scope:SCOPE_SYS
	global_load_b64 v[10:11], v7, s[2:3] offset:40
	s_mov_b32 s10, exec_lo
	v_dual_mov_b32 v16, s4 :: v_dual_mov_b32 v17, s5
	s_wait_loadcnt 0x0
	v_and_b32_e32 v11, s5, v11
	v_and_b32_e32 v10, s4, v10
	s_delay_alu instid0(VALU_DEP_1) | instskip(NEXT) | instid1(VALU_DEP_1)
	v_mul_u64_e32 v[10:11], 24, v[10:11]
	v_add_nc_u64_e32 v[14:15], v[26:27], v[10:11]
	global_store_b64 v[14:15], v[18:19], off
	global_wb scope:SCOPE_SYS
	s_wait_storecnt 0x0
	s_wait_xcnt 0x0
	global_atomic_cmpswap_b64 v[12:13], v7, v[16:19], s[2:3] offset:32 th:TH_ATOMIC_RETURN scope:SCOPE_SYS
	s_wait_loadcnt 0x0
	v_cmpx_ne_u64_e64 v[12:13], v[18:19]
	s_cbranch_execz .LBB0_71
; %bb.69:                               ;   in Loop: Header=BB0_3 Depth=1
	s_mov_b32 s11, 0
.LBB0_70:                               ;   Parent Loop BB0_3 Depth=1
                                        ; =>  This Inner Loop Header: Depth=2
	v_dual_mov_b32 v10, s4 :: v_dual_mov_b32 v11, s5
	s_sleep 1
	global_store_b64 v[14:15], v[12:13], off
	global_wb scope:SCOPE_SYS
	s_wait_storecnt 0x0
	s_wait_xcnt 0x0
	global_atomic_cmpswap_b64 v[10:11], v7, v[10:13], s[2:3] offset:32 th:TH_ATOMIC_RETURN scope:SCOPE_SYS
	s_wait_loadcnt 0x0
	v_cmp_eq_u64_e32 vcc_lo, v[10:11], v[12:13]
	v_mov_b64_e32 v[12:13], v[10:11]
	s_or_b32 s11, vcc_lo, s11
	s_delay_alu instid0(SALU_CYCLE_1)
	s_and_not1_b32 exec_lo, exec_lo, s11
	s_cbranch_execnz .LBB0_70
.LBB0_71:                               ;   in Loop: Header=BB0_3 Depth=1
	s_or_b32 exec_lo, exec_lo, s10
	global_load_b64 v[10:11], v7, s[2:3] offset:16
	s_mov_b32 s11, exec_lo
	s_mov_b32 s10, exec_lo
	v_mbcnt_lo_u32_b32 v0, s11, 0
	s_wait_xcnt 0x0
	s_delay_alu instid0(VALU_DEP_1)
	v_cmpx_eq_u32_e32 0, v0
	s_cbranch_execz .LBB0_73
; %bb.72:                               ;   in Loop: Header=BB0_3 Depth=1
	s_bcnt1_i32_b32 s11, s11
	s_delay_alu instid0(SALU_CYCLE_1)
	v_dual_mov_b32 v13, v7 :: v_dual_mov_b32 v12, s11
	global_wb scope:SCOPE_SYS
	s_wait_loadcnt 0x0
	s_wait_storecnt 0x0
	global_atomic_add_u64 v[10:11], v[12:13], off offset:8 scope:SCOPE_SYS
.LBB0_73:                               ;   in Loop: Header=BB0_3 Depth=1
	s_wait_xcnt 0x0
	s_or_b32 exec_lo, exec_lo, s10
	s_wait_loadcnt 0x0
	global_load_b64 v[12:13], v[10:11], off offset:16
	s_wait_loadcnt 0x0
	v_cmp_eq_u64_e32 vcc_lo, 0, v[12:13]
	s_cbranch_vccnz .LBB0_75
; %bb.74:                               ;   in Loop: Header=BB0_3 Depth=1
	global_load_b32 v10, v[10:11], off offset:24
	s_wait_xcnt 0x0
	v_mov_b32_e32 v11, v7
	s_wait_loadcnt 0x0
	v_readfirstlane_b32 s10, v10
	global_wb scope:SCOPE_SYS
	s_wait_storecnt 0x0
	global_store_b64 v[12:13], v[10:11], off scope:SCOPE_SYS
	s_and_b32 m0, s10, 0xffffff
	s_sendmsg sendmsg(MSG_INTERRUPT)
.LBB0_75:                               ;   in Loop: Header=BB0_3 Depth=1
	s_wait_xcnt 0x0
	s_or_b32 exec_lo, exec_lo, s1
	v_add_nc_u64_e32 v[10:11], v[28:29], v[6:7]
	s_branch .LBB0_79
.LBB0_76:                               ;   in Loop: Header=BB0_79 Depth=2
	s_wait_xcnt 0x0
	s_or_b32 exec_lo, exec_lo, s1
	s_delay_alu instid0(VALU_DEP_1)
	v_readfirstlane_b32 s1, v0
	s_cmp_eq_u32 s1, 0
	s_cbranch_scc1 .LBB0_78
; %bb.77:                               ;   in Loop: Header=BB0_79 Depth=2
	s_sleep 1
	s_cbranch_execnz .LBB0_79
	s_branch .LBB0_81
.LBB0_78:                               ;   in Loop: Header=BB0_3 Depth=1
	s_branch .LBB0_81
.LBB0_79:                               ;   Parent Loop BB0_3 Depth=1
                                        ; =>  This Inner Loop Header: Depth=2
	v_mov_b32_e32 v0, 1
	s_and_saveexec_b32 s1, s0
	s_cbranch_execz .LBB0_76
; %bb.80:                               ;   in Loop: Header=BB0_79 Depth=2
	global_load_b32 v0, v[36:37], off offset:20 scope:SCOPE_SYS
	s_wait_loadcnt 0x0
	global_inv scope:SCOPE_SYS
	v_and_b32_e32 v0, 1, v0
	s_branch .LBB0_76
.LBB0_81:                               ;   in Loop: Header=BB0_3 Depth=1
	global_load_b128 v[10:13], v[10:11], off
	s_wait_xcnt 0x0
	s_and_saveexec_b32 s10, s0
	s_cbranch_execz .LBB0_2
; %bb.82:                               ;   in Loop: Header=BB0_3 Depth=1
	s_wait_loadcnt 0x0
	s_clause 0x2
	global_load_b64 v[12:13], v7, s[2:3] offset:40
	global_load_b64 v[20:21], v7, s[2:3] offset:24 scope:SCOPE_SYS
	global_load_b64 v[14:15], v7, s[2:3]
	s_wait_loadcnt 0x2
	v_readfirstlane_b32 s12, v12
	v_readfirstlane_b32 s13, v13
	s_add_nc_u64 s[0:1], s[12:13], 1
	s_delay_alu instid0(SALU_CYCLE_1) | instskip(NEXT) | instid1(SALU_CYCLE_1)
	s_add_nc_u64 s[4:5], s[0:1], s[4:5]
	s_cmp_eq_u64 s[4:5], 0
	s_cselect_b32 s1, s1, s5
	s_cselect_b32 s0, s0, s4
	s_delay_alu instid0(SALU_CYCLE_1) | instskip(SKIP_1) | instid1(SALU_CYCLE_1)
	v_dual_mov_b32 v19, s1 :: v_dual_mov_b32 v18, s0
	s_and_b64 s[4:5], s[0:1], s[12:13]
	s_mul_u64 s[4:5], s[4:5], 24
	s_wait_loadcnt 0x0
	v_add_nc_u64_e32 v[16:17], s[4:5], v[14:15]
	global_store_b64 v[16:17], v[20:21], off
	global_wb scope:SCOPE_SYS
	s_wait_storecnt 0x0
	s_wait_xcnt 0x0
	global_atomic_cmpswap_b64 v[14:15], v7, v[18:21], s[2:3] offset:24 th:TH_ATOMIC_RETURN scope:SCOPE_SYS
	s_wait_loadcnt 0x0
	v_cmp_ne_u64_e32 vcc_lo, v[14:15], v[20:21]
	s_and_b32 exec_lo, exec_lo, vcc_lo
	s_cbranch_execz .LBB0_2
; %bb.83:                               ;   in Loop: Header=BB0_3 Depth=1
	s_mov_b32 s4, 0
.LBB0_84:                               ;   Parent Loop BB0_3 Depth=1
                                        ; =>  This Inner Loop Header: Depth=2
	v_dual_mov_b32 v12, s0 :: v_dual_mov_b32 v13, s1
	s_sleep 1
	global_store_b64 v[16:17], v[14:15], off
	global_wb scope:SCOPE_SYS
	s_wait_storecnt 0x0
	s_wait_xcnt 0x0
	global_atomic_cmpswap_b64 v[12:13], v7, v[12:15], s[2:3] offset:24 th:TH_ATOMIC_RETURN scope:SCOPE_SYS
	s_wait_loadcnt 0x0
	v_cmp_eq_u64_e32 vcc_lo, v[12:13], v[14:15]
	v_mov_b64_e32 v[14:15], v[12:13]
	s_or_b32 s4, vcc_lo, s4
	s_delay_alu instid0(SALU_CYCLE_1)
	s_and_not1_b32 exec_lo, exec_lo, s4
	s_cbranch_execnz .LBB0_84
	s_branch .LBB0_2
.LBB0_85:
	s_or_b32 exec_lo, exec_lo, s7
	s_branch .LBB0_114
.LBB0_86:
	s_load_b64 s[2:3], s[8:9], 0x50
	v_readfirstlane_b32 s0, v30
	v_mov_b64_e32 v[8:9], 0
	s_delay_alu instid0(VALU_DEP_2)
	v_cmp_eq_u32_e64 s0, s0, v30
	s_and_saveexec_b32 s1, s0
	s_cbranch_execz .LBB0_92
; %bb.87:
	v_mov_b32_e32 v0, 0
	s_mov_b32 s4, exec_lo
	s_wait_kmcnt 0x0
	global_load_b64 v[6:7], v0, s[2:3] offset:24 scope:SCOPE_SYS
	s_wait_loadcnt 0x0
	global_inv scope:SCOPE_SYS
	s_clause 0x1
	global_load_b64 v[4:5], v0, s[2:3] offset:40
	global_load_b64 v[8:9], v0, s[2:3]
	s_wait_loadcnt 0x1
	v_and_b32_e32 v4, v4, v6
	v_and_b32_e32 v5, v5, v7
	s_delay_alu instid0(VALU_DEP_1) | instskip(SKIP_1) | instid1(VALU_DEP_1)
	v_mul_u64_e32 v[4:5], 24, v[4:5]
	s_wait_loadcnt 0x0
	v_add_nc_u64_e32 v[4:5], v[8:9], v[4:5]
	global_load_b64 v[4:5], v[4:5], off scope:SCOPE_SYS
	s_wait_xcnt 0x0
	s_wait_loadcnt 0x0
	global_atomic_cmpswap_b64 v[8:9], v0, v[4:7], s[2:3] offset:24 th:TH_ATOMIC_RETURN scope:SCOPE_SYS
	s_wait_loadcnt 0x0
	global_inv scope:SCOPE_SYS
	s_wait_xcnt 0x0
	v_cmpx_ne_u64_e64 v[8:9], v[6:7]
	s_cbranch_execz .LBB0_91
; %bb.88:
	s_mov_b32 s5, 0
.LBB0_89:                               ; =>This Inner Loop Header: Depth=1
	s_sleep 1
	s_clause 0x1
	global_load_b64 v[4:5], v0, s[2:3] offset:40
	global_load_b64 v[10:11], v0, s[2:3]
	v_mov_b64_e32 v[6:7], v[8:9]
	s_wait_loadcnt 0x1
	s_delay_alu instid0(VALU_DEP_1) | instskip(SKIP_1) | instid1(VALU_DEP_1)
	v_and_b32_e32 v2, v4, v6
	s_wait_loadcnt 0x0
	v_mad_nc_u64_u32 v[8:9], v2, 24, v[10:11]
	s_delay_alu instid0(VALU_DEP_3) | instskip(NEXT) | instid1(VALU_DEP_1)
	v_and_b32_e32 v2, v5, v7
	v_mad_u32 v9, v2, 24, v9
	global_load_b64 v[4:5], v[8:9], off scope:SCOPE_SYS
	s_wait_xcnt 0x0
	s_wait_loadcnt 0x0
	global_atomic_cmpswap_b64 v[8:9], v0, v[4:7], s[2:3] offset:24 th:TH_ATOMIC_RETURN scope:SCOPE_SYS
	s_wait_loadcnt 0x0
	global_inv scope:SCOPE_SYS
	v_cmp_eq_u64_e32 vcc_lo, v[8:9], v[6:7]
	s_or_b32 s5, vcc_lo, s5
	s_wait_xcnt 0x0
	s_and_not1_b32 exec_lo, exec_lo, s5
	s_cbranch_execnz .LBB0_89
; %bb.90:
	s_or_b32 exec_lo, exec_lo, s5
.LBB0_91:
	s_delay_alu instid0(SALU_CYCLE_1)
	s_or_b32 exec_lo, exec_lo, s4
.LBB0_92:
	s_delay_alu instid0(SALU_CYCLE_1)
	s_or_b32 exec_lo, exec_lo, s1
	v_readfirstlane_b32 s4, v8
	v_mov_b32_e32 v2, 0
	v_readfirstlane_b32 s5, v9
	s_mov_b32 s1, exec_lo
	s_wait_loadcnt 0x0
	s_wait_kmcnt 0x0
	s_clause 0x1
	global_load_b64 v[10:11], v2, s[2:3] offset:40
	global_load_b128 v[4:7], v2, s[2:3]
	s_wait_loadcnt 0x1
	v_and_b32_e32 v10, s4, v10
	v_and_b32_e32 v11, s5, v11
	s_delay_alu instid0(VALU_DEP_1) | instskip(SKIP_1) | instid1(VALU_DEP_1)
	v_mul_u64_e32 v[8:9], 24, v[10:11]
	s_wait_loadcnt 0x0
	v_add_nc_u64_e32 v[8:9], v[4:5], v[8:9]
	s_wait_xcnt 0x0
	s_and_saveexec_b32 s6, s0
	s_cbranch_execz .LBB0_94
; %bb.93:
	v_mov_b64_e32 v[14:15], 0x100000002
	v_dual_mov_b32 v12, s1 :: v_dual_mov_b32 v13, v2
	global_store_b128 v[8:9], v[12:15], off offset:8
.LBB0_94:
	s_wait_xcnt 0x0
	s_or_b32 exec_lo, exec_lo, s6
	v_lshlrev_b64_e32 v[10:11], 12, v[10:11]
	s_mov_b32 s8, 0
	v_and_or_b32 v0, 0xffffff1f, v3, 32
	s_mov_b32 s10, s8
	s_mov_b32 s11, s8
	;; [unrolled: 1-line block ×3, first 2 shown]
	v_dual_mov_b32 v3, v2 :: v_dual_lshlrev_b32 v14, 6, v30
	v_add_nc_u64_e32 v[6:7], v[6:7], v[10:11]
	v_mov_b64_e32 v[12:13], s[10:11]
	v_mov_b64_e32 v[10:11], s[8:9]
	s_delay_alu instid0(VALU_DEP_3) | instskip(NEXT) | instid1(VALU_DEP_4)
	v_readfirstlane_b32 s6, v6
	v_readfirstlane_b32 s7, v7
	s_clause 0x3
	global_store_b128 v14, v[0:3], s[6:7]
	global_store_b128 v14, v[10:13], s[6:7] offset:16
	global_store_b128 v14, v[10:13], s[6:7] offset:32
	;; [unrolled: 1-line block ×3, first 2 shown]
	s_wait_xcnt 0x0
	s_and_saveexec_b32 s1, s0
	s_cbranch_execz .LBB0_102
; %bb.95:
	v_dual_mov_b32 v6, 0 :: v_dual_mov_b32 v11, s5
	s_mov_b32 s6, exec_lo
	s_clause 0x1
	global_load_b64 v[12:13], v6, s[2:3] offset:32 scope:SCOPE_SYS
	global_load_b64 v[0:1], v6, s[2:3] offset:40
	s_wait_loadcnt 0x0
	v_dual_mov_b32 v10, s4 :: v_dual_bitop2_b32 v1, s5, v1 bitop3:0x40
	v_and_b32_e32 v0, s4, v0
	s_delay_alu instid0(VALU_DEP_1) | instskip(NEXT) | instid1(VALU_DEP_1)
	v_mul_u64_e32 v[0:1], 24, v[0:1]
	v_add_nc_u64_e32 v[4:5], v[4:5], v[0:1]
	global_store_b64 v[4:5], v[12:13], off
	global_wb scope:SCOPE_SYS
	s_wait_storecnt 0x0
	s_wait_xcnt 0x0
	global_atomic_cmpswap_b64 v[2:3], v6, v[10:13], s[2:3] offset:32 th:TH_ATOMIC_RETURN scope:SCOPE_SYS
	s_wait_loadcnt 0x0
	v_cmpx_ne_u64_e64 v[2:3], v[12:13]
	s_cbranch_execz .LBB0_98
; %bb.96:
	s_mov_b32 s7, 0
.LBB0_97:                               ; =>This Inner Loop Header: Depth=1
	v_dual_mov_b32 v0, s4 :: v_dual_mov_b32 v1, s5
	s_sleep 1
	global_store_b64 v[4:5], v[2:3], off
	global_wb scope:SCOPE_SYS
	s_wait_storecnt 0x0
	s_wait_xcnt 0x0
	global_atomic_cmpswap_b64 v[0:1], v6, v[0:3], s[2:3] offset:32 th:TH_ATOMIC_RETURN scope:SCOPE_SYS
	s_wait_loadcnt 0x0
	v_cmp_eq_u64_e32 vcc_lo, v[0:1], v[2:3]
	v_mov_b64_e32 v[2:3], v[0:1]
	s_or_b32 s7, vcc_lo, s7
	s_delay_alu instid0(SALU_CYCLE_1)
	s_and_not1_b32 exec_lo, exec_lo, s7
	s_cbranch_execnz .LBB0_97
.LBB0_98:
	s_or_b32 exec_lo, exec_lo, s6
	v_mov_b32_e32 v3, 0
	s_mov_b32 s7, exec_lo
	s_mov_b32 s6, exec_lo
	v_mbcnt_lo_u32_b32 v2, s7, 0
	global_load_b64 v[0:1], v3, s[2:3] offset:16
	s_wait_xcnt 0x0
	v_cmpx_eq_u32_e32 0, v2
	s_cbranch_execz .LBB0_100
; %bb.99:
	s_bcnt1_i32_b32 s7, s7
	s_delay_alu instid0(SALU_CYCLE_1)
	v_mov_b32_e32 v2, s7
	global_wb scope:SCOPE_SYS
	s_wait_loadcnt 0x0
	s_wait_storecnt 0x0
	global_atomic_add_u64 v[0:1], v[2:3], off offset:8 scope:SCOPE_SYS
.LBB0_100:
	s_wait_xcnt 0x0
	s_or_b32 exec_lo, exec_lo, s6
	s_wait_loadcnt 0x0
	global_load_b64 v[2:3], v[0:1], off offset:16
	s_wait_loadcnt 0x0
	v_cmp_eq_u64_e32 vcc_lo, 0, v[2:3]
	s_cbranch_vccnz .LBB0_102
; %bb.101:
	global_load_b32 v0, v[0:1], off offset:24
	s_wait_xcnt 0x0
	v_mov_b32_e32 v1, 0
	s_wait_loadcnt 0x0
	v_readfirstlane_b32 s6, v0
	global_wb scope:SCOPE_SYS
	s_wait_storecnt 0x0
	global_store_b64 v[2:3], v[0:1], off scope:SCOPE_SYS
	s_and_b32 m0, s6, 0xffffff
	s_sendmsg sendmsg(MSG_INTERRUPT)
.LBB0_102:
	s_wait_xcnt 0x0
	s_or_b32 exec_lo, exec_lo, s1
	s_branch .LBB0_106
.LBB0_103:                              ;   in Loop: Header=BB0_106 Depth=1
	s_wait_xcnt 0x0
	s_or_b32 exec_lo, exec_lo, s1
	s_delay_alu instid0(VALU_DEP_1)
	v_readfirstlane_b32 s1, v0
	s_cmp_eq_u32 s1, 0
	s_cbranch_scc1 .LBB0_105
; %bb.104:                              ;   in Loop: Header=BB0_106 Depth=1
	s_sleep 1
	s_cbranch_execnz .LBB0_106
	s_branch .LBB0_108
.LBB0_105:
	s_branch .LBB0_108
.LBB0_106:                              ; =>This Inner Loop Header: Depth=1
	v_mov_b32_e32 v0, 1
	s_and_saveexec_b32 s1, s0
	s_cbranch_execz .LBB0_103
; %bb.107:                              ;   in Loop: Header=BB0_106 Depth=1
	global_load_b32 v0, v[8:9], off offset:20 scope:SCOPE_SYS
	s_wait_loadcnt 0x0
	global_inv scope:SCOPE_SYS
	v_and_b32_e32 v0, 1, v0
	s_branch .LBB0_103
.LBB0_108:
	s_and_saveexec_b32 s6, s0
	s_cbranch_execz .LBB0_112
; %bb.109:
	v_mov_b32_e32 v6, 0
	s_clause 0x2
	global_load_b64 v[0:1], v6, s[2:3] offset:40
	global_load_b64 v[10:11], v6, s[2:3] offset:24 scope:SCOPE_SYS
	global_load_b64 v[2:3], v6, s[2:3]
	s_wait_loadcnt 0x2
	v_readfirstlane_b32 s8, v0
	v_readfirstlane_b32 s9, v1
	s_add_nc_u64 s[0:1], s[8:9], 1
	s_delay_alu instid0(SALU_CYCLE_1) | instskip(NEXT) | instid1(SALU_CYCLE_1)
	s_add_nc_u64 s[4:5], s[0:1], s[4:5]
	s_cmp_eq_u64 s[4:5], 0
	s_cselect_b32 s1, s1, s5
	s_cselect_b32 s0, s0, s4
	v_mov_b32_e32 v9, s1
	s_and_b64 s[4:5], s[0:1], s[8:9]
	v_mov_b32_e32 v8, s0
	s_mul_u64 s[4:5], s[4:5], 24
	s_wait_loadcnt 0x0
	v_add_nc_u64_e32 v[4:5], s[4:5], v[2:3]
	global_store_b64 v[4:5], v[10:11], off
	global_wb scope:SCOPE_SYS
	s_wait_storecnt 0x0
	s_wait_xcnt 0x0
	global_atomic_cmpswap_b64 v[2:3], v6, v[8:11], s[2:3] offset:24 th:TH_ATOMIC_RETURN scope:SCOPE_SYS
	s_wait_loadcnt 0x0
	v_cmp_ne_u64_e32 vcc_lo, v[2:3], v[10:11]
	s_and_b32 exec_lo, exec_lo, vcc_lo
	s_cbranch_execz .LBB0_112
; %bb.110:
	s_mov_b32 s4, 0
.LBB0_111:                              ; =>This Inner Loop Header: Depth=1
	v_dual_mov_b32 v0, s0 :: v_dual_mov_b32 v1, s1
	s_sleep 1
	global_store_b64 v[4:5], v[2:3], off
	global_wb scope:SCOPE_SYS
	s_wait_storecnt 0x0
	s_wait_xcnt 0x0
	global_atomic_cmpswap_b64 v[0:1], v6, v[0:3], s[2:3] offset:24 th:TH_ATOMIC_RETURN scope:SCOPE_SYS
	s_wait_loadcnt 0x0
	v_cmp_eq_u64_e32 vcc_lo, v[0:1], v[2:3]
	v_mov_b64_e32 v[2:3], v[0:1]
	s_or_b32 s4, vcc_lo, s4
	s_delay_alu instid0(SALU_CYCLE_1)
	s_and_not1_b32 exec_lo, exec_lo, s4
	s_cbranch_execnz .LBB0_111
.LBB0_112:
	s_or_b32 exec_lo, exec_lo, s6
	s_wait_loadcnt 0x0
	s_wait_kmcnt 0x0
	s_set_pc_i64 s[30:31]
.LBB0_113:
	s_cbranch_execnz .LBB0_86
.LBB0_114:
	s_wait_loadcnt 0x0
	s_wait_kmcnt 0x0
	s_set_pc_i64 s[30:31]
.Lfunc_end0:
	.size	__ockl_fprintf_append_string_n, .Lfunc_end0-__ockl_fprintf_append_string_n
                                        ; -- End function
	.set .L__ockl_fprintf_append_string_n.num_vgpr, 40
	.set .L__ockl_fprintf_append_string_n.num_agpr, 0
	.set .L__ockl_fprintf_append_string_n.numbered_sgpr, 32
	.set .L__ockl_fprintf_append_string_n.num_named_barrier, 0
	.set .L__ockl_fprintf_append_string_n.private_seg_size, 0
	.set .L__ockl_fprintf_append_string_n.uses_vcc, 1
	.set .L__ockl_fprintf_append_string_n.uses_flat_scratch, 0
	.set .L__ockl_fprintf_append_string_n.has_dyn_sized_stack, 0
	.set .L__ockl_fprintf_append_string_n.has_recursion, 0
	.set .L__ockl_fprintf_append_string_n.has_indirect_call, 0
	.section	.AMDGPU.csdata,"",@progbits
; Function info:
; codeLenInByte = 4324
; TotalNumSgprs: 34
; NumVgprs: 40
; ScratchSize: 0
; MemoryBound: 0
	.text
	.p2align	2                               ; -- Begin function __assert_fail
	.type	__assert_fail,@function
__assert_fail:                          ; @__assert_fail
; %bb.0:
	s_wait_loadcnt_dscnt 0x0
	s_wait_kmcnt 0x0
	s_mov_b32 s20, s33
	s_mov_b32 s33, s32
	s_or_saveexec_b32 s0, -1
	scratch_store_b32 off, v40, s33 offset:48 ; 4-byte Folded Spill
	s_wait_xcnt 0x0
	s_mov_b32 exec_lo, s0
	v_writelane_b32 v40, s30, 0
	s_add_co_i32 s32, s32, 64
	v_writelane_b32 v40, s31, 1
	v_mov_b32_e32 v8, 0
	s_get_pc_i64 s[0:1]
	s_add_nc_u64 s[0:1], s[0:1], __const.__assert_fail.fmt@rel64+35
	v_dual_mov_b32 v5, v1 :: v_dual_mov_b32 v4, v0
	s_get_pc_i64 s[10:11]
	s_add_nc_u64 s[10:11], s[10:11], __const.__assert_fail.fmt@rel64+20
	global_load_b128 v[0:3], v8, s[0:1]
	s_wait_xcnt 0x0
	s_get_pc_i64 s[0:1]
	s_add_nc_u64 s[0:1], s[0:1], __const.__assert_fail.fmt@rel64+4
	s_clause 0x1
	s_load_b128 s[4:7], s[0:1], 0x0
	s_load_b128 s[12:15], s[10:11], 0x0
	s_load_b64 s[2:3], s[8:9], 0x50
	v_mbcnt_lo_u32_b32 v48, -1, 0
	v_mov_b64_e32 v[6:7], 0
	s_wait_xcnt 0x0
	s_delay_alu instid0(VALU_DEP_2) | instskip(NEXT) | instid1(VALU_DEP_1)
	v_readfirstlane_b32 s0, v48
	v_cmp_eq_u32_e64 s0, s0, v48
	s_wait_kmcnt 0x0
	v_mov_b64_e32 v[12:13], s[6:7]
	v_mov_b64_e32 v[10:11], s[4:5]
	;; [unrolled: 1-line block ×4, first 2 shown]
	s_clause 0x1
	scratch_store_b128 off, v[10:13], s33
	scratch_store_b128 off, v[14:17], s33 offset:16
	s_wait_loadcnt 0x0
	scratch_store_b128 off, v[0:3], s33 offset:31
	s_wait_xcnt 0x0
	s_and_saveexec_b32 s1, s0
	s_cbranch_execz .LBB1_6
; %bb.1:
	global_load_b64 v[2:3], v8, s[2:3] offset:24 scope:SCOPE_SYS
	s_wait_loadcnt 0x0
	global_inv scope:SCOPE_SYS
	s_clause 0x1
	global_load_b64 v[0:1], v8, s[2:3] offset:40
	global_load_b64 v[6:7], v8, s[2:3]
	s_mov_b32 s4, exec_lo
	s_wait_loadcnt 0x1
	v_and_b32_e32 v0, v0, v2
	v_and_b32_e32 v1, v1, v3
	s_delay_alu instid0(VALU_DEP_1) | instskip(SKIP_1) | instid1(VALU_DEP_1)
	v_mul_u64_e32 v[0:1], 24, v[0:1]
	s_wait_loadcnt 0x0
	v_add_nc_u64_e32 v[0:1], v[6:7], v[0:1]
	global_load_b64 v[0:1], v[0:1], off scope:SCOPE_SYS
	s_wait_xcnt 0x0
	s_wait_loadcnt 0x0
	global_atomic_cmpswap_b64 v[6:7], v8, v[0:3], s[2:3] offset:24 th:TH_ATOMIC_RETURN scope:SCOPE_SYS
	s_wait_loadcnt 0x0
	global_inv scope:SCOPE_SYS
	s_wait_xcnt 0x0
	v_cmpx_ne_u64_e64 v[6:7], v[2:3]
	s_cbranch_execz .LBB1_5
; %bb.2:
	v_mov_b32_e32 v0, 0
	s_mov_b32 s5, 0
.LBB1_3:                                ; =>This Inner Loop Header: Depth=1
	s_sleep 1
	s_clause 0x1
	global_load_b64 v[2:3], v0, s[2:3] offset:40
	global_load_b64 v[10:11], v0, s[2:3]
	v_mov_b64_e32 v[12:13], v[6:7]
	s_wait_loadcnt 0x1
	s_delay_alu instid0(VALU_DEP_1) | instskip(SKIP_1) | instid1(VALU_DEP_1)
	v_and_b32_e32 v1, v2, v12
	s_wait_loadcnt 0x0
	v_mad_nc_u64_u32 v[6:7], v1, 24, v[10:11]
	s_delay_alu instid0(VALU_DEP_3) | instskip(NEXT) | instid1(VALU_DEP_1)
	v_and_b32_e32 v1, v3, v13
	v_mad_u32 v7, v1, 24, v7
	global_load_b64 v[10:11], v[6:7], off scope:SCOPE_SYS
	s_wait_xcnt 0x0
	s_wait_loadcnt 0x0
	global_atomic_cmpswap_b64 v[6:7], v0, v[10:13], s[2:3] offset:24 th:TH_ATOMIC_RETURN scope:SCOPE_SYS
	s_wait_loadcnt 0x0
	global_inv scope:SCOPE_SYS
	v_cmp_eq_u64_e32 vcc_lo, v[6:7], v[12:13]
	s_or_b32 s5, vcc_lo, s5
	s_wait_xcnt 0x0
	s_and_not1_b32 exec_lo, exec_lo, s5
	s_cbranch_execnz .LBB1_3
; %bb.4:
	s_or_b32 exec_lo, exec_lo, s5
.LBB1_5:
	s_delay_alu instid0(SALU_CYCLE_1)
	s_or_b32 exec_lo, exec_lo, s4
.LBB1_6:
	s_delay_alu instid0(SALU_CYCLE_1)
	s_or_b32 exec_lo, exec_lo, s1
	s_clause 0x1
	global_load_b64 v[10:11], v8, s[2:3] offset:40
	global_load_b128 v[0:3], v8, s[2:3]
	v_readfirstlane_b32 s4, v6
	v_readfirstlane_b32 s5, v7
	s_mov_b32 s1, exec_lo
	s_wait_loadcnt 0x1
	s_wait_xcnt 0x0
	v_and_b32_e32 v8, s4, v10
	v_and_b32_e32 v9, s5, v11
	s_delay_alu instid0(VALU_DEP_1) | instskip(SKIP_1) | instid1(VALU_DEP_1)
	v_mul_u64_e32 v[6:7], 24, v[8:9]
	s_wait_loadcnt 0x0
	v_add_nc_u64_e32 v[6:7], v[0:1], v[6:7]
	s_and_saveexec_b32 s6, s0
	s_cbranch_execz .LBB1_8
; %bb.7:
	v_mov_b64_e32 v[12:13], 0x100000002
	v_dual_mov_b32 v10, s1 :: v_dual_mov_b32 v11, 0
	global_store_b128 v[6:7], v[10:13], off offset:8
.LBB1_8:
	s_wait_xcnt 0x0
	s_or_b32 exec_lo, exec_lo, s6
	v_lshlrev_b64_e32 v[8:9], 12, v[8:9]
	s_mov_b32 s12, 0
	v_dual_mov_b32 v31, 0 :: v_dual_lshlrev_b32 v30, 6, v48
	s_mov_b32 s14, s12
	s_mov_b32 s15, s12
	;; [unrolled: 1-line block ×3, first 2 shown]
	s_delay_alu instid0(VALU_DEP_2)
	v_add_nc_u64_e32 v[8:9], v[2:3], v[8:9]
	v_mov_b64_e32 v[16:17], s[14:15]
	v_mov_b64_e32 v[14:15], s[12:13]
	v_dual_mov_b32 v10, 33 :: v_dual_mov_b32 v12, 1
	v_dual_mov_b32 v11, v31 :: v_dual_mov_b32 v13, v31
	v_readfirstlane_b32 s6, v8
	v_readfirstlane_b32 s7, v9
	s_clause 0x3
	global_store_b128 v30, v[10:13], s[6:7]
	global_store_b128 v30, v[14:17], s[6:7] offset:16
	global_store_b128 v30, v[14:17], s[6:7] offset:32
	;; [unrolled: 1-line block ×3, first 2 shown]
	s_wait_xcnt 0x0
	s_and_saveexec_b32 s1, s0
	s_cbranch_execz .LBB1_16
; %bb.9:
	s_clause 0x1
	global_load_b64 v[14:15], v31, s[2:3] offset:32 scope:SCOPE_SYS
	global_load_b64 v[2:3], v31, s[2:3] offset:40
	s_mov_b32 s6, exec_lo
	v_dual_mov_b32 v12, s4 :: v_dual_mov_b32 v13, s5
	s_wait_loadcnt 0x0
	v_and_b32_e32 v3, s5, v3
	v_and_b32_e32 v2, s4, v2
	s_delay_alu instid0(VALU_DEP_1) | instskip(NEXT) | instid1(VALU_DEP_1)
	v_mul_u64_e32 v[2:3], 24, v[2:3]
	v_add_nc_u64_e32 v[10:11], v[0:1], v[2:3]
	global_store_b64 v[10:11], v[14:15], off
	global_wb scope:SCOPE_SYS
	s_wait_storecnt 0x0
	s_wait_xcnt 0x0
	global_atomic_cmpswap_b64 v[2:3], v31, v[12:15], s[2:3] offset:32 th:TH_ATOMIC_RETURN scope:SCOPE_SYS
	s_wait_loadcnt 0x0
	v_cmpx_ne_u64_e64 v[2:3], v[14:15]
	s_cbranch_execz .LBB1_12
; %bb.10:
	v_mov_b32_e32 v12, 0
	s_mov_b32 s7, 0
.LBB1_11:                               ; =>This Inner Loop Header: Depth=1
	v_dual_mov_b32 v0, s4 :: v_dual_mov_b32 v1, s5
	s_sleep 1
	global_store_b64 v[10:11], v[2:3], off
	global_wb scope:SCOPE_SYS
	s_wait_storecnt 0x0
	s_wait_xcnt 0x0
	global_atomic_cmpswap_b64 v[0:1], v12, v[0:3], s[2:3] offset:32 th:TH_ATOMIC_RETURN scope:SCOPE_SYS
	s_wait_loadcnt 0x0
	v_cmp_eq_u64_e32 vcc_lo, v[0:1], v[2:3]
	v_mov_b64_e32 v[2:3], v[0:1]
	s_or_b32 s7, vcc_lo, s7
	s_delay_alu instid0(SALU_CYCLE_1)
	s_and_not1_b32 exec_lo, exec_lo, s7
	s_cbranch_execnz .LBB1_11
.LBB1_12:
	s_or_b32 exec_lo, exec_lo, s6
	v_mov_b32_e32 v3, 0
	s_mov_b32 s7, exec_lo
	s_mov_b32 s6, exec_lo
	v_mbcnt_lo_u32_b32 v2, s7, 0
	global_load_b64 v[0:1], v3, s[2:3] offset:16
	s_wait_xcnt 0x0
	v_cmpx_eq_u32_e32 0, v2
	s_cbranch_execz .LBB1_14
; %bb.13:
	s_bcnt1_i32_b32 s7, s7
	s_delay_alu instid0(SALU_CYCLE_1)
	v_mov_b32_e32 v2, s7
	global_wb scope:SCOPE_SYS
	s_wait_loadcnt 0x0
	s_wait_storecnt 0x0
	global_atomic_add_u64 v[0:1], v[2:3], off offset:8 scope:SCOPE_SYS
.LBB1_14:
	s_wait_xcnt 0x0
	s_or_b32 exec_lo, exec_lo, s6
	s_wait_loadcnt 0x0
	global_load_b64 v[2:3], v[0:1], off offset:16
	s_wait_loadcnt 0x0
	v_cmp_eq_u64_e32 vcc_lo, 0, v[2:3]
	s_cbranch_vccnz .LBB1_16
; %bb.15:
	global_load_b32 v0, v[0:1], off offset:24
	s_wait_xcnt 0x0
	v_mov_b32_e32 v1, 0
	s_wait_loadcnt 0x0
	v_readfirstlane_b32 s6, v0
	global_wb scope:SCOPE_SYS
	s_wait_storecnt 0x0
	global_store_b64 v[2:3], v[0:1], off scope:SCOPE_SYS
	s_and_b32 m0, s6, 0xffffff
	s_sendmsg sendmsg(MSG_INTERRUPT)
.LBB1_16:
	s_wait_xcnt 0x0
	s_or_b32 exec_lo, exec_lo, s1
	v_add_nc_u64_e32 v[0:1], v[8:9], v[30:31]
	s_branch .LBB1_20
.LBB1_17:                               ;   in Loop: Header=BB1_20 Depth=1
	s_wait_xcnt 0x0
	s_or_b32 exec_lo, exec_lo, s1
	s_delay_alu instid0(VALU_DEP_1)
	v_readfirstlane_b32 s1, v2
	s_cmp_eq_u32 s1, 0
	s_cbranch_scc1 .LBB1_19
; %bb.18:                               ;   in Loop: Header=BB1_20 Depth=1
	s_sleep 1
	s_cbranch_execnz .LBB1_20
	s_branch .LBB1_22
.LBB1_19:
	s_branch .LBB1_22
.LBB1_20:                               ; =>This Inner Loop Header: Depth=1
	v_mov_b32_e32 v2, 1
	s_and_saveexec_b32 s1, s0
	s_cbranch_execz .LBB1_17
; %bb.21:                               ;   in Loop: Header=BB1_20 Depth=1
	global_load_b32 v2, v[6:7], off offset:20 scope:SCOPE_SYS
	s_wait_loadcnt 0x0
	global_inv scope:SCOPE_SYS
	v_and_b32_e32 v2, 1, v2
	s_branch .LBB1_17
.LBB1_22:
	global_load_b64 v[6:7], v[0:1], off
	s_wait_xcnt 0x0
	s_and_saveexec_b32 s6, s0
	s_cbranch_execz .LBB1_26
; %bb.23:
	v_mov_b32_e32 v10, 0
	s_clause 0x2
	global_load_b64 v[0:1], v10, s[2:3] offset:40
	global_load_b64 v[14:15], v10, s[2:3] offset:24 scope:SCOPE_SYS
	global_load_b64 v[2:3], v10, s[2:3]
	s_wait_loadcnt 0x2
	v_readfirstlane_b32 s10, v0
	v_readfirstlane_b32 s11, v1
	s_add_nc_u64 s[0:1], s[10:11], 1
	s_delay_alu instid0(SALU_CYCLE_1) | instskip(NEXT) | instid1(SALU_CYCLE_1)
	s_add_nc_u64 s[4:5], s[0:1], s[4:5]
	s_cmp_eq_u64 s[4:5], 0
	s_cselect_b32 s1, s1, s5
	s_cselect_b32 s0, s0, s4
	v_mov_b32_e32 v13, s1
	s_and_b64 s[4:5], s[0:1], s[10:11]
	v_mov_b32_e32 v12, s0
	s_mul_u64 s[4:5], s[4:5], 24
	s_wait_loadcnt 0x0
	v_add_nc_u64_e32 v[8:9], s[4:5], v[2:3]
	global_store_b64 v[8:9], v[14:15], off
	global_wb scope:SCOPE_SYS
	s_wait_storecnt 0x0
	s_wait_xcnt 0x0
	global_atomic_cmpswap_b64 v[2:3], v10, v[12:15], s[2:3] offset:24 th:TH_ATOMIC_RETURN scope:SCOPE_SYS
	s_wait_loadcnt 0x0
	v_cmp_ne_u64_e32 vcc_lo, v[2:3], v[14:15]
	s_and_b32 exec_lo, exec_lo, vcc_lo
	s_cbranch_execz .LBB1_26
; %bb.24:
	s_mov_b32 s4, 0
.LBB1_25:                               ; =>This Inner Loop Header: Depth=1
	v_dual_mov_b32 v0, s0 :: v_dual_mov_b32 v1, s1
	s_sleep 1
	global_store_b64 v[8:9], v[2:3], off
	global_wb scope:SCOPE_SYS
	s_wait_storecnt 0x0
	s_wait_xcnt 0x0
	global_atomic_cmpswap_b64 v[0:1], v10, v[0:3], s[2:3] offset:24 th:TH_ATOMIC_RETURN scope:SCOPE_SYS
	s_wait_loadcnt 0x0
	v_cmp_eq_u64_e32 vcc_lo, v[0:1], v[2:3]
	v_mov_b64_e32 v[2:3], v[0:1]
	s_or_b32 s4, vcc_lo, s4
	s_delay_alu instid0(SALU_CYCLE_1)
	s_and_not1_b32 exec_lo, exec_lo, s4
	s_cbranch_execnz .LBB1_25
.LBB1_26:
	s_or_b32 exec_lo, exec_lo, s6
	s_mov_b32 s1, s33
	s_mov_b32 s0, 0
.LBB1_27:                               ; =>This Inner Loop Header: Depth=1
	scratch_load_u8 v0, off, s1
	s_wait_xcnt 0x0
	s_add_co_i32 s1, s1, 1
	s_wait_loadcnt 0x0
	v_cmp_eq_u16_e32 vcc_lo, 0, v0
	v_mov_b32_e32 v0, s1
	s_or_b32 s0, vcc_lo, s0
	s_delay_alu instid0(SALU_CYCLE_1)
	s_and_not1_b32 exec_lo, exec_lo, s0
	s_cbranch_execnz .LBB1_27
; %bb.28:
	s_or_b32 exec_lo, exec_lo, s0
	s_cmp_lg_u32 s33, -1
	s_cbranch_scc0 .LBB1_113
; %bb.29:
	s_mov_b64 s[0:1], src_flat_scratch_base_lo
	v_mov_b64_e32 v[10:11], 0x100000002
	v_dual_add_nc_u32 v0, s0, v0 :: v_dual_bitop2_b32 v28, 2, v6 bitop3:0x40
	s_add_co_i32 s0, s33, s0
	v_dual_mov_b32 v31, 0 :: v_dual_mov_b32 v29, s33
	s_delay_alu instid0(VALU_DEP_2) | instskip(SKIP_3) | instid1(VALU_DEP_2)
	v_subrev_nc_u32_e32 v32, s0, v0
	v_dual_mov_b32 v1, v7 :: v_dual_bitop2_b32 v0, -3, v6 bitop3:0x40
	s_mov_b32 s7, 0
	s_mov_b32 s6, 0
	v_ashrrev_i32_e32 v33, 31, v32
	s_branch .LBB1_31
.LBB1_30:                               ;   in Loop: Header=BB1_31 Depth=1
	s_or_b32 exec_lo, exec_lo, s10
	v_sub_nc_u64_e32 v[32:33], v[32:33], v[34:35]
	v_add_nc_u32_e32 v29, v29, v34
	s_delay_alu instid0(VALU_DEP_2) | instskip(SKIP_1) | instid1(SALU_CYCLE_1)
	v_cmp_eq_u64_e32 vcc_lo, 0, v[32:33]
	s_or_b32 s6, vcc_lo, s6
	s_and_not1_b32 exec_lo, exec_lo, s6
	s_cbranch_execz .LBB1_192
.LBB1_31:                               ; =>This Loop Header: Depth=1
                                        ;     Child Loop BB1_34 Depth 2
                                        ;     Child Loop BB1_42 Depth 2
	;; [unrolled: 1-line block ×11, first 2 shown]
	s_delay_alu instid0(VALU_DEP_1)
	v_min_u64 v[34:35], v[32:33], 56
	v_add_nc_u32_e32 v9, 8, v29
	s_mov_b32 s0, exec_lo
	v_cmpx_gt_u64_e32 8, v[32:33]
	s_xor_b32 s4, exec_lo, s0
	s_cbranch_execz .LBB1_37
; %bb.32:                               ;   in Loop: Header=BB1_31 Depth=1
	v_mov_b64_e32 v[2:3], 0
	s_mov_b32 s5, exec_lo
	v_cmpx_ne_u64_e32 0, v[32:33]
	s_cbranch_execz .LBB1_36
; %bb.33:                               ;   in Loop: Header=BB1_31 Depth=1
	v_mov_b64_e32 v[2:3], 0
	v_dual_mov_b32 v9, v29 :: v_dual_lshlrev_b32 v8, 3, v34
	s_mov_b64 s[0:1], 0
	s_mov_b32 s10, 0
.LBB1_34:                               ;   Parent Loop BB1_31 Depth=1
                                        ; =>  This Inner Loop Header: Depth=2
	scratch_load_u8 v12, v9, off
	s_wait_xcnt 0x0
	v_dual_mov_b32 v13, s7 :: v_dual_add_nc_u32 v9, 1, v9
	s_wait_loadcnt 0x0
	v_and_b32_e32 v12, 0xffff, v12
	s_delay_alu instid0(VALU_DEP_1) | instskip(SKIP_1) | instid1(SALU_CYCLE_1)
	v_lshlrev_b64_e32 v[12:13], s0, v[12:13]
	s_add_nc_u64 s[0:1], s[0:1], 8
	v_cmp_eq_u32_e32 vcc_lo, s0, v8
	s_delay_alu instid0(VALU_DEP_2) | instskip(NEXT) | instid1(VALU_DEP_3)
	v_or_b32_e32 v3, v13, v3
	v_or_b32_e32 v2, v12, v2
	s_or_b32 s10, vcc_lo, s10
	s_delay_alu instid0(SALU_CYCLE_1)
	s_and_not1_b32 exec_lo, exec_lo, s10
	s_cbranch_execnz .LBB1_34
; %bb.35:                               ;   in Loop: Header=BB1_31 Depth=1
	s_or_b32 exec_lo, exec_lo, s10
.LBB1_36:                               ;   in Loop: Header=BB1_31 Depth=1
	s_delay_alu instid0(SALU_CYCLE_1)
	s_or_b32 exec_lo, exec_lo, s5
	v_mov_b32_e32 v9, v29
.LBB1_37:                               ;   in Loop: Header=BB1_31 Depth=1
	s_or_saveexec_b32 s0, s4
	v_mov_b32_e32 v14, 0
	s_xor_b32 exec_lo, exec_lo, s0
	s_cbranch_execz .LBB1_39
; %bb.38:                               ;   in Loop: Header=BB1_31 Depth=1
	scratch_load_b64 v[2:3], v29, off
	v_add_nc_u32_e32 v14, -8, v34
.LBB1_39:                               ;   in Loop: Header=BB1_31 Depth=1
	s_wait_xcnt 0x0
	s_or_b32 exec_lo, exec_lo, s0
	v_add_nc_u32_e32 v8, 8, v9
                                        ; implicit-def: $vgpr12_vgpr13
	s_mov_b32 s0, exec_lo
	v_cmpx_gt_u32_e32 8, v14
	s_xor_b32 s4, exec_lo, s0
	s_cbranch_execz .LBB1_45
; %bb.40:                               ;   in Loop: Header=BB1_31 Depth=1
	v_mov_b64_e32 v[12:13], 0
	s_mov_b32 s5, exec_lo
	v_cmpx_ne_u32_e32 0, v14
	s_cbranch_execz .LBB1_44
; %bb.41:                               ;   in Loop: Header=BB1_31 Depth=1
	v_mov_b64_e32 v[12:13], 0
	s_mov_b64 s[0:1], 0
	s_mov_b32 s10, 0
	s_mov_b32 s11, 0
.LBB1_42:                               ;   Parent Loop BB1_31 Depth=1
                                        ; =>  This Inner Loop Header: Depth=2
	scratch_load_u8 v8, v9, s11
	v_mov_b32_e32 v17, s7
	s_wait_xcnt 0x0
	s_add_co_i32 s11, s11, 1
	s_delay_alu instid0(SALU_CYCLE_1) | instskip(SKIP_3) | instid1(VALU_DEP_1)
	v_cmp_eq_u32_e32 vcc_lo, s11, v14
	s_or_b32 s10, vcc_lo, s10
	s_wait_loadcnt 0x0
	v_and_b32_e32 v16, 0xffff, v8
	v_lshlrev_b64_e32 v[16:17], s0, v[16:17]
	s_add_nc_u64 s[0:1], s[0:1], 8
	s_delay_alu instid0(VALU_DEP_1) | instskip(NEXT) | instid1(VALU_DEP_2)
	v_or_b32_e32 v13, v17, v13
	v_or_b32_e32 v12, v16, v12
	s_and_not1_b32 exec_lo, exec_lo, s10
	s_cbranch_execnz .LBB1_42
; %bb.43:                               ;   in Loop: Header=BB1_31 Depth=1
	s_or_b32 exec_lo, exec_lo, s10
.LBB1_44:                               ;   in Loop: Header=BB1_31 Depth=1
	s_delay_alu instid0(SALU_CYCLE_1)
	s_or_b32 exec_lo, exec_lo, s5
	v_mov_b32_e32 v8, v9
                                        ; implicit-def: $vgpr14
.LBB1_45:                               ;   in Loop: Header=BB1_31 Depth=1
	s_or_saveexec_b32 s0, s4
	v_mov_b32_e32 v16, 0
	s_xor_b32 exec_lo, exec_lo, s0
	s_cbranch_execz .LBB1_47
; %bb.46:                               ;   in Loop: Header=BB1_31 Depth=1
	scratch_load_b64 v[12:13], v9, off
	v_add_nc_u32_e32 v16, -8, v14
.LBB1_47:                               ;   in Loop: Header=BB1_31 Depth=1
	s_wait_xcnt 0x0
	s_or_b32 exec_lo, exec_lo, s0
	v_add_nc_u32_e32 v9, 8, v8
	s_mov_b32 s0, exec_lo
	v_cmpx_gt_u32_e32 8, v16
	s_xor_b32 s4, exec_lo, s0
	s_cbranch_execz .LBB1_53
; %bb.48:                               ;   in Loop: Header=BB1_31 Depth=1
	v_mov_b64_e32 v[14:15], 0
	s_mov_b32 s5, exec_lo
	v_cmpx_ne_u32_e32 0, v16
	s_cbranch_execz .LBB1_52
; %bb.49:                               ;   in Loop: Header=BB1_31 Depth=1
	v_mov_b64_e32 v[14:15], 0
	s_mov_b64 s[0:1], 0
	s_mov_b32 s10, 0
	s_mov_b32 s11, 0
.LBB1_50:                               ;   Parent Loop BB1_31 Depth=1
                                        ; =>  This Inner Loop Header: Depth=2
	scratch_load_u8 v9, v8, s11
	v_mov_b32_e32 v19, s7
	s_wait_xcnt 0x0
	s_add_co_i32 s11, s11, 1
	s_delay_alu instid0(SALU_CYCLE_1) | instskip(SKIP_3) | instid1(VALU_DEP_1)
	v_cmp_eq_u32_e32 vcc_lo, s11, v16
	s_or_b32 s10, vcc_lo, s10
	s_wait_loadcnt 0x0
	v_and_b32_e32 v18, 0xffff, v9
	v_lshlrev_b64_e32 v[18:19], s0, v[18:19]
	s_add_nc_u64 s[0:1], s[0:1], 8
	s_delay_alu instid0(VALU_DEP_1) | instskip(NEXT) | instid1(VALU_DEP_2)
	v_or_b32_e32 v15, v19, v15
	v_or_b32_e32 v14, v18, v14
	s_and_not1_b32 exec_lo, exec_lo, s10
	s_cbranch_execnz .LBB1_50
; %bb.51:                               ;   in Loop: Header=BB1_31 Depth=1
	s_or_b32 exec_lo, exec_lo, s10
.LBB1_52:                               ;   in Loop: Header=BB1_31 Depth=1
	s_delay_alu instid0(SALU_CYCLE_1)
	s_or_b32 exec_lo, exec_lo, s5
	v_mov_b32_e32 v9, v8
                                        ; implicit-def: $vgpr16
.LBB1_53:                               ;   in Loop: Header=BB1_31 Depth=1
	s_or_saveexec_b32 s0, s4
	v_mov_b32_e32 v18, 0
	s_xor_b32 exec_lo, exec_lo, s0
	s_cbranch_execz .LBB1_55
; %bb.54:                               ;   in Loop: Header=BB1_31 Depth=1
	scratch_load_b64 v[14:15], v8, off
	v_add_nc_u32_e32 v18, -8, v16
.LBB1_55:                               ;   in Loop: Header=BB1_31 Depth=1
	s_wait_xcnt 0x0
	s_or_b32 exec_lo, exec_lo, s0
	v_add_nc_u32_e32 v8, 8, v9
                                        ; implicit-def: $vgpr16_vgpr17
	s_mov_b32 s0, exec_lo
	v_cmpx_gt_u32_e32 8, v18
	s_xor_b32 s4, exec_lo, s0
	s_cbranch_execz .LBB1_61
; %bb.56:                               ;   in Loop: Header=BB1_31 Depth=1
	v_mov_b64_e32 v[16:17], 0
	s_mov_b32 s5, exec_lo
	v_cmpx_ne_u32_e32 0, v18
	s_cbranch_execz .LBB1_60
; %bb.57:                               ;   in Loop: Header=BB1_31 Depth=1
	v_mov_b64_e32 v[16:17], 0
	s_mov_b64 s[0:1], 0
	s_mov_b32 s10, 0
	s_mov_b32 s11, 0
.LBB1_58:                               ;   Parent Loop BB1_31 Depth=1
                                        ; =>  This Inner Loop Header: Depth=2
	scratch_load_u8 v8, v9, s11
	v_mov_b32_e32 v21, s7
	s_wait_xcnt 0x0
	s_add_co_i32 s11, s11, 1
	s_delay_alu instid0(SALU_CYCLE_1) | instskip(SKIP_3) | instid1(VALU_DEP_1)
	v_cmp_eq_u32_e32 vcc_lo, s11, v18
	s_or_b32 s10, vcc_lo, s10
	s_wait_loadcnt 0x0
	v_and_b32_e32 v20, 0xffff, v8
	v_lshlrev_b64_e32 v[20:21], s0, v[20:21]
	s_add_nc_u64 s[0:1], s[0:1], 8
	s_delay_alu instid0(VALU_DEP_1) | instskip(NEXT) | instid1(VALU_DEP_2)
	v_or_b32_e32 v17, v21, v17
	v_or_b32_e32 v16, v20, v16
	s_and_not1_b32 exec_lo, exec_lo, s10
	s_cbranch_execnz .LBB1_58
; %bb.59:                               ;   in Loop: Header=BB1_31 Depth=1
	s_or_b32 exec_lo, exec_lo, s10
.LBB1_60:                               ;   in Loop: Header=BB1_31 Depth=1
	s_delay_alu instid0(SALU_CYCLE_1)
	s_or_b32 exec_lo, exec_lo, s5
	v_mov_b32_e32 v8, v9
                                        ; implicit-def: $vgpr18
.LBB1_61:                               ;   in Loop: Header=BB1_31 Depth=1
	s_or_saveexec_b32 s0, s4
	v_mov_b32_e32 v20, 0
	s_xor_b32 exec_lo, exec_lo, s0
	s_cbranch_execz .LBB1_63
; %bb.62:                               ;   in Loop: Header=BB1_31 Depth=1
	scratch_load_b64 v[16:17], v9, off
	v_add_nc_u32_e32 v20, -8, v18
.LBB1_63:                               ;   in Loop: Header=BB1_31 Depth=1
	s_wait_xcnt 0x0
	s_or_b32 exec_lo, exec_lo, s0
	v_add_nc_u32_e32 v9, 8, v8
	s_mov_b32 s0, exec_lo
	v_cmpx_gt_u32_e32 8, v20
	s_xor_b32 s4, exec_lo, s0
	s_cbranch_execz .LBB1_69
; %bb.64:                               ;   in Loop: Header=BB1_31 Depth=1
	v_mov_b64_e32 v[18:19], 0
	s_mov_b32 s5, exec_lo
	v_cmpx_ne_u32_e32 0, v20
	s_cbranch_execz .LBB1_68
; %bb.65:                               ;   in Loop: Header=BB1_31 Depth=1
	v_mov_b64_e32 v[18:19], 0
	s_mov_b64 s[0:1], 0
	s_mov_b32 s10, 0
	s_mov_b32 s11, 0
.LBB1_66:                               ;   Parent Loop BB1_31 Depth=1
                                        ; =>  This Inner Loop Header: Depth=2
	scratch_load_u8 v9, v8, s11
	v_mov_b32_e32 v23, s7
	s_wait_xcnt 0x0
	s_add_co_i32 s11, s11, 1
	s_delay_alu instid0(SALU_CYCLE_1) | instskip(SKIP_3) | instid1(VALU_DEP_1)
	v_cmp_eq_u32_e32 vcc_lo, s11, v20
	s_or_b32 s10, vcc_lo, s10
	s_wait_loadcnt 0x0
	v_and_b32_e32 v22, 0xffff, v9
	v_lshlrev_b64_e32 v[22:23], s0, v[22:23]
	s_add_nc_u64 s[0:1], s[0:1], 8
	s_delay_alu instid0(VALU_DEP_1) | instskip(NEXT) | instid1(VALU_DEP_2)
	v_or_b32_e32 v19, v23, v19
	v_or_b32_e32 v18, v22, v18
	s_and_not1_b32 exec_lo, exec_lo, s10
	s_cbranch_execnz .LBB1_66
; %bb.67:                               ;   in Loop: Header=BB1_31 Depth=1
	s_or_b32 exec_lo, exec_lo, s10
.LBB1_68:                               ;   in Loop: Header=BB1_31 Depth=1
	s_delay_alu instid0(SALU_CYCLE_1)
	s_or_b32 exec_lo, exec_lo, s5
	v_mov_b32_e32 v9, v8
                                        ; implicit-def: $vgpr20
.LBB1_69:                               ;   in Loop: Header=BB1_31 Depth=1
	s_or_saveexec_b32 s0, s4
	v_mov_b32_e32 v22, 0
	s_xor_b32 exec_lo, exec_lo, s0
	s_cbranch_execz .LBB1_71
; %bb.70:                               ;   in Loop: Header=BB1_31 Depth=1
	scratch_load_b64 v[18:19], v8, off
	v_add_nc_u32_e32 v22, -8, v20
.LBB1_71:                               ;   in Loop: Header=BB1_31 Depth=1
	s_wait_xcnt 0x0
	s_or_b32 exec_lo, exec_lo, s0
	v_add_nc_u32_e32 v8, 8, v9
                                        ; implicit-def: $vgpr20_vgpr21
	s_mov_b32 s0, exec_lo
	v_cmpx_gt_u32_e32 8, v22
	s_xor_b32 s4, exec_lo, s0
	s_cbranch_execz .LBB1_77
; %bb.72:                               ;   in Loop: Header=BB1_31 Depth=1
	v_mov_b64_e32 v[20:21], 0
	s_mov_b32 s5, exec_lo
	v_cmpx_ne_u32_e32 0, v22
	s_cbranch_execz .LBB1_76
; %bb.73:                               ;   in Loop: Header=BB1_31 Depth=1
	v_mov_b64_e32 v[20:21], 0
	s_mov_b64 s[0:1], 0
	s_mov_b32 s10, 0
	s_mov_b32 s11, 0
.LBB1_74:                               ;   Parent Loop BB1_31 Depth=1
                                        ; =>  This Inner Loop Header: Depth=2
	scratch_load_u8 v8, v9, s11
	v_mov_b32_e32 v25, s7
	s_wait_xcnt 0x0
	s_add_co_i32 s11, s11, 1
	s_delay_alu instid0(SALU_CYCLE_1) | instskip(SKIP_3) | instid1(VALU_DEP_1)
	v_cmp_eq_u32_e32 vcc_lo, s11, v22
	s_or_b32 s10, vcc_lo, s10
	s_wait_loadcnt 0x0
	v_and_b32_e32 v24, 0xffff, v8
	v_lshlrev_b64_e32 v[24:25], s0, v[24:25]
	s_add_nc_u64 s[0:1], s[0:1], 8
	s_delay_alu instid0(VALU_DEP_1) | instskip(NEXT) | instid1(VALU_DEP_2)
	v_or_b32_e32 v21, v25, v21
	v_or_b32_e32 v20, v24, v20
	s_and_not1_b32 exec_lo, exec_lo, s10
	s_cbranch_execnz .LBB1_74
; %bb.75:                               ;   in Loop: Header=BB1_31 Depth=1
	s_or_b32 exec_lo, exec_lo, s10
.LBB1_76:                               ;   in Loop: Header=BB1_31 Depth=1
	s_delay_alu instid0(SALU_CYCLE_1)
	s_or_b32 exec_lo, exec_lo, s5
	v_mov_b32_e32 v8, v9
                                        ; implicit-def: $vgpr22
.LBB1_77:                               ;   in Loop: Header=BB1_31 Depth=1
	s_or_saveexec_b32 s0, s4
	v_mov_b32_e32 v24, 0
	s_xor_b32 exec_lo, exec_lo, s0
	s_cbranch_execz .LBB1_79
; %bb.78:                               ;   in Loop: Header=BB1_31 Depth=1
	scratch_load_b64 v[20:21], v9, off
	v_add_nc_u32_e32 v24, -8, v22
.LBB1_79:                               ;   in Loop: Header=BB1_31 Depth=1
	s_wait_xcnt 0x0
	s_or_b32 exec_lo, exec_lo, s0
	s_delay_alu instid0(SALU_CYCLE_1) | instskip(NEXT) | instid1(VALU_DEP_1)
	s_mov_b32 s0, exec_lo
	v_cmpx_gt_u32_e32 8, v24
	s_xor_b32 s4, exec_lo, s0
	s_cbranch_execz .LBB1_85
; %bb.80:                               ;   in Loop: Header=BB1_31 Depth=1
	v_mov_b64_e32 v[22:23], 0
	s_mov_b32 s5, exec_lo
	v_cmpx_ne_u32_e32 0, v24
	s_cbranch_execz .LBB1_84
; %bb.81:                               ;   in Loop: Header=BB1_31 Depth=1
	v_mov_b64_e32 v[22:23], 0
	s_mov_b64 s[0:1], 0
	s_mov_b32 s10, 0
.LBB1_82:                               ;   Parent Loop BB1_31 Depth=1
                                        ; =>  This Inner Loop Header: Depth=2
	scratch_load_u8 v9, v8, off
	v_dual_mov_b32 v27, s7 :: v_dual_add_nc_u32 v24, -1, v24
	s_delay_alu instid0(VALU_DEP_1) | instskip(SKIP_3) | instid1(VALU_DEP_1)
	v_cmp_eq_u32_e32 vcc_lo, 0, v24
	s_or_b32 s10, vcc_lo, s10
	s_wait_loadcnt 0x0
	v_and_b32_e32 v26, 0xffff, v9
	v_lshlrev_b64_e32 v[26:27], s0, v[26:27]
	s_wait_xcnt 0x0
	v_add_nc_u32_e32 v8, 1, v8
	s_add_nc_u64 s[0:1], s[0:1], 8
	s_delay_alu instid0(VALU_DEP_2) | instskip(NEXT) | instid1(VALU_DEP_3)
	v_or_b32_e32 v23, v27, v23
	v_or_b32_e32 v22, v26, v22
	s_and_not1_b32 exec_lo, exec_lo, s10
	s_cbranch_execnz .LBB1_82
; %bb.83:                               ;   in Loop: Header=BB1_31 Depth=1
	s_or_b32 exec_lo, exec_lo, s10
.LBB1_84:                               ;   in Loop: Header=BB1_31 Depth=1
	s_delay_alu instid0(SALU_CYCLE_1)
	s_or_b32 exec_lo, exec_lo, s5
                                        ; implicit-def: $vgpr8
.LBB1_85:                               ;   in Loop: Header=BB1_31 Depth=1
	s_and_not1_saveexec_b32 s0, s4
	s_cbranch_execz .LBB1_87
; %bb.86:                               ;   in Loop: Header=BB1_31 Depth=1
	scratch_load_b64 v[22:23], v8, off
.LBB1_87:                               ;   in Loop: Header=BB1_31 Depth=1
	s_wait_xcnt 0x0
	s_or_b32 exec_lo, exec_lo, s0
	v_readfirstlane_b32 s0, v48
	v_mov_b64_e32 v[8:9], 0
	s_delay_alu instid0(VALU_DEP_2)
	v_cmp_eq_u32_e64 s0, s0, v48
	s_and_saveexec_b32 s1, s0
	s_cbranch_execz .LBB1_93
; %bb.88:                               ;   in Loop: Header=BB1_31 Depth=1
	global_load_b64 v[26:27], v31, s[2:3] offset:24 scope:SCOPE_SYS
	s_wait_loadcnt 0x0
	global_inv scope:SCOPE_SYS
	s_clause 0x1
	global_load_b64 v[8:9], v31, s[2:3] offset:40
	global_load_b64 v[24:25], v31, s[2:3]
	s_mov_b32 s4, exec_lo
	s_wait_loadcnt 0x1
	v_and_b32_e32 v8, v8, v26
	v_and_b32_e32 v9, v9, v27
	s_delay_alu instid0(VALU_DEP_1) | instskip(SKIP_1) | instid1(VALU_DEP_1)
	v_mul_u64_e32 v[8:9], 24, v[8:9]
	s_wait_loadcnt 0x0
	v_add_nc_u64_e32 v[8:9], v[24:25], v[8:9]
	global_load_b64 v[24:25], v[8:9], off scope:SCOPE_SYS
	s_wait_xcnt 0x0
	s_wait_loadcnt 0x0
	global_atomic_cmpswap_b64 v[8:9], v31, v[24:27], s[2:3] offset:24 th:TH_ATOMIC_RETURN scope:SCOPE_SYS
	s_wait_loadcnt 0x0
	global_inv scope:SCOPE_SYS
	s_wait_xcnt 0x0
	v_cmpx_ne_u64_e64 v[8:9], v[26:27]
	s_cbranch_execz .LBB1_92
; %bb.89:                               ;   in Loop: Header=BB1_31 Depth=1
	s_mov_b32 s5, 0
.LBB1_90:                               ;   Parent Loop BB1_31 Depth=1
                                        ; =>  This Inner Loop Header: Depth=2
	s_sleep 1
	s_clause 0x1
	global_load_b64 v[24:25], v31, s[2:3] offset:40
	global_load_b64 v[36:37], v31, s[2:3]
	v_mov_b64_e32 v[26:27], v[8:9]
	s_wait_loadcnt 0x1
	s_delay_alu instid0(VALU_DEP_1) | instskip(NEXT) | instid1(VALU_DEP_2)
	v_and_b32_e32 v8, v24, v26
	v_and_b32_e32 v24, v25, v27
	s_wait_loadcnt 0x0
	s_delay_alu instid0(VALU_DEP_2) | instskip(NEXT) | instid1(VALU_DEP_1)
	v_mad_nc_u64_u32 v[8:9], v8, 24, v[36:37]
	v_mad_u32 v9, v24, 24, v9
	global_load_b64 v[24:25], v[8:9], off scope:SCOPE_SYS
	s_wait_xcnt 0x0
	s_wait_loadcnt 0x0
	global_atomic_cmpswap_b64 v[8:9], v31, v[24:27], s[2:3] offset:24 th:TH_ATOMIC_RETURN scope:SCOPE_SYS
	s_wait_loadcnt 0x0
	global_inv scope:SCOPE_SYS
	v_cmp_eq_u64_e32 vcc_lo, v[8:9], v[26:27]
	s_or_b32 s5, vcc_lo, s5
	s_wait_xcnt 0x0
	s_and_not1_b32 exec_lo, exec_lo, s5
	s_cbranch_execnz .LBB1_90
; %bb.91:                               ;   in Loop: Header=BB1_31 Depth=1
	s_or_b32 exec_lo, exec_lo, s5
.LBB1_92:                               ;   in Loop: Header=BB1_31 Depth=1
	s_delay_alu instid0(SALU_CYCLE_1)
	s_or_b32 exec_lo, exec_lo, s4
.LBB1_93:                               ;   in Loop: Header=BB1_31 Depth=1
	s_delay_alu instid0(SALU_CYCLE_1)
	s_or_b32 exec_lo, exec_lo, s1
	s_clause 0x1
	global_load_b64 v[36:37], v31, s[2:3] offset:40
	global_load_b128 v[24:27], v31, s[2:3]
	v_readfirstlane_b32 s4, v8
	v_readfirstlane_b32 s5, v9
	s_mov_b32 s1, exec_lo
	s_wait_loadcnt 0x1
	v_and_b32_e32 v38, s4, v36
	v_and_b32_e32 v39, s5, v37
	s_delay_alu instid0(VALU_DEP_1) | instskip(SKIP_1) | instid1(VALU_DEP_1)
	v_mul_u64_e32 v[8:9], 24, v[38:39]
	s_wait_loadcnt 0x0
	v_add_nc_u64_e32 v[36:37], v[24:25], v[8:9]
	s_wait_xcnt 0x0
	s_and_saveexec_b32 s10, s0
	s_cbranch_execz .LBB1_95
; %bb.94:                               ;   in Loop: Header=BB1_31 Depth=1
	v_dual_mov_b32 v8, s1 :: v_dual_mov_b32 v9, v31
	global_store_b128 v[36:37], v[8:11], off offset:8
.LBB1_95:                               ;   in Loop: Header=BB1_31 Depth=1
	s_wait_xcnt 0x0
	s_or_b32 exec_lo, exec_lo, s10
	v_cmp_gt_u64_e32 vcc_lo, 57, v[32:33]
	v_lshlrev_b64_e32 v[8:9], 12, v[38:39]
	v_and_b32_e32 v0, 0xffffff1f, v0
	v_lshl_add_u32 v39, v34, 2, 28
	v_cndmask_b32_e32 v38, 0, v28, vcc_lo
	s_delay_alu instid0(VALU_DEP_4) | instskip(NEXT) | instid1(VALU_DEP_2)
	v_add_nc_u64_e32 v[8:9], v[26:27], v[8:9]
	v_or_b32_e32 v0, v0, v38
	s_delay_alu instid0(VALU_DEP_2) | instskip(NEXT) | instid1(VALU_DEP_3)
	v_readfirstlane_b32 s10, v8
	v_readfirstlane_b32 s11, v9
	s_delay_alu instid0(VALU_DEP_3)
	v_and_or_b32 v0, 0x1e0, v39, v0
	s_clause 0x3
	global_store_b128 v30, v[0:3], s[10:11]
	global_store_b128 v30, v[12:15], s[10:11] offset:16
	global_store_b128 v30, v[16:19], s[10:11] offset:32
	;; [unrolled: 1-line block ×3, first 2 shown]
	s_wait_xcnt 0x0
	s_and_saveexec_b32 s1, s0
	s_cbranch_execz .LBB1_103
; %bb.96:                               ;   in Loop: Header=BB1_31 Depth=1
	s_clause 0x1
	global_load_b64 v[16:17], v31, s[2:3] offset:32 scope:SCOPE_SYS
	global_load_b64 v[0:1], v31, s[2:3] offset:40
	s_mov_b32 s10, exec_lo
	v_dual_mov_b32 v14, s4 :: v_dual_mov_b32 v15, s5
	s_wait_loadcnt 0x0
	v_and_b32_e32 v1, s5, v1
	v_and_b32_e32 v0, s4, v0
	s_delay_alu instid0(VALU_DEP_1) | instskip(NEXT) | instid1(VALU_DEP_1)
	v_mul_u64_e32 v[0:1], 24, v[0:1]
	v_add_nc_u64_e32 v[12:13], v[24:25], v[0:1]
	global_store_b64 v[12:13], v[16:17], off
	global_wb scope:SCOPE_SYS
	s_wait_storecnt 0x0
	s_wait_xcnt 0x0
	global_atomic_cmpswap_b64 v[2:3], v31, v[14:17], s[2:3] offset:32 th:TH_ATOMIC_RETURN scope:SCOPE_SYS
	s_wait_loadcnt 0x0
	v_cmpx_ne_u64_e64 v[2:3], v[16:17]
	s_cbranch_execz .LBB1_99
; %bb.97:                               ;   in Loop: Header=BB1_31 Depth=1
	s_mov_b32 s11, 0
.LBB1_98:                               ;   Parent Loop BB1_31 Depth=1
                                        ; =>  This Inner Loop Header: Depth=2
	v_dual_mov_b32 v0, s4 :: v_dual_mov_b32 v1, s5
	s_sleep 1
	global_store_b64 v[12:13], v[2:3], off
	global_wb scope:SCOPE_SYS
	s_wait_storecnt 0x0
	s_wait_xcnt 0x0
	global_atomic_cmpswap_b64 v[0:1], v31, v[0:3], s[2:3] offset:32 th:TH_ATOMIC_RETURN scope:SCOPE_SYS
	s_wait_loadcnt 0x0
	v_cmp_eq_u64_e32 vcc_lo, v[0:1], v[2:3]
	v_mov_b64_e32 v[2:3], v[0:1]
	s_or_b32 s11, vcc_lo, s11
	s_delay_alu instid0(SALU_CYCLE_1)
	s_and_not1_b32 exec_lo, exec_lo, s11
	s_cbranch_execnz .LBB1_98
.LBB1_99:                               ;   in Loop: Header=BB1_31 Depth=1
	s_or_b32 exec_lo, exec_lo, s10
	global_load_b64 v[0:1], v31, s[2:3] offset:16
	s_mov_b32 s11, exec_lo
	s_mov_b32 s10, exec_lo
	v_mbcnt_lo_u32_b32 v2, s11, 0
	s_wait_xcnt 0x0
	s_delay_alu instid0(VALU_DEP_1)
	v_cmpx_eq_u32_e32 0, v2
	s_cbranch_execz .LBB1_101
; %bb.100:                              ;   in Loop: Header=BB1_31 Depth=1
	s_bcnt1_i32_b32 s11, s11
	s_delay_alu instid0(SALU_CYCLE_1)
	v_dual_mov_b32 v3, v31 :: v_dual_mov_b32 v2, s11
	global_wb scope:SCOPE_SYS
	s_wait_loadcnt 0x0
	s_wait_storecnt 0x0
	global_atomic_add_u64 v[0:1], v[2:3], off offset:8 scope:SCOPE_SYS
.LBB1_101:                              ;   in Loop: Header=BB1_31 Depth=1
	s_wait_xcnt 0x0
	s_or_b32 exec_lo, exec_lo, s10
	s_wait_loadcnt 0x0
	global_load_b64 v[2:3], v[0:1], off offset:16
	s_wait_loadcnt 0x0
	v_cmp_eq_u64_e32 vcc_lo, 0, v[2:3]
	s_cbranch_vccnz .LBB1_103
; %bb.102:                              ;   in Loop: Header=BB1_31 Depth=1
	global_load_b32 v0, v[0:1], off offset:24
	s_wait_xcnt 0x0
	v_mov_b32_e32 v1, v31
	s_wait_loadcnt 0x0
	v_readfirstlane_b32 s10, v0
	global_wb scope:SCOPE_SYS
	s_wait_storecnt 0x0
	global_store_b64 v[2:3], v[0:1], off scope:SCOPE_SYS
	s_and_b32 m0, s10, 0xffffff
	s_sendmsg sendmsg(MSG_INTERRUPT)
.LBB1_103:                              ;   in Loop: Header=BB1_31 Depth=1
	s_wait_xcnt 0x0
	s_or_b32 exec_lo, exec_lo, s1
	v_add_nc_u64_e32 v[0:1], v[8:9], v[30:31]
	s_branch .LBB1_107
.LBB1_104:                              ;   in Loop: Header=BB1_107 Depth=2
	s_wait_xcnt 0x0
	s_or_b32 exec_lo, exec_lo, s1
	s_delay_alu instid0(VALU_DEP_1)
	v_readfirstlane_b32 s1, v2
	s_cmp_eq_u32 s1, 0
	s_cbranch_scc1 .LBB1_106
; %bb.105:                              ;   in Loop: Header=BB1_107 Depth=2
	s_sleep 1
	s_cbranch_execnz .LBB1_107
	s_branch .LBB1_109
.LBB1_106:                              ;   in Loop: Header=BB1_31 Depth=1
	s_branch .LBB1_109
.LBB1_107:                              ;   Parent Loop BB1_31 Depth=1
                                        ; =>  This Inner Loop Header: Depth=2
	v_mov_b32_e32 v2, 1
	s_and_saveexec_b32 s1, s0
	s_cbranch_execz .LBB1_104
; %bb.108:                              ;   in Loop: Header=BB1_107 Depth=2
	global_load_b32 v2, v[36:37], off offset:20 scope:SCOPE_SYS
	s_wait_loadcnt 0x0
	global_inv scope:SCOPE_SYS
	v_and_b32_e32 v2, 1, v2
	s_branch .LBB1_104
.LBB1_109:                              ;   in Loop: Header=BB1_31 Depth=1
	global_load_b64 v[0:1], v[0:1], off
	s_wait_xcnt 0x0
	s_and_saveexec_b32 s10, s0
	s_cbranch_execz .LBB1_30
; %bb.110:                              ;   in Loop: Header=BB1_31 Depth=1
	s_clause 0x2
	global_load_b64 v[2:3], v31, s[2:3] offset:40
	global_load_b64 v[16:17], v31, s[2:3] offset:24 scope:SCOPE_SYS
	global_load_b64 v[8:9], v31, s[2:3]
	s_wait_loadcnt 0x2
	v_readfirstlane_b32 s12, v2
	v_readfirstlane_b32 s13, v3
	s_add_nc_u64 s[0:1], s[12:13], 1
	s_delay_alu instid0(SALU_CYCLE_1) | instskip(NEXT) | instid1(SALU_CYCLE_1)
	s_add_nc_u64 s[4:5], s[0:1], s[4:5]
	s_cmp_eq_u64 s[4:5], 0
	s_cselect_b32 s1, s1, s5
	s_cselect_b32 s0, s0, s4
	s_delay_alu instid0(SALU_CYCLE_1) | instskip(SKIP_1) | instid1(SALU_CYCLE_1)
	v_dual_mov_b32 v15, s1 :: v_dual_mov_b32 v14, s0
	s_and_b64 s[4:5], s[0:1], s[12:13]
	s_mul_u64 s[4:5], s[4:5], 24
	s_wait_loadcnt 0x0
	v_add_nc_u64_e32 v[2:3], s[4:5], v[8:9]
	global_store_b64 v[2:3], v[16:17], off
	global_wb scope:SCOPE_SYS
	s_wait_storecnt 0x0
	s_wait_xcnt 0x0
	global_atomic_cmpswap_b64 v[14:15], v31, v[14:17], s[2:3] offset:24 th:TH_ATOMIC_RETURN scope:SCOPE_SYS
	s_wait_loadcnt 0x0
	v_cmp_ne_u64_e32 vcc_lo, v[14:15], v[16:17]
	s_and_b32 exec_lo, exec_lo, vcc_lo
	s_cbranch_execz .LBB1_30
; %bb.111:                              ;   in Loop: Header=BB1_31 Depth=1
	s_mov_b32 s4, 0
.LBB1_112:                              ;   Parent Loop BB1_31 Depth=1
                                        ; =>  This Inner Loop Header: Depth=2
	v_dual_mov_b32 v12, s0 :: v_dual_mov_b32 v13, s1
	s_sleep 1
	global_store_b64 v[2:3], v[14:15], off
	global_wb scope:SCOPE_SYS
	s_wait_storecnt 0x0
	s_wait_xcnt 0x0
	global_atomic_cmpswap_b64 v[8:9], v31, v[12:15], s[2:3] offset:24 th:TH_ATOMIC_RETURN scope:SCOPE_SYS
	s_wait_loadcnt 0x0
	v_cmp_eq_u64_e32 vcc_lo, v[8:9], v[14:15]
	v_mov_b64_e32 v[14:15], v[8:9]
	s_or_b32 s4, vcc_lo, s4
	s_delay_alu instid0(SALU_CYCLE_1)
	s_and_not1_b32 exec_lo, exec_lo, s4
	s_cbranch_execnz .LBB1_112
	s_branch .LBB1_30
.LBB1_113:
                                        ; implicit-def: $vgpr0_vgpr1
	s_cbranch_execnz .LBB1_193
.LBB1_114:
	s_get_pc_i64 s[4:5]
	s_add_nc_u64 s[4:5], s[4:5], .str.4@rel64+4
	s_delay_alu instid0(SALU_CYCLE_1)
	s_cmp_lg_u64 s[4:5], 0
	s_cbranch_scc0 .LBB1_221
.LBB1_115:
	v_mov_b64_e32 v[12:13], 0x100000002
	s_get_pc_i64 s[0:1]
	s_add_nc_u64 s[0:1], s[0:1], .str.4@rel64+80
	s_wait_loadcnt 0x0
	v_dual_mov_b32 v11, 0 :: v_dual_bitop2_b32 v2, 2, v0 bitop3:0x40
	v_dual_mov_b32 v7, v1 :: v_dual_bitop2_b32 v6, -3, v0 bitop3:0x40
	s_sub_co_i32 s6, s0, s4
	s_delay_alu instid0(SALU_CYCLE_1)
	s_ashr_i32 s7, s6, 31
	s_branch .LBB1_117
.LBB1_116:                              ;   in Loop: Header=BB1_117 Depth=1
	s_or_b32 exec_lo, exec_lo, s14
	s_sub_nc_u64 s[6:7], s[6:7], s[10:11]
	s_add_nc_u64 s[4:5], s[4:5], s[10:11]
	s_cmp_lg_u64 s[6:7], 0
	s_cbranch_scc0 .LBB1_215
.LBB1_117:                              ; =>This Loop Header: Depth=1
                                        ;     Child Loop BB1_120 Depth 2
                                        ;     Child Loop BB1_127 Depth 2
	;; [unrolled: 1-line block ×11, first 2 shown]
	v_min_u64 v[8:9], s[6:7], 56
	v_cmp_gt_u64_e64 s0, s[6:7], 7
	s_and_b32 vcc_lo, exec_lo, s0
	v_readfirstlane_b32 s10, v8
	v_readfirstlane_b32 s11, v9
	s_cbranch_vccnz .LBB1_122
; %bb.118:                              ;   in Loop: Header=BB1_117 Depth=1
	v_mov_b64_e32 v[8:9], 0
	s_cmp_eq_u64 s[6:7], 0
	s_cbranch_scc1 .LBB1_121
; %bb.119:                              ;   in Loop: Header=BB1_117 Depth=1
	s_mov_b64 s[0:1], 0
	s_mov_b64 s[12:13], 0
.LBB1_120:                              ;   Parent Loop BB1_117 Depth=1
                                        ; =>  This Inner Loop Header: Depth=2
	s_wait_xcnt 0x0
	s_add_nc_u64 s[14:15], s[4:5], s[12:13]
	s_add_nc_u64 s[12:13], s[12:13], 1
	global_load_u8 v3, v11, s[14:15]
	s_cmp_lg_u32 s10, s12
	s_wait_loadcnt 0x0
	v_and_b32_e32 v10, 0xffff, v3
	s_delay_alu instid0(VALU_DEP_1) | instskip(SKIP_1) | instid1(VALU_DEP_1)
	v_lshlrev_b64_e32 v[14:15], s0, v[10:11]
	s_add_nc_u64 s[0:1], s[0:1], 8
	v_or_b32_e32 v8, v14, v8
	s_delay_alu instid0(VALU_DEP_2)
	v_or_b32_e32 v9, v15, v9
	s_cbranch_scc1 .LBB1_120
.LBB1_121:                              ;   in Loop: Header=BB1_117 Depth=1
	s_mov_b64 s[12:13], s[4:5]
	s_mov_b32 s16, 0
	s_cbranch_execz .LBB1_123
	s_branch .LBB1_124
.LBB1_122:                              ;   in Loop: Header=BB1_117 Depth=1
	s_add_nc_u64 s[12:13], s[4:5], 8
	s_mov_b32 s16, 0
.LBB1_123:                              ;   in Loop: Header=BB1_117 Depth=1
	global_load_b64 v[8:9], v11, s[4:5]
	s_add_co_i32 s16, s10, -8
.LBB1_124:                              ;   in Loop: Header=BB1_117 Depth=1
	s_delay_alu instid0(SALU_CYCLE_1)
	s_cmp_gt_u32 s16, 7
	s_cbranch_scc1 .LBB1_129
; %bb.125:                              ;   in Loop: Header=BB1_117 Depth=1
	v_mov_b64_e32 v[14:15], 0
	s_cmp_eq_u32 s16, 0
	s_cbranch_scc1 .LBB1_128
; %bb.126:                              ;   in Loop: Header=BB1_117 Depth=1
	s_mov_b64 s[0:1], 0
	s_wait_xcnt 0x0
	s_mov_b64 s[14:15], 0
.LBB1_127:                              ;   Parent Loop BB1_117 Depth=1
                                        ; =>  This Inner Loop Header: Depth=2
	s_wait_xcnt 0x0
	s_add_nc_u64 s[18:19], s[12:13], s[14:15]
	s_add_nc_u64 s[14:15], s[14:15], 1
	global_load_u8 v3, v11, s[18:19]
	s_cmp_lg_u32 s16, s14
	s_wait_loadcnt 0x0
	v_and_b32_e32 v10, 0xffff, v3
	s_delay_alu instid0(VALU_DEP_1) | instskip(SKIP_1) | instid1(VALU_DEP_1)
	v_lshlrev_b64_e32 v[16:17], s0, v[10:11]
	s_add_nc_u64 s[0:1], s[0:1], 8
	v_or_b32_e32 v14, v16, v14
	s_delay_alu instid0(VALU_DEP_2)
	v_or_b32_e32 v15, v17, v15
	s_cbranch_scc1 .LBB1_127
.LBB1_128:                              ;   in Loop: Header=BB1_117 Depth=1
	s_wait_xcnt 0x0
	s_mov_b64 s[0:1], s[12:13]
	s_mov_b32 s17, 0
	s_cbranch_execz .LBB1_130
	s_branch .LBB1_131
.LBB1_129:                              ;   in Loop: Header=BB1_117 Depth=1
	s_add_nc_u64 s[0:1], s[12:13], 8
	s_wait_xcnt 0x0
                                        ; implicit-def: $vgpr14_vgpr15
	s_mov_b32 s17, 0
.LBB1_130:                              ;   in Loop: Header=BB1_117 Depth=1
	global_load_b64 v[14:15], v11, s[12:13]
	s_add_co_i32 s17, s16, -8
.LBB1_131:                              ;   in Loop: Header=BB1_117 Depth=1
	s_delay_alu instid0(SALU_CYCLE_1)
	s_cmp_gt_u32 s17, 7
	s_cbranch_scc1 .LBB1_136
; %bb.132:                              ;   in Loop: Header=BB1_117 Depth=1
	v_mov_b64_e32 v[16:17], 0
	s_cmp_eq_u32 s17, 0
	s_cbranch_scc1 .LBB1_135
; %bb.133:                              ;   in Loop: Header=BB1_117 Depth=1
	s_wait_xcnt 0x0
	s_mov_b64 s[12:13], 0
	s_mov_b64 s[14:15], 0
.LBB1_134:                              ;   Parent Loop BB1_117 Depth=1
                                        ; =>  This Inner Loop Header: Depth=2
	s_wait_xcnt 0x0
	s_add_nc_u64 s[18:19], s[0:1], s[14:15]
	s_add_nc_u64 s[14:15], s[14:15], 1
	global_load_u8 v3, v11, s[18:19]
	s_cmp_lg_u32 s17, s14
	s_wait_loadcnt 0x0
	v_and_b32_e32 v10, 0xffff, v3
	s_delay_alu instid0(VALU_DEP_1) | instskip(SKIP_1) | instid1(VALU_DEP_1)
	v_lshlrev_b64_e32 v[18:19], s12, v[10:11]
	s_add_nc_u64 s[12:13], s[12:13], 8
	v_or_b32_e32 v16, v18, v16
	s_delay_alu instid0(VALU_DEP_2)
	v_or_b32_e32 v17, v19, v17
	s_cbranch_scc1 .LBB1_134
.LBB1_135:                              ;   in Loop: Header=BB1_117 Depth=1
	s_wait_xcnt 0x0
	s_mov_b64 s[12:13], s[0:1]
	s_mov_b32 s16, 0
	s_cbranch_execz .LBB1_137
	s_branch .LBB1_138
.LBB1_136:                              ;   in Loop: Header=BB1_117 Depth=1
	s_wait_xcnt 0x0
	s_add_nc_u64 s[12:13], s[0:1], 8
	s_mov_b32 s16, 0
.LBB1_137:                              ;   in Loop: Header=BB1_117 Depth=1
	global_load_b64 v[16:17], v11, s[0:1]
	s_add_co_i32 s16, s17, -8
.LBB1_138:                              ;   in Loop: Header=BB1_117 Depth=1
	s_delay_alu instid0(SALU_CYCLE_1)
	s_cmp_gt_u32 s16, 7
	s_cbranch_scc1 .LBB1_143
; %bb.139:                              ;   in Loop: Header=BB1_117 Depth=1
	v_mov_b64_e32 v[18:19], 0
	s_cmp_eq_u32 s16, 0
	s_cbranch_scc1 .LBB1_142
; %bb.140:                              ;   in Loop: Header=BB1_117 Depth=1
	s_wait_xcnt 0x0
	s_mov_b64 s[0:1], 0
	s_mov_b64 s[14:15], 0
.LBB1_141:                              ;   Parent Loop BB1_117 Depth=1
                                        ; =>  This Inner Loop Header: Depth=2
	s_wait_xcnt 0x0
	s_add_nc_u64 s[18:19], s[12:13], s[14:15]
	s_add_nc_u64 s[14:15], s[14:15], 1
	global_load_u8 v3, v11, s[18:19]
	s_cmp_lg_u32 s16, s14
	s_wait_loadcnt 0x0
	v_and_b32_e32 v10, 0xffff, v3
	s_delay_alu instid0(VALU_DEP_1) | instskip(SKIP_1) | instid1(VALU_DEP_1)
	v_lshlrev_b64_e32 v[20:21], s0, v[10:11]
	s_add_nc_u64 s[0:1], s[0:1], 8
	v_or_b32_e32 v18, v20, v18
	s_delay_alu instid0(VALU_DEP_2)
	v_or_b32_e32 v19, v21, v19
	s_cbranch_scc1 .LBB1_141
.LBB1_142:                              ;   in Loop: Header=BB1_117 Depth=1
	s_wait_xcnt 0x0
	s_mov_b64 s[0:1], s[12:13]
	s_mov_b32 s17, 0
	s_cbranch_execz .LBB1_144
	s_branch .LBB1_145
.LBB1_143:                              ;   in Loop: Header=BB1_117 Depth=1
	s_wait_xcnt 0x0
	s_add_nc_u64 s[0:1], s[12:13], 8
                                        ; implicit-def: $vgpr18_vgpr19
	s_mov_b32 s17, 0
.LBB1_144:                              ;   in Loop: Header=BB1_117 Depth=1
	global_load_b64 v[18:19], v11, s[12:13]
	s_add_co_i32 s17, s16, -8
.LBB1_145:                              ;   in Loop: Header=BB1_117 Depth=1
	s_delay_alu instid0(SALU_CYCLE_1)
	s_cmp_gt_u32 s17, 7
	s_cbranch_scc1 .LBB1_150
; %bb.146:                              ;   in Loop: Header=BB1_117 Depth=1
	v_mov_b64_e32 v[20:21], 0
	s_cmp_eq_u32 s17, 0
	s_cbranch_scc1 .LBB1_149
; %bb.147:                              ;   in Loop: Header=BB1_117 Depth=1
	s_wait_xcnt 0x0
	s_mov_b64 s[12:13], 0
	s_mov_b64 s[14:15], 0
.LBB1_148:                              ;   Parent Loop BB1_117 Depth=1
                                        ; =>  This Inner Loop Header: Depth=2
	s_wait_xcnt 0x0
	s_add_nc_u64 s[18:19], s[0:1], s[14:15]
	s_add_nc_u64 s[14:15], s[14:15], 1
	global_load_u8 v3, v11, s[18:19]
	s_cmp_lg_u32 s17, s14
	s_wait_loadcnt 0x0
	v_and_b32_e32 v10, 0xffff, v3
	s_delay_alu instid0(VALU_DEP_1) | instskip(SKIP_1) | instid1(VALU_DEP_1)
	v_lshlrev_b64_e32 v[22:23], s12, v[10:11]
	s_add_nc_u64 s[12:13], s[12:13], 8
	v_or_b32_e32 v20, v22, v20
	s_delay_alu instid0(VALU_DEP_2)
	v_or_b32_e32 v21, v23, v21
	s_cbranch_scc1 .LBB1_148
.LBB1_149:                              ;   in Loop: Header=BB1_117 Depth=1
	s_wait_xcnt 0x0
	s_mov_b64 s[12:13], s[0:1]
	s_mov_b32 s16, 0
	s_cbranch_execz .LBB1_151
	s_branch .LBB1_152
.LBB1_150:                              ;   in Loop: Header=BB1_117 Depth=1
	s_wait_xcnt 0x0
	s_add_nc_u64 s[12:13], s[0:1], 8
	s_mov_b32 s16, 0
.LBB1_151:                              ;   in Loop: Header=BB1_117 Depth=1
	global_load_b64 v[20:21], v11, s[0:1]
	s_add_co_i32 s16, s17, -8
.LBB1_152:                              ;   in Loop: Header=BB1_117 Depth=1
	s_delay_alu instid0(SALU_CYCLE_1)
	s_cmp_gt_u32 s16, 7
	s_cbranch_scc1 .LBB1_157
; %bb.153:                              ;   in Loop: Header=BB1_117 Depth=1
	v_mov_b64_e32 v[22:23], 0
	s_cmp_eq_u32 s16, 0
	s_cbranch_scc1 .LBB1_156
; %bb.154:                              ;   in Loop: Header=BB1_117 Depth=1
	s_wait_xcnt 0x0
	s_mov_b64 s[0:1], 0
	s_mov_b64 s[14:15], 0
.LBB1_155:                              ;   Parent Loop BB1_117 Depth=1
                                        ; =>  This Inner Loop Header: Depth=2
	s_wait_xcnt 0x0
	s_add_nc_u64 s[18:19], s[12:13], s[14:15]
	s_add_nc_u64 s[14:15], s[14:15], 1
	global_load_u8 v3, v11, s[18:19]
	s_cmp_lg_u32 s16, s14
	s_wait_loadcnt 0x0
	v_and_b32_e32 v10, 0xffff, v3
	s_delay_alu instid0(VALU_DEP_1) | instskip(SKIP_1) | instid1(VALU_DEP_1)
	v_lshlrev_b64_e32 v[24:25], s0, v[10:11]
	s_add_nc_u64 s[0:1], s[0:1], 8
	v_or_b32_e32 v22, v24, v22
	s_delay_alu instid0(VALU_DEP_2)
	v_or_b32_e32 v23, v25, v23
	s_cbranch_scc1 .LBB1_155
.LBB1_156:                              ;   in Loop: Header=BB1_117 Depth=1
	s_wait_xcnt 0x0
	s_mov_b64 s[0:1], s[12:13]
	s_mov_b32 s17, 0
	s_cbranch_execz .LBB1_158
	s_branch .LBB1_159
.LBB1_157:                              ;   in Loop: Header=BB1_117 Depth=1
	s_wait_xcnt 0x0
	s_add_nc_u64 s[0:1], s[12:13], 8
                                        ; implicit-def: $vgpr22_vgpr23
	s_mov_b32 s17, 0
.LBB1_158:                              ;   in Loop: Header=BB1_117 Depth=1
	global_load_b64 v[22:23], v11, s[12:13]
	s_add_co_i32 s17, s16, -8
.LBB1_159:                              ;   in Loop: Header=BB1_117 Depth=1
	s_delay_alu instid0(SALU_CYCLE_1)
	s_cmp_gt_u32 s17, 7
	s_cbranch_scc1 .LBB1_164
; %bb.160:                              ;   in Loop: Header=BB1_117 Depth=1
	v_mov_b64_e32 v[24:25], 0
	s_cmp_eq_u32 s17, 0
	s_cbranch_scc1 .LBB1_163
; %bb.161:                              ;   in Loop: Header=BB1_117 Depth=1
	s_wait_xcnt 0x0
	s_mov_b64 s[12:13], 0
	s_mov_b64 s[14:15], s[0:1]
.LBB1_162:                              ;   Parent Loop BB1_117 Depth=1
                                        ; =>  This Inner Loop Header: Depth=2
	global_load_u8 v3, v11, s[14:15]
	s_add_co_i32 s17, s17, -1
	s_wait_xcnt 0x0
	s_add_nc_u64 s[14:15], s[14:15], 1
	s_cmp_lg_u32 s17, 0
	s_wait_loadcnt 0x0
	v_and_b32_e32 v10, 0xffff, v3
	s_delay_alu instid0(VALU_DEP_1) | instskip(SKIP_1) | instid1(VALU_DEP_1)
	v_lshlrev_b64_e32 v[26:27], s12, v[10:11]
	s_add_nc_u64 s[12:13], s[12:13], 8
	v_or_b32_e32 v24, v26, v24
	s_delay_alu instid0(VALU_DEP_2)
	v_or_b32_e32 v25, v27, v25
	s_cbranch_scc1 .LBB1_162
.LBB1_163:                              ;   in Loop: Header=BB1_117 Depth=1
	s_wait_xcnt 0x0
	s_cbranch_execz .LBB1_165
	s_branch .LBB1_166
.LBB1_164:                              ;   in Loop: Header=BB1_117 Depth=1
	s_wait_xcnt 0x0
.LBB1_165:                              ;   in Loop: Header=BB1_117 Depth=1
	global_load_b64 v[24:25], v11, s[0:1]
.LBB1_166:                              ;   in Loop: Header=BB1_117 Depth=1
	s_wait_xcnt 0x0
	v_readfirstlane_b32 s0, v48
	v_mov_b64_e32 v[32:33], 0
	s_delay_alu instid0(VALU_DEP_2)
	v_cmp_eq_u32_e64 s0, s0, v48
	s_and_saveexec_b32 s1, s0
	s_cbranch_execz .LBB1_172
; %bb.167:                              ;   in Loop: Header=BB1_117 Depth=1
	global_load_b64 v[28:29], v11, s[2:3] offset:24 scope:SCOPE_SYS
	s_wait_loadcnt 0x0
	global_inv scope:SCOPE_SYS
	s_clause 0x1
	global_load_b64 v[26:27], v11, s[2:3] offset:40
	global_load_b64 v[32:33], v11, s[2:3]
	s_mov_b32 s12, exec_lo
	s_wait_loadcnt 0x1
	v_and_b32_e32 v26, v26, v28
	v_and_b32_e32 v27, v27, v29
	s_delay_alu instid0(VALU_DEP_1) | instskip(SKIP_1) | instid1(VALU_DEP_1)
	v_mul_u64_e32 v[26:27], 24, v[26:27]
	s_wait_loadcnt 0x0
	v_add_nc_u64_e32 v[26:27], v[32:33], v[26:27]
	global_load_b64 v[26:27], v[26:27], off scope:SCOPE_SYS
	s_wait_xcnt 0x0
	s_wait_loadcnt 0x0
	global_atomic_cmpswap_b64 v[32:33], v11, v[26:29], s[2:3] offset:24 th:TH_ATOMIC_RETURN scope:SCOPE_SYS
	s_wait_loadcnt 0x0
	global_inv scope:SCOPE_SYS
	s_wait_xcnt 0x0
	v_cmpx_ne_u64_e64 v[32:33], v[28:29]
	s_cbranch_execz .LBB1_171
; %bb.168:                              ;   in Loop: Header=BB1_117 Depth=1
	s_mov_b32 s13, 0
.LBB1_169:                              ;   Parent Loop BB1_117 Depth=1
                                        ; =>  This Inner Loop Header: Depth=2
	s_sleep 1
	s_clause 0x1
	global_load_b64 v[26:27], v11, s[2:3] offset:40
	global_load_b64 v[34:35], v11, s[2:3]
	v_mov_b64_e32 v[28:29], v[32:33]
	s_wait_loadcnt 0x1
	s_delay_alu instid0(VALU_DEP_1) | instskip(SKIP_1) | instid1(VALU_DEP_1)
	v_and_b32_e32 v3, v26, v28
	s_wait_loadcnt 0x0
	v_mad_nc_u64_u32 v[32:33], v3, 24, v[34:35]
	s_delay_alu instid0(VALU_DEP_3) | instskip(NEXT) | instid1(VALU_DEP_1)
	v_and_b32_e32 v3, v27, v29
	v_mad_u32 v33, v3, 24, v33
	global_load_b64 v[26:27], v[32:33], off scope:SCOPE_SYS
	s_wait_xcnt 0x0
	s_wait_loadcnt 0x0
	global_atomic_cmpswap_b64 v[32:33], v11, v[26:29], s[2:3] offset:24 th:TH_ATOMIC_RETURN scope:SCOPE_SYS
	s_wait_loadcnt 0x0
	global_inv scope:SCOPE_SYS
	v_cmp_eq_u64_e32 vcc_lo, v[32:33], v[28:29]
	s_or_b32 s13, vcc_lo, s13
	s_wait_xcnt 0x0
	s_and_not1_b32 exec_lo, exec_lo, s13
	s_cbranch_execnz .LBB1_169
; %bb.170:                              ;   in Loop: Header=BB1_117 Depth=1
	s_or_b32 exec_lo, exec_lo, s13
.LBB1_171:                              ;   in Loop: Header=BB1_117 Depth=1
	s_delay_alu instid0(SALU_CYCLE_1)
	s_or_b32 exec_lo, exec_lo, s12
.LBB1_172:                              ;   in Loop: Header=BB1_117 Depth=1
	s_delay_alu instid0(SALU_CYCLE_1)
	s_or_b32 exec_lo, exec_lo, s1
	s_clause 0x1
	global_load_b64 v[34:35], v11, s[2:3] offset:40
	global_load_b128 v[26:29], v11, s[2:3]
	v_readfirstlane_b32 s12, v32
	v_readfirstlane_b32 s13, v33
	s_mov_b32 s1, exec_lo
	s_wait_loadcnt 0x1
	v_and_b32_e32 v34, s12, v34
	v_and_b32_e32 v35, s13, v35
	s_delay_alu instid0(VALU_DEP_1) | instskip(SKIP_1) | instid1(VALU_DEP_1)
	v_mul_u64_e32 v[32:33], 24, v[34:35]
	s_wait_loadcnt 0x0
	v_add_nc_u64_e32 v[32:33], v[26:27], v[32:33]
	s_wait_xcnt 0x0
	s_and_saveexec_b32 s14, s0
	s_cbranch_execz .LBB1_174
; %bb.173:                              ;   in Loop: Header=BB1_117 Depth=1
	v_mov_b32_e32 v10, s1
	global_store_b128 v[32:33], v[10:13], off offset:8
.LBB1_174:                              ;   in Loop: Header=BB1_117 Depth=1
	s_wait_xcnt 0x0
	s_or_b32 exec_lo, exec_lo, s14
	v_cmp_lt_u64_e64 vcc_lo, s[6:7], 57
	v_lshlrev_b64_e32 v[34:35], 12, v[34:35]
	v_and_b32_e32 v6, 0xffffff1f, v6
	s_lshl_b32 s1, s10, 2
	s_delay_alu instid0(SALU_CYCLE_1) | instskip(SKIP_1) | instid1(VALU_DEP_3)
	s_add_co_i32 s1, s1, 28
	v_cndmask_b32_e32 v3, 0, v2, vcc_lo
	v_add_nc_u64_e32 v[28:29], v[28:29], v[34:35]
	s_delay_alu instid0(VALU_DEP_2) | instskip(NEXT) | instid1(VALU_DEP_2)
	v_or_b32_e32 v3, v6, v3
	v_readfirstlane_b32 s14, v28
	s_delay_alu instid0(VALU_DEP_3) | instskip(NEXT) | instid1(VALU_DEP_3)
	v_readfirstlane_b32 s15, v29
	v_and_or_b32 v6, 0x1e0, s1, v3
	s_clause 0x3
	global_store_b128 v30, v[6:9], s[14:15]
	global_store_b128 v30, v[14:17], s[14:15] offset:16
	global_store_b128 v30, v[18:21], s[14:15] offset:32
	;; [unrolled: 1-line block ×3, first 2 shown]
	s_wait_xcnt 0x0
	s_and_saveexec_b32 s1, s0
	s_cbranch_execz .LBB1_182
; %bb.175:                              ;   in Loop: Header=BB1_117 Depth=1
	s_clause 0x1
	global_load_b64 v[18:19], v11, s[2:3] offset:32 scope:SCOPE_SYS
	global_load_b64 v[6:7], v11, s[2:3] offset:40
	s_mov_b32 s14, exec_lo
	v_dual_mov_b32 v16, s12 :: v_dual_mov_b32 v17, s13
	s_wait_loadcnt 0x0
	v_and_b32_e32 v7, s13, v7
	v_and_b32_e32 v6, s12, v6
	s_delay_alu instid0(VALU_DEP_1) | instskip(NEXT) | instid1(VALU_DEP_1)
	v_mul_u64_e32 v[6:7], 24, v[6:7]
	v_add_nc_u64_e32 v[14:15], v[26:27], v[6:7]
	global_store_b64 v[14:15], v[18:19], off
	global_wb scope:SCOPE_SYS
	s_wait_storecnt 0x0
	s_wait_xcnt 0x0
	global_atomic_cmpswap_b64 v[8:9], v11, v[16:19], s[2:3] offset:32 th:TH_ATOMIC_RETURN scope:SCOPE_SYS
	s_wait_loadcnt 0x0
	v_cmpx_ne_u64_e64 v[8:9], v[18:19]
	s_cbranch_execz .LBB1_178
; %bb.176:                              ;   in Loop: Header=BB1_117 Depth=1
	s_mov_b32 s15, 0
.LBB1_177:                              ;   Parent Loop BB1_117 Depth=1
                                        ; =>  This Inner Loop Header: Depth=2
	v_dual_mov_b32 v6, s12 :: v_dual_mov_b32 v7, s13
	s_sleep 1
	global_store_b64 v[14:15], v[8:9], off
	global_wb scope:SCOPE_SYS
	s_wait_storecnt 0x0
	s_wait_xcnt 0x0
	global_atomic_cmpswap_b64 v[6:7], v11, v[6:9], s[2:3] offset:32 th:TH_ATOMIC_RETURN scope:SCOPE_SYS
	s_wait_loadcnt 0x0
	v_cmp_eq_u64_e32 vcc_lo, v[6:7], v[8:9]
	v_mov_b64_e32 v[8:9], v[6:7]
	s_or_b32 s15, vcc_lo, s15
	s_delay_alu instid0(SALU_CYCLE_1)
	s_and_not1_b32 exec_lo, exec_lo, s15
	s_cbranch_execnz .LBB1_177
.LBB1_178:                              ;   in Loop: Header=BB1_117 Depth=1
	s_or_b32 exec_lo, exec_lo, s14
	global_load_b64 v[6:7], v11, s[2:3] offset:16
	s_mov_b32 s15, exec_lo
	s_mov_b32 s14, exec_lo
	v_mbcnt_lo_u32_b32 v3, s15, 0
	s_wait_xcnt 0x0
	s_delay_alu instid0(VALU_DEP_1)
	v_cmpx_eq_u32_e32 0, v3
	s_cbranch_execz .LBB1_180
; %bb.179:                              ;   in Loop: Header=BB1_117 Depth=1
	s_bcnt1_i32_b32 s15, s15
	s_delay_alu instid0(SALU_CYCLE_1)
	v_mov_b32_e32 v10, s15
	global_wb scope:SCOPE_SYS
	s_wait_loadcnt 0x0
	s_wait_storecnt 0x0
	global_atomic_add_u64 v[6:7], v[10:11], off offset:8 scope:SCOPE_SYS
.LBB1_180:                              ;   in Loop: Header=BB1_117 Depth=1
	s_wait_xcnt 0x0
	s_or_b32 exec_lo, exec_lo, s14
	s_wait_loadcnt 0x0
	global_load_b64 v[8:9], v[6:7], off offset:16
	s_wait_loadcnt 0x0
	v_cmp_eq_u64_e32 vcc_lo, 0, v[8:9]
	s_cbranch_vccnz .LBB1_182
; %bb.181:                              ;   in Loop: Header=BB1_117 Depth=1
	global_load_b32 v10, v[6:7], off offset:24
	s_wait_loadcnt 0x0
	v_readfirstlane_b32 s14, v10
	global_wb scope:SCOPE_SYS
	s_wait_storecnt 0x0
	s_wait_xcnt 0x0
	global_store_b64 v[8:9], v[10:11], off scope:SCOPE_SYS
	s_and_b32 m0, s14, 0xffffff
	s_sendmsg sendmsg(MSG_INTERRUPT)
.LBB1_182:                              ;   in Loop: Header=BB1_117 Depth=1
	s_wait_xcnt 0x0
	s_or_b32 exec_lo, exec_lo, s1
	v_mov_b32_e32 v31, v11
	s_delay_alu instid0(VALU_DEP_1)
	v_add_nc_u64_e32 v[6:7], v[28:29], v[30:31]
	s_branch .LBB1_186
.LBB1_183:                              ;   in Loop: Header=BB1_186 Depth=2
	s_wait_xcnt 0x0
	s_or_b32 exec_lo, exec_lo, s1
	s_delay_alu instid0(VALU_DEP_1)
	v_readfirstlane_b32 s1, v3
	s_cmp_eq_u32 s1, 0
	s_cbranch_scc1 .LBB1_185
; %bb.184:                              ;   in Loop: Header=BB1_186 Depth=2
	s_sleep 1
	s_cbranch_execnz .LBB1_186
	s_branch .LBB1_188
.LBB1_185:                              ;   in Loop: Header=BB1_117 Depth=1
	s_branch .LBB1_188
.LBB1_186:                              ;   Parent Loop BB1_117 Depth=1
                                        ; =>  This Inner Loop Header: Depth=2
	v_mov_b32_e32 v3, 1
	s_and_saveexec_b32 s1, s0
	s_cbranch_execz .LBB1_183
; %bb.187:                              ;   in Loop: Header=BB1_186 Depth=2
	global_load_b32 v3, v[32:33], off offset:20 scope:SCOPE_SYS
	s_wait_loadcnt 0x0
	global_inv scope:SCOPE_SYS
	v_and_b32_e32 v3, 1, v3
	s_branch .LBB1_183
.LBB1_188:                              ;   in Loop: Header=BB1_117 Depth=1
	global_load_b64 v[6:7], v[6:7], off
	s_wait_xcnt 0x0
	s_and_saveexec_b32 s14, s0
	s_cbranch_execz .LBB1_116
; %bb.189:                              ;   in Loop: Header=BB1_117 Depth=1
	s_clause 0x2
	global_load_b64 v[8:9], v11, s[2:3] offset:40
	global_load_b64 v[18:19], v11, s[2:3] offset:24 scope:SCOPE_SYS
	global_load_b64 v[14:15], v11, s[2:3]
	s_wait_loadcnt 0x2
	v_readfirstlane_b32 s16, v8
	v_readfirstlane_b32 s17, v9
	s_add_nc_u64 s[0:1], s[16:17], 1
	s_delay_alu instid0(SALU_CYCLE_1) | instskip(NEXT) | instid1(SALU_CYCLE_1)
	s_add_nc_u64 s[12:13], s[0:1], s[12:13]
	s_cmp_eq_u64 s[12:13], 0
	s_cselect_b32 s1, s1, s13
	s_cselect_b32 s0, s0, s12
	s_delay_alu instid0(SALU_CYCLE_1) | instskip(SKIP_1) | instid1(SALU_CYCLE_1)
	v_dual_mov_b32 v17, s1 :: v_dual_mov_b32 v16, s0
	s_and_b64 s[12:13], s[0:1], s[16:17]
	s_mul_u64 s[12:13], s[12:13], 24
	s_wait_loadcnt 0x0
	v_add_nc_u64_e32 v[8:9], s[12:13], v[14:15]
	global_store_b64 v[8:9], v[18:19], off
	global_wb scope:SCOPE_SYS
	s_wait_storecnt 0x0
	s_wait_xcnt 0x0
	global_atomic_cmpswap_b64 v[16:17], v11, v[16:19], s[2:3] offset:24 th:TH_ATOMIC_RETURN scope:SCOPE_SYS
	s_wait_loadcnt 0x0
	v_cmp_ne_u64_e32 vcc_lo, v[16:17], v[18:19]
	s_and_b32 exec_lo, exec_lo, vcc_lo
	s_cbranch_execz .LBB1_116
; %bb.190:                              ;   in Loop: Header=BB1_117 Depth=1
	s_mov_b32 s12, 0
.LBB1_191:                              ;   Parent Loop BB1_117 Depth=1
                                        ; =>  This Inner Loop Header: Depth=2
	v_dual_mov_b32 v14, s0 :: v_dual_mov_b32 v15, s1
	s_sleep 1
	global_store_b64 v[8:9], v[16:17], off
	global_wb scope:SCOPE_SYS
	s_wait_storecnt 0x0
	s_wait_xcnt 0x0
	global_atomic_cmpswap_b64 v[14:15], v11, v[14:17], s[2:3] offset:24 th:TH_ATOMIC_RETURN scope:SCOPE_SYS
	s_wait_loadcnt 0x0
	v_cmp_eq_u64_e32 vcc_lo, v[14:15], v[16:17]
	v_mov_b64_e32 v[16:17], v[14:15]
	s_or_b32 s12, vcc_lo, s12
	s_delay_alu instid0(SALU_CYCLE_1)
	s_and_not1_b32 exec_lo, exec_lo, s12
	s_cbranch_execnz .LBB1_191
	s_branch .LBB1_116
.LBB1_192:
	s_or_b32 exec_lo, exec_lo, s6
	s_branch .LBB1_114
.LBB1_193:
	v_readfirstlane_b32 s0, v48
	v_mov_b64_e32 v[8:9], 0
	s_delay_alu instid0(VALU_DEP_2)
	v_cmp_eq_u32_e64 s0, s0, v48
	s_and_saveexec_b32 s1, s0
	s_cbranch_execz .LBB1_199
; %bb.194:
	s_wait_loadcnt 0x0
	v_mov_b32_e32 v0, 0
	s_mov_b32 s4, exec_lo
	global_load_b64 v[10:11], v0, s[2:3] offset:24 scope:SCOPE_SYS
	s_wait_loadcnt 0x0
	global_inv scope:SCOPE_SYS
	s_clause 0x1
	global_load_b64 v[2:3], v0, s[2:3] offset:40
	global_load_b64 v[8:9], v0, s[2:3]
	s_wait_loadcnt 0x1
	v_and_b32_e32 v2, v2, v10
	v_and_b32_e32 v3, v3, v11
	s_delay_alu instid0(VALU_DEP_1) | instskip(SKIP_1) | instid1(VALU_DEP_1)
	v_mul_u64_e32 v[2:3], 24, v[2:3]
	s_wait_loadcnt 0x0
	v_add_nc_u64_e32 v[2:3], v[8:9], v[2:3]
	global_load_b64 v[8:9], v[2:3], off scope:SCOPE_SYS
	s_wait_xcnt 0x0
	s_wait_loadcnt 0x0
	global_atomic_cmpswap_b64 v[8:9], v0, v[8:11], s[2:3] offset:24 th:TH_ATOMIC_RETURN scope:SCOPE_SYS
	s_wait_loadcnt 0x0
	global_inv scope:SCOPE_SYS
	s_wait_xcnt 0x0
	v_cmpx_ne_u64_e64 v[8:9], v[10:11]
	s_cbranch_execz .LBB1_198
; %bb.195:
	s_mov_b32 s5, 0
.LBB1_196:                              ; =>This Inner Loop Header: Depth=1
	s_sleep 1
	s_clause 0x1
	global_load_b64 v[2:3], v0, s[2:3] offset:40
	global_load_b64 v[12:13], v0, s[2:3]
	v_mov_b64_e32 v[10:11], v[8:9]
	s_wait_loadcnt 0x1
	s_delay_alu instid0(VALU_DEP_1) | instskip(SKIP_1) | instid1(VALU_DEP_1)
	v_and_b32_e32 v1, v2, v10
	s_wait_loadcnt 0x0
	v_mad_nc_u64_u32 v[8:9], v1, 24, v[12:13]
	s_delay_alu instid0(VALU_DEP_3) | instskip(NEXT) | instid1(VALU_DEP_1)
	v_and_b32_e32 v1, v3, v11
	v_mad_u32 v9, v1, 24, v9
	global_load_b64 v[8:9], v[8:9], off scope:SCOPE_SYS
	s_wait_xcnt 0x0
	s_wait_loadcnt 0x0
	global_atomic_cmpswap_b64 v[8:9], v0, v[8:11], s[2:3] offset:24 th:TH_ATOMIC_RETURN scope:SCOPE_SYS
	s_wait_loadcnt 0x0
	global_inv scope:SCOPE_SYS
	v_cmp_eq_u64_e32 vcc_lo, v[8:9], v[10:11]
	s_or_b32 s5, vcc_lo, s5
	s_wait_xcnt 0x0
	s_and_not1_b32 exec_lo, exec_lo, s5
	s_cbranch_execnz .LBB1_196
; %bb.197:
	s_or_b32 exec_lo, exec_lo, s5
.LBB1_198:
	s_delay_alu instid0(SALU_CYCLE_1)
	s_or_b32 exec_lo, exec_lo, s4
.LBB1_199:
	s_delay_alu instid0(SALU_CYCLE_1)
	s_or_b32 exec_lo, exec_lo, s1
	v_readfirstlane_b32 s4, v8
	v_mov_b32_e32 v31, 0
	v_readfirstlane_b32 s5, v9
	s_mov_b32 s1, exec_lo
	global_load_b64 v[10:11], v31, s[2:3] offset:40
	s_wait_loadcnt 0x1
	global_load_b128 v[0:3], v31, s[2:3]
	s_wait_loadcnt 0x1
	v_and_b32_e32 v8, s4, v10
	v_and_b32_e32 v9, s5, v11
	s_delay_alu instid0(VALU_DEP_1) | instskip(SKIP_1) | instid1(VALU_DEP_1)
	v_mul_u64_e32 v[10:11], 24, v[8:9]
	s_wait_loadcnt 0x0
	v_add_nc_u64_e32 v[10:11], v[0:1], v[10:11]
	s_wait_xcnt 0x0
	s_and_saveexec_b32 s6, s0
	s_cbranch_execz .LBB1_201
; %bb.200:
	v_mov_b64_e32 v[14:15], 0x100000002
	v_dual_mov_b32 v12, s1 :: v_dual_mov_b32 v13, v31
	global_store_b128 v[10:11], v[12:15], off offset:8
.LBB1_201:
	s_wait_xcnt 0x0
	s_or_b32 exec_lo, exec_lo, s6
	v_lshlrev_b64_e32 v[8:9], 12, v[8:9]
	s_mov_b32 s12, 0
	v_and_or_b32 v6, 0xffffff1f, v6, 32
	s_mov_b32 s14, s12
	s_mov_b32 s15, s12
	;; [unrolled: 1-line block ×3, first 2 shown]
	v_mov_b64_e32 v[16:17], s[14:15]
	v_add_nc_u64_e32 v[12:13], v[2:3], v[8:9]
	v_mov_b64_e32 v[14:15], s[12:13]
	v_dual_mov_b32 v8, v31 :: v_dual_mov_b32 v9, v31
	s_delay_alu instid0(VALU_DEP_3) | instskip(NEXT) | instid1(VALU_DEP_4)
	v_readfirstlane_b32 s6, v12
	v_readfirstlane_b32 s7, v13
	s_clause 0x3
	global_store_b128 v30, v[6:9], s[6:7]
	global_store_b128 v30, v[14:17], s[6:7] offset:16
	global_store_b128 v30, v[14:17], s[6:7] offset:32
	;; [unrolled: 1-line block ×3, first 2 shown]
	s_wait_xcnt 0x0
	s_and_saveexec_b32 s1, s0
	s_cbranch_execz .LBB1_209
; %bb.202:
	v_dual_mov_b32 v8, 0 :: v_dual_mov_b32 v15, s5
	s_mov_b32 s6, exec_lo
	s_clause 0x1
	global_load_b64 v[16:17], v8, s[2:3] offset:32 scope:SCOPE_SYS
	global_load_b64 v[2:3], v8, s[2:3] offset:40
	s_wait_loadcnt 0x0
	v_dual_mov_b32 v14, s4 :: v_dual_bitop2_b32 v3, s5, v3 bitop3:0x40
	v_and_b32_e32 v2, s4, v2
	s_delay_alu instid0(VALU_DEP_1) | instskip(NEXT) | instid1(VALU_DEP_1)
	v_mul_u64_e32 v[2:3], 24, v[2:3]
	v_add_nc_u64_e32 v[6:7], v[0:1], v[2:3]
	global_store_b64 v[6:7], v[16:17], off
	global_wb scope:SCOPE_SYS
	s_wait_storecnt 0x0
	s_wait_xcnt 0x0
	global_atomic_cmpswap_b64 v[2:3], v8, v[14:17], s[2:3] offset:32 th:TH_ATOMIC_RETURN scope:SCOPE_SYS
	s_wait_loadcnt 0x0
	v_cmpx_ne_u64_e64 v[2:3], v[16:17]
	s_cbranch_execz .LBB1_205
; %bb.203:
	s_mov_b32 s7, 0
.LBB1_204:                              ; =>This Inner Loop Header: Depth=1
	v_dual_mov_b32 v0, s4 :: v_dual_mov_b32 v1, s5
	s_sleep 1
	global_store_b64 v[6:7], v[2:3], off
	global_wb scope:SCOPE_SYS
	s_wait_storecnt 0x0
	s_wait_xcnt 0x0
	global_atomic_cmpswap_b64 v[0:1], v8, v[0:3], s[2:3] offset:32 th:TH_ATOMIC_RETURN scope:SCOPE_SYS
	s_wait_loadcnt 0x0
	v_cmp_eq_u64_e32 vcc_lo, v[0:1], v[2:3]
	v_mov_b64_e32 v[2:3], v[0:1]
	s_or_b32 s7, vcc_lo, s7
	s_delay_alu instid0(SALU_CYCLE_1)
	s_and_not1_b32 exec_lo, exec_lo, s7
	s_cbranch_execnz .LBB1_204
.LBB1_205:
	s_or_b32 exec_lo, exec_lo, s6
	v_mov_b32_e32 v3, 0
	s_mov_b32 s7, exec_lo
	s_mov_b32 s6, exec_lo
	v_mbcnt_lo_u32_b32 v2, s7, 0
	global_load_b64 v[0:1], v3, s[2:3] offset:16
	s_wait_xcnt 0x0
	v_cmpx_eq_u32_e32 0, v2
	s_cbranch_execz .LBB1_207
; %bb.206:
	s_bcnt1_i32_b32 s7, s7
	s_delay_alu instid0(SALU_CYCLE_1)
	v_mov_b32_e32 v2, s7
	global_wb scope:SCOPE_SYS
	s_wait_loadcnt 0x0
	s_wait_storecnt 0x0
	global_atomic_add_u64 v[0:1], v[2:3], off offset:8 scope:SCOPE_SYS
.LBB1_207:
	s_wait_xcnt 0x0
	s_or_b32 exec_lo, exec_lo, s6
	s_wait_loadcnt 0x0
	global_load_b64 v[2:3], v[0:1], off offset:16
	s_wait_loadcnt 0x0
	v_cmp_eq_u64_e32 vcc_lo, 0, v[2:3]
	s_cbranch_vccnz .LBB1_209
; %bb.208:
	global_load_b32 v0, v[0:1], off offset:24
	s_wait_xcnt 0x0
	v_mov_b32_e32 v1, 0
	s_wait_loadcnt 0x0
	v_readfirstlane_b32 s6, v0
	global_wb scope:SCOPE_SYS
	s_wait_storecnt 0x0
	global_store_b64 v[2:3], v[0:1], off scope:SCOPE_SYS
	s_and_b32 m0, s6, 0xffffff
	s_sendmsg sendmsg(MSG_INTERRUPT)
.LBB1_209:
	s_wait_xcnt 0x0
	s_or_b32 exec_lo, exec_lo, s1
	v_add_nc_u64_e32 v[0:1], v[12:13], v[30:31]
	s_branch .LBB1_213
.LBB1_210:                              ;   in Loop: Header=BB1_213 Depth=1
	s_wait_xcnt 0x0
	s_or_b32 exec_lo, exec_lo, s1
	s_delay_alu instid0(VALU_DEP_1)
	v_readfirstlane_b32 s1, v2
	s_cmp_eq_u32 s1, 0
	s_cbranch_scc1 .LBB1_212
; %bb.211:                              ;   in Loop: Header=BB1_213 Depth=1
	s_sleep 1
	s_cbranch_execnz .LBB1_213
	s_branch .LBB1_216
.LBB1_212:
	s_branch .LBB1_216
.LBB1_213:                              ; =>This Inner Loop Header: Depth=1
	v_mov_b32_e32 v2, 1
	s_and_saveexec_b32 s1, s0
	s_cbranch_execz .LBB1_210
; %bb.214:                              ;   in Loop: Header=BB1_213 Depth=1
	global_load_b32 v2, v[10:11], off offset:20 scope:SCOPE_SYS
	s_wait_loadcnt 0x0
	global_inv scope:SCOPE_SYS
	v_and_b32_e32 v2, 1, v2
	s_branch .LBB1_210
.LBB1_215:
	s_branch .LBB1_249
.LBB1_216:
	global_load_b64 v[0:1], v[0:1], off
	s_wait_xcnt 0x0
	s_and_saveexec_b32 s6, s0
	s_cbranch_execz .LBB1_220
; %bb.217:
	v_mov_b32_e32 v10, 0
	s_clause 0x2
	global_load_b64 v[2:3], v10, s[2:3] offset:40
	global_load_b64 v[14:15], v10, s[2:3] offset:24 scope:SCOPE_SYS
	global_load_b64 v[6:7], v10, s[2:3]
	s_wait_loadcnt 0x2
	v_readfirstlane_b32 s10, v2
	v_readfirstlane_b32 s11, v3
	s_add_nc_u64 s[0:1], s[10:11], 1
	s_delay_alu instid0(SALU_CYCLE_1) | instskip(NEXT) | instid1(SALU_CYCLE_1)
	s_add_nc_u64 s[4:5], s[0:1], s[4:5]
	s_cmp_eq_u64 s[4:5], 0
	s_cselect_b32 s1, s1, s5
	s_cselect_b32 s0, s0, s4
	v_mov_b32_e32 v13, s1
	s_and_b64 s[4:5], s[0:1], s[10:11]
	v_mov_b32_e32 v12, s0
	s_mul_u64 s[4:5], s[4:5], 24
	s_wait_loadcnt 0x0
	v_add_nc_u64_e32 v[2:3], s[4:5], v[6:7]
	global_store_b64 v[2:3], v[14:15], off
	global_wb scope:SCOPE_SYS
	s_wait_storecnt 0x0
	s_wait_xcnt 0x0
	global_atomic_cmpswap_b64 v[8:9], v10, v[12:15], s[2:3] offset:24 th:TH_ATOMIC_RETURN scope:SCOPE_SYS
	s_wait_loadcnt 0x0
	v_cmp_ne_u64_e32 vcc_lo, v[8:9], v[14:15]
	s_and_b32 exec_lo, exec_lo, vcc_lo
	s_cbranch_execz .LBB1_220
; %bb.218:
	s_mov_b32 s4, 0
.LBB1_219:                              ; =>This Inner Loop Header: Depth=1
	v_dual_mov_b32 v6, s0 :: v_dual_mov_b32 v7, s1
	s_sleep 1
	global_store_b64 v[2:3], v[8:9], off
	global_wb scope:SCOPE_SYS
	s_wait_storecnt 0x0
	s_wait_xcnt 0x0
	global_atomic_cmpswap_b64 v[6:7], v10, v[6:9], s[2:3] offset:24 th:TH_ATOMIC_RETURN scope:SCOPE_SYS
	s_wait_loadcnt 0x0
	v_cmp_eq_u64_e32 vcc_lo, v[6:7], v[8:9]
	v_mov_b64_e32 v[8:9], v[6:7]
	s_or_b32 s4, vcc_lo, s4
	s_delay_alu instid0(SALU_CYCLE_1)
	s_and_not1_b32 exec_lo, exec_lo, s4
	s_cbranch_execnz .LBB1_219
.LBB1_220:
	s_or_b32 exec_lo, exec_lo, s6
	s_get_pc_i64 s[4:5]
	s_add_nc_u64 s[4:5], s[4:5], .str.4@rel64+4
	s_delay_alu instid0(SALU_CYCLE_1)
	s_cmp_lg_u64 s[4:5], 0
	s_cbranch_scc1 .LBB1_115
.LBB1_221:
                                        ; implicit-def: $vgpr6_vgpr7
	s_cbranch_execz .LBB1_249
; %bb.222:
	v_readfirstlane_b32 s0, v48
	v_mov_b64_e32 v[2:3], 0
	s_delay_alu instid0(VALU_DEP_2)
	v_cmp_eq_u32_e64 s0, s0, v48
	s_and_saveexec_b32 s1, s0
	s_cbranch_execz .LBB1_228
; %bb.223:
	s_wait_loadcnt 0x0
	v_mov_b32_e32 v6, 0
	s_mov_b32 s4, exec_lo
	global_load_b64 v[10:11], v6, s[2:3] offset:24 scope:SCOPE_SYS
	s_wait_loadcnt 0x0
	global_inv scope:SCOPE_SYS
	s_clause 0x1
	global_load_b64 v[2:3], v6, s[2:3] offset:40
	global_load_b64 v[8:9], v6, s[2:3]
	s_wait_loadcnt 0x1
	v_and_b32_e32 v2, v2, v10
	v_and_b32_e32 v3, v3, v11
	s_delay_alu instid0(VALU_DEP_1) | instskip(SKIP_1) | instid1(VALU_DEP_1)
	v_mul_u64_e32 v[2:3], 24, v[2:3]
	s_wait_loadcnt 0x0
	v_add_nc_u64_e32 v[2:3], v[8:9], v[2:3]
	global_load_b64 v[8:9], v[2:3], off scope:SCOPE_SYS
	s_wait_xcnt 0x0
	s_wait_loadcnt 0x0
	global_atomic_cmpswap_b64 v[2:3], v6, v[8:11], s[2:3] offset:24 th:TH_ATOMIC_RETURN scope:SCOPE_SYS
	s_wait_loadcnt 0x0
	global_inv scope:SCOPE_SYS
	s_wait_xcnt 0x0
	v_cmpx_ne_u64_e64 v[2:3], v[10:11]
	s_cbranch_execz .LBB1_227
; %bb.224:
	s_mov_b32 s5, 0
.LBB1_225:                              ; =>This Inner Loop Header: Depth=1
	s_sleep 1
	s_clause 0x1
	global_load_b64 v[8:9], v6, s[2:3] offset:40
	global_load_b64 v[12:13], v6, s[2:3]
	v_mov_b64_e32 v[10:11], v[2:3]
	s_wait_loadcnt 0x1
	s_delay_alu instid0(VALU_DEP_1) | instskip(NEXT) | instid1(VALU_DEP_2)
	v_and_b32_e32 v2, v8, v10
	v_and_b32_e32 v7, v9, v11
	s_wait_loadcnt 0x0
	s_delay_alu instid0(VALU_DEP_2) | instskip(NEXT) | instid1(VALU_DEP_1)
	v_mad_nc_u64_u32 v[2:3], v2, 24, v[12:13]
	v_mad_u32 v3, v7, 24, v3
	global_load_b64 v[8:9], v[2:3], off scope:SCOPE_SYS
	s_wait_xcnt 0x0
	s_wait_loadcnt 0x0
	global_atomic_cmpswap_b64 v[2:3], v6, v[8:11], s[2:3] offset:24 th:TH_ATOMIC_RETURN scope:SCOPE_SYS
	s_wait_loadcnt 0x0
	global_inv scope:SCOPE_SYS
	v_cmp_eq_u64_e32 vcc_lo, v[2:3], v[10:11]
	s_or_b32 s5, vcc_lo, s5
	s_wait_xcnt 0x0
	s_and_not1_b32 exec_lo, exec_lo, s5
	s_cbranch_execnz .LBB1_225
; %bb.226:
	s_or_b32 exec_lo, exec_lo, s5
.LBB1_227:
	s_delay_alu instid0(SALU_CYCLE_1)
	s_or_b32 exec_lo, exec_lo, s4
.LBB1_228:
	s_delay_alu instid0(SALU_CYCLE_1)
	s_or_b32 exec_lo, exec_lo, s1
	v_readfirstlane_b32 s4, v2
	v_mov_b32_e32 v31, 0
	v_readfirstlane_b32 s5, v3
	s_mov_b32 s1, exec_lo
	global_load_b64 v[10:11], v31, s[2:3] offset:40
	s_wait_loadcnt 0x1
	global_load_b128 v[6:9], v31, s[2:3]
	s_wait_loadcnt 0x1
	v_and_b32_e32 v2, s4, v10
	v_and_b32_e32 v3, s5, v11
	s_delay_alu instid0(VALU_DEP_1) | instskip(SKIP_1) | instid1(VALU_DEP_1)
	v_mul_u64_e32 v[10:11], 24, v[2:3]
	s_wait_loadcnt 0x0
	v_add_nc_u64_e32 v[10:11], v[6:7], v[10:11]
	s_wait_xcnt 0x0
	s_and_saveexec_b32 s6, s0
	s_cbranch_execz .LBB1_230
; %bb.229:
	v_mov_b64_e32 v[14:15], 0x100000002
	v_dual_mov_b32 v12, s1 :: v_dual_mov_b32 v13, v31
	global_store_b128 v[10:11], v[12:15], off offset:8
.LBB1_230:
	s_wait_xcnt 0x0
	s_or_b32 exec_lo, exec_lo, s6
	v_lshlrev_b64_e32 v[2:3], 12, v[2:3]
	s_mov_b32 s12, 0
	v_and_or_b32 v0, 0xffffff1f, v0, 32
	s_mov_b32 s13, s12
	s_mov_b32 s14, s12
	;; [unrolled: 1-line block ×3, first 2 shown]
	v_mov_b64_e32 v[12:13], s[12:13]
	v_add_nc_u64_e32 v[8:9], v[8:9], v[2:3]
	v_mov_b64_e32 v[14:15], s[14:15]
	v_dual_mov_b32 v2, v31 :: v_dual_mov_b32 v3, v31
	s_delay_alu instid0(VALU_DEP_3) | instskip(NEXT) | instid1(VALU_DEP_4)
	v_readfirstlane_b32 s6, v8
	v_readfirstlane_b32 s7, v9
	s_clause 0x3
	global_store_b128 v30, v[0:3], s[6:7]
	global_store_b128 v30, v[12:15], s[6:7] offset:16
	global_store_b128 v30, v[12:15], s[6:7] offset:32
	;; [unrolled: 1-line block ×3, first 2 shown]
	s_wait_xcnt 0x0
	s_and_saveexec_b32 s1, s0
	s_cbranch_execz .LBB1_238
; %bb.231:
	v_dual_mov_b32 v12, 0 :: v_dual_mov_b32 v15, s5
	s_mov_b32 s6, exec_lo
	s_clause 0x1
	global_load_b64 v[16:17], v12, s[2:3] offset:32 scope:SCOPE_SYS
	global_load_b64 v[0:1], v12, s[2:3] offset:40
	s_wait_loadcnt 0x0
	v_dual_mov_b32 v14, s4 :: v_dual_bitop2_b32 v1, s5, v1 bitop3:0x40
	v_and_b32_e32 v0, s4, v0
	s_delay_alu instid0(VALU_DEP_1) | instskip(NEXT) | instid1(VALU_DEP_1)
	v_mul_u64_e32 v[0:1], 24, v[0:1]
	v_add_nc_u64_e32 v[6:7], v[6:7], v[0:1]
	global_store_b64 v[6:7], v[16:17], off
	global_wb scope:SCOPE_SYS
	s_wait_storecnt 0x0
	s_wait_xcnt 0x0
	global_atomic_cmpswap_b64 v[2:3], v12, v[14:17], s[2:3] offset:32 th:TH_ATOMIC_RETURN scope:SCOPE_SYS
	s_wait_loadcnt 0x0
	v_cmpx_ne_u64_e64 v[2:3], v[16:17]
	s_cbranch_execz .LBB1_234
; %bb.232:
	s_mov_b32 s7, 0
.LBB1_233:                              ; =>This Inner Loop Header: Depth=1
	v_dual_mov_b32 v0, s4 :: v_dual_mov_b32 v1, s5
	s_sleep 1
	global_store_b64 v[6:7], v[2:3], off
	global_wb scope:SCOPE_SYS
	s_wait_storecnt 0x0
	s_wait_xcnt 0x0
	global_atomic_cmpswap_b64 v[0:1], v12, v[0:3], s[2:3] offset:32 th:TH_ATOMIC_RETURN scope:SCOPE_SYS
	s_wait_loadcnt 0x0
	v_cmp_eq_u64_e32 vcc_lo, v[0:1], v[2:3]
	v_mov_b64_e32 v[2:3], v[0:1]
	s_or_b32 s7, vcc_lo, s7
	s_delay_alu instid0(SALU_CYCLE_1)
	s_and_not1_b32 exec_lo, exec_lo, s7
	s_cbranch_execnz .LBB1_233
.LBB1_234:
	s_or_b32 exec_lo, exec_lo, s6
	v_mov_b32_e32 v3, 0
	s_mov_b32 s7, exec_lo
	s_mov_b32 s6, exec_lo
	v_mbcnt_lo_u32_b32 v2, s7, 0
	global_load_b64 v[0:1], v3, s[2:3] offset:16
	s_wait_xcnt 0x0
	v_cmpx_eq_u32_e32 0, v2
	s_cbranch_execz .LBB1_236
; %bb.235:
	s_bcnt1_i32_b32 s7, s7
	s_delay_alu instid0(SALU_CYCLE_1)
	v_mov_b32_e32 v2, s7
	global_wb scope:SCOPE_SYS
	s_wait_loadcnt 0x0
	s_wait_storecnt 0x0
	global_atomic_add_u64 v[0:1], v[2:3], off offset:8 scope:SCOPE_SYS
.LBB1_236:
	s_wait_xcnt 0x0
	s_or_b32 exec_lo, exec_lo, s6
	s_wait_loadcnt 0x0
	global_load_b64 v[2:3], v[0:1], off offset:16
	s_wait_loadcnt 0x0
	v_cmp_eq_u64_e32 vcc_lo, 0, v[2:3]
	s_cbranch_vccnz .LBB1_238
; %bb.237:
	global_load_b32 v0, v[0:1], off offset:24
	s_wait_xcnt 0x0
	v_mov_b32_e32 v1, 0
	s_wait_loadcnt 0x0
	v_readfirstlane_b32 s6, v0
	global_wb scope:SCOPE_SYS
	s_wait_storecnt 0x0
	global_store_b64 v[2:3], v[0:1], off scope:SCOPE_SYS
	s_and_b32 m0, s6, 0xffffff
	s_sendmsg sendmsg(MSG_INTERRUPT)
.LBB1_238:
	s_wait_xcnt 0x0
	s_or_b32 exec_lo, exec_lo, s1
	v_add_nc_u64_e32 v[0:1], v[8:9], v[30:31]
	s_branch .LBB1_242
.LBB1_239:                              ;   in Loop: Header=BB1_242 Depth=1
	s_wait_xcnt 0x0
	s_or_b32 exec_lo, exec_lo, s1
	s_delay_alu instid0(VALU_DEP_1)
	v_readfirstlane_b32 s1, v2
	s_cmp_eq_u32 s1, 0
	s_cbranch_scc1 .LBB1_241
; %bb.240:                              ;   in Loop: Header=BB1_242 Depth=1
	s_sleep 1
	s_cbranch_execnz .LBB1_242
	s_branch .LBB1_244
.LBB1_241:
	s_branch .LBB1_244
.LBB1_242:                              ; =>This Inner Loop Header: Depth=1
	v_mov_b32_e32 v2, 1
	s_and_saveexec_b32 s1, s0
	s_cbranch_execz .LBB1_239
; %bb.243:                              ;   in Loop: Header=BB1_242 Depth=1
	global_load_b32 v2, v[10:11], off offset:20 scope:SCOPE_SYS
	s_wait_loadcnt 0x0
	global_inv scope:SCOPE_SYS
	v_and_b32_e32 v2, 1, v2
	s_branch .LBB1_239
.LBB1_244:
	global_load_b64 v[6:7], v[0:1], off
	s_wait_xcnt 0x0
	s_and_saveexec_b32 s6, s0
	s_cbranch_execz .LBB1_248
; %bb.245:
	v_mov_b32_e32 v10, 0
	s_clause 0x2
	global_load_b64 v[0:1], v10, s[2:3] offset:40
	global_load_b64 v[14:15], v10, s[2:3] offset:24 scope:SCOPE_SYS
	global_load_b64 v[2:3], v10, s[2:3]
	s_wait_loadcnt 0x2
	v_readfirstlane_b32 s10, v0
	v_readfirstlane_b32 s11, v1
	s_add_nc_u64 s[0:1], s[10:11], 1
	s_delay_alu instid0(SALU_CYCLE_1) | instskip(NEXT) | instid1(SALU_CYCLE_1)
	s_add_nc_u64 s[4:5], s[0:1], s[4:5]
	s_cmp_eq_u64 s[4:5], 0
	s_cselect_b32 s1, s1, s5
	s_cselect_b32 s0, s0, s4
	v_mov_b32_e32 v13, s1
	s_and_b64 s[4:5], s[0:1], s[10:11]
	v_mov_b32_e32 v12, s0
	s_mul_u64 s[4:5], s[4:5], 24
	s_wait_loadcnt 0x0
	v_add_nc_u64_e32 v[8:9], s[4:5], v[2:3]
	global_store_b64 v[8:9], v[14:15], off
	global_wb scope:SCOPE_SYS
	s_wait_storecnt 0x0
	s_wait_xcnt 0x0
	global_atomic_cmpswap_b64 v[2:3], v10, v[12:15], s[2:3] offset:24 th:TH_ATOMIC_RETURN scope:SCOPE_SYS
	s_wait_loadcnt 0x0
	v_cmp_ne_u64_e32 vcc_lo, v[2:3], v[14:15]
	s_and_b32 exec_lo, exec_lo, vcc_lo
	s_cbranch_execz .LBB1_248
; %bb.246:
	s_mov_b32 s4, 0
.LBB1_247:                              ; =>This Inner Loop Header: Depth=1
	v_dual_mov_b32 v0, s0 :: v_dual_mov_b32 v1, s1
	s_sleep 1
	global_store_b64 v[8:9], v[2:3], off
	global_wb scope:SCOPE_SYS
	s_wait_storecnt 0x0
	s_wait_xcnt 0x0
	global_atomic_cmpswap_b64 v[0:1], v10, v[0:3], s[2:3] offset:24 th:TH_ATOMIC_RETURN scope:SCOPE_SYS
	s_wait_loadcnt 0x0
	v_cmp_eq_u64_e32 vcc_lo, v[0:1], v[2:3]
	v_mov_b64_e32 v[2:3], v[0:1]
	s_or_b32 s4, vcc_lo, s4
	s_delay_alu instid0(SALU_CYCLE_1)
	s_and_not1_b32 exec_lo, exec_lo, s4
	s_cbranch_execnz .LBB1_247
.LBB1_248:
	s_or_b32 exec_lo, exec_lo, s6
.LBB1_249:
	v_readfirstlane_b32 s0, v48
	v_mov_b64_e32 v[8:9], 0
	s_delay_alu instid0(VALU_DEP_2)
	v_cmp_eq_u32_e64 s0, s0, v48
	s_and_saveexec_b32 s1, s0
	s_cbranch_execz .LBB1_255
; %bb.250:
	s_wait_loadcnt 0x0
	v_mov_b32_e32 v0, 0
	s_mov_b32 s4, exec_lo
	global_load_b64 v[10:11], v0, s[2:3] offset:24 scope:SCOPE_SYS
	s_wait_loadcnt 0x0
	global_inv scope:SCOPE_SYS
	s_clause 0x1
	global_load_b64 v[2:3], v0, s[2:3] offset:40
	global_load_b64 v[8:9], v0, s[2:3]
	s_wait_loadcnt 0x1
	v_and_b32_e32 v2, v2, v10
	v_and_b32_e32 v3, v3, v11
	s_delay_alu instid0(VALU_DEP_1) | instskip(SKIP_1) | instid1(VALU_DEP_1)
	v_mul_u64_e32 v[2:3], 24, v[2:3]
	s_wait_loadcnt 0x0
	v_add_nc_u64_e32 v[2:3], v[8:9], v[2:3]
	global_load_b64 v[8:9], v[2:3], off scope:SCOPE_SYS
	s_wait_xcnt 0x0
	s_wait_loadcnt 0x0
	global_atomic_cmpswap_b64 v[8:9], v0, v[8:11], s[2:3] offset:24 th:TH_ATOMIC_RETURN scope:SCOPE_SYS
	s_wait_loadcnt 0x0
	global_inv scope:SCOPE_SYS
	s_wait_xcnt 0x0
	v_cmpx_ne_u64_e64 v[8:9], v[10:11]
	s_cbranch_execz .LBB1_254
; %bb.251:
	s_mov_b32 s5, 0
.LBB1_252:                              ; =>This Inner Loop Header: Depth=1
	s_sleep 1
	s_clause 0x1
	global_load_b64 v[2:3], v0, s[2:3] offset:40
	global_load_b64 v[12:13], v0, s[2:3]
	v_mov_b64_e32 v[10:11], v[8:9]
	s_wait_loadcnt 0x1
	s_delay_alu instid0(VALU_DEP_1) | instskip(SKIP_1) | instid1(VALU_DEP_1)
	v_and_b32_e32 v1, v2, v10
	s_wait_loadcnt 0x0
	v_mad_nc_u64_u32 v[8:9], v1, 24, v[12:13]
	s_delay_alu instid0(VALU_DEP_3) | instskip(NEXT) | instid1(VALU_DEP_1)
	v_and_b32_e32 v1, v3, v11
	v_mad_u32 v9, v1, 24, v9
	global_load_b64 v[8:9], v[8:9], off scope:SCOPE_SYS
	s_wait_xcnt 0x0
	s_wait_loadcnt 0x0
	global_atomic_cmpswap_b64 v[8:9], v0, v[8:11], s[2:3] offset:24 th:TH_ATOMIC_RETURN scope:SCOPE_SYS
	s_wait_loadcnt 0x0
	global_inv scope:SCOPE_SYS
	v_cmp_eq_u64_e32 vcc_lo, v[8:9], v[10:11]
	s_or_b32 s5, vcc_lo, s5
	s_wait_xcnt 0x0
	s_and_not1_b32 exec_lo, exec_lo, s5
	s_cbranch_execnz .LBB1_252
; %bb.253:
	s_or_b32 exec_lo, exec_lo, s5
.LBB1_254:
	s_delay_alu instid0(SALU_CYCLE_1)
	s_or_b32 exec_lo, exec_lo, s4
.LBB1_255:
	s_delay_alu instid0(SALU_CYCLE_1)
	s_or_b32 exec_lo, exec_lo, s1
	v_readfirstlane_b32 s4, v8
	v_mov_b32_e32 v31, 0
	v_readfirstlane_b32 s5, v9
	s_mov_b32 s1, exec_lo
	global_load_b64 v[10:11], v31, s[2:3] offset:40
	s_wait_loadcnt 0x1
	global_load_b128 v[0:3], v31, s[2:3]
	s_wait_loadcnt 0x1
	v_and_b32_e32 v8, s4, v10
	v_and_b32_e32 v9, s5, v11
	s_delay_alu instid0(VALU_DEP_1) | instskip(SKIP_1) | instid1(VALU_DEP_1)
	v_mul_u64_e32 v[10:11], 24, v[8:9]
	s_wait_loadcnt 0x0
	v_add_nc_u64_e32 v[10:11], v[0:1], v[10:11]
	s_wait_xcnt 0x0
	s_and_saveexec_b32 s6, s0
	s_cbranch_execz .LBB1_257
; %bb.256:
	v_mov_b64_e32 v[14:15], 0x100000002
	v_dual_mov_b32 v12, s1 :: v_dual_mov_b32 v13, v31
	global_store_b128 v[10:11], v[12:15], off offset:8
.LBB1_257:
	s_wait_xcnt 0x0
	s_or_b32 exec_lo, exec_lo, s6
	v_lshlrev_b64_e32 v[8:9], 12, v[8:9]
	s_mov_b32 s12, 0
	v_and_or_b32 v6, 0xffffff1f, v6, 32
	s_mov_b32 s14, s12
	s_mov_b32 s15, s12
	s_mov_b32 s13, s12
	v_mov_b64_e32 v[16:17], s[14:15]
	v_add_nc_u64_e32 v[12:13], v[2:3], v[8:9]
	v_mov_b64_e32 v[14:15], s[12:13]
	v_dual_mov_b32 v8, 0x331 :: v_dual_mov_b32 v9, v31
	s_delay_alu instid0(VALU_DEP_3) | instskip(NEXT) | instid1(VALU_DEP_4)
	v_readfirstlane_b32 s6, v12
	v_readfirstlane_b32 s7, v13
	s_clause 0x3
	global_store_b128 v30, v[6:9], s[6:7]
	global_store_b128 v30, v[14:17], s[6:7] offset:16
	global_store_b128 v30, v[14:17], s[6:7] offset:32
	;; [unrolled: 1-line block ×3, first 2 shown]
	s_wait_xcnt 0x0
	s_and_saveexec_b32 s1, s0
	s_cbranch_execz .LBB1_265
; %bb.258:
	v_dual_mov_b32 v8, 0 :: v_dual_mov_b32 v15, s5
	s_mov_b32 s6, exec_lo
	s_clause 0x1
	global_load_b64 v[16:17], v8, s[2:3] offset:32 scope:SCOPE_SYS
	global_load_b64 v[2:3], v8, s[2:3] offset:40
	s_wait_loadcnt 0x0
	v_dual_mov_b32 v14, s4 :: v_dual_bitop2_b32 v3, s5, v3 bitop3:0x40
	v_and_b32_e32 v2, s4, v2
	s_delay_alu instid0(VALU_DEP_1) | instskip(NEXT) | instid1(VALU_DEP_1)
	v_mul_u64_e32 v[2:3], 24, v[2:3]
	v_add_nc_u64_e32 v[6:7], v[0:1], v[2:3]
	global_store_b64 v[6:7], v[16:17], off
	global_wb scope:SCOPE_SYS
	s_wait_storecnt 0x0
	s_wait_xcnt 0x0
	global_atomic_cmpswap_b64 v[2:3], v8, v[14:17], s[2:3] offset:32 th:TH_ATOMIC_RETURN scope:SCOPE_SYS
	s_wait_loadcnt 0x0
	v_cmpx_ne_u64_e64 v[2:3], v[16:17]
	s_cbranch_execz .LBB1_261
; %bb.259:
	s_mov_b32 s7, 0
.LBB1_260:                              ; =>This Inner Loop Header: Depth=1
	v_dual_mov_b32 v0, s4 :: v_dual_mov_b32 v1, s5
	s_sleep 1
	global_store_b64 v[6:7], v[2:3], off
	global_wb scope:SCOPE_SYS
	s_wait_storecnt 0x0
	s_wait_xcnt 0x0
	global_atomic_cmpswap_b64 v[0:1], v8, v[0:3], s[2:3] offset:32 th:TH_ATOMIC_RETURN scope:SCOPE_SYS
	s_wait_loadcnt 0x0
	v_cmp_eq_u64_e32 vcc_lo, v[0:1], v[2:3]
	v_mov_b64_e32 v[2:3], v[0:1]
	s_or_b32 s7, vcc_lo, s7
	s_delay_alu instid0(SALU_CYCLE_1)
	s_and_not1_b32 exec_lo, exec_lo, s7
	s_cbranch_execnz .LBB1_260
.LBB1_261:
	s_or_b32 exec_lo, exec_lo, s6
	v_mov_b32_e32 v3, 0
	s_mov_b32 s7, exec_lo
	s_mov_b32 s6, exec_lo
	v_mbcnt_lo_u32_b32 v2, s7, 0
	global_load_b64 v[0:1], v3, s[2:3] offset:16
	s_wait_xcnt 0x0
	v_cmpx_eq_u32_e32 0, v2
	s_cbranch_execz .LBB1_263
; %bb.262:
	s_bcnt1_i32_b32 s7, s7
	s_delay_alu instid0(SALU_CYCLE_1)
	v_mov_b32_e32 v2, s7
	global_wb scope:SCOPE_SYS
	s_wait_loadcnt 0x0
	s_wait_storecnt 0x0
	global_atomic_add_u64 v[0:1], v[2:3], off offset:8 scope:SCOPE_SYS
.LBB1_263:
	s_wait_xcnt 0x0
	s_or_b32 exec_lo, exec_lo, s6
	s_wait_loadcnt 0x0
	global_load_b64 v[2:3], v[0:1], off offset:16
	s_wait_loadcnt 0x0
	v_cmp_eq_u64_e32 vcc_lo, 0, v[2:3]
	s_cbranch_vccnz .LBB1_265
; %bb.264:
	global_load_b32 v0, v[0:1], off offset:24
	s_wait_xcnt 0x0
	v_mov_b32_e32 v1, 0
	s_wait_loadcnt 0x0
	v_readfirstlane_b32 s6, v0
	global_wb scope:SCOPE_SYS
	s_wait_storecnt 0x0
	global_store_b64 v[2:3], v[0:1], off scope:SCOPE_SYS
	s_and_b32 m0, s6, 0xffffff
	s_sendmsg sendmsg(MSG_INTERRUPT)
.LBB1_265:
	s_wait_xcnt 0x0
	s_or_b32 exec_lo, exec_lo, s1
	v_add_nc_u64_e32 v[0:1], v[12:13], v[30:31]
	s_branch .LBB1_269
.LBB1_266:                              ;   in Loop: Header=BB1_269 Depth=1
	s_wait_xcnt 0x0
	s_or_b32 exec_lo, exec_lo, s1
	s_delay_alu instid0(VALU_DEP_1)
	v_readfirstlane_b32 s1, v2
	s_cmp_eq_u32 s1, 0
	s_cbranch_scc1 .LBB1_268
; %bb.267:                              ;   in Loop: Header=BB1_269 Depth=1
	s_sleep 1
	s_cbranch_execnz .LBB1_269
	s_branch .LBB1_271
.LBB1_268:
	s_branch .LBB1_271
.LBB1_269:                              ; =>This Inner Loop Header: Depth=1
	v_mov_b32_e32 v2, 1
	s_and_saveexec_b32 s1, s0
	s_cbranch_execz .LBB1_266
; %bb.270:                              ;   in Loop: Header=BB1_269 Depth=1
	global_load_b32 v2, v[10:11], off offset:20 scope:SCOPE_SYS
	s_wait_loadcnt 0x0
	global_inv scope:SCOPE_SYS
	v_and_b32_e32 v2, 1, v2
	s_branch .LBB1_266
.LBB1_271:
	global_load_b64 v[0:1], v[0:1], off
	s_wait_xcnt 0x0
	s_and_saveexec_b32 s6, s0
	s_cbranch_execz .LBB1_275
; %bb.272:
	v_mov_b32_e32 v10, 0
	s_clause 0x2
	global_load_b64 v[2:3], v10, s[2:3] offset:40
	global_load_b64 v[14:15], v10, s[2:3] offset:24 scope:SCOPE_SYS
	global_load_b64 v[6:7], v10, s[2:3]
	s_wait_loadcnt 0x2
	v_readfirstlane_b32 s10, v2
	v_readfirstlane_b32 s11, v3
	s_add_nc_u64 s[0:1], s[10:11], 1
	s_delay_alu instid0(SALU_CYCLE_1) | instskip(NEXT) | instid1(SALU_CYCLE_1)
	s_add_nc_u64 s[4:5], s[0:1], s[4:5]
	s_cmp_eq_u64 s[4:5], 0
	s_cselect_b32 s1, s1, s5
	s_cselect_b32 s0, s0, s4
	v_mov_b32_e32 v13, s1
	s_and_b64 s[4:5], s[0:1], s[10:11]
	v_mov_b32_e32 v12, s0
	s_mul_u64 s[4:5], s[4:5], 24
	s_wait_loadcnt 0x0
	v_add_nc_u64_e32 v[2:3], s[4:5], v[6:7]
	global_store_b64 v[2:3], v[14:15], off
	global_wb scope:SCOPE_SYS
	s_wait_storecnt 0x0
	s_wait_xcnt 0x0
	global_atomic_cmpswap_b64 v[8:9], v10, v[12:15], s[2:3] offset:24 th:TH_ATOMIC_RETURN scope:SCOPE_SYS
	s_wait_loadcnt 0x0
	v_cmp_ne_u64_e32 vcc_lo, v[8:9], v[14:15]
	s_and_b32 exec_lo, exec_lo, vcc_lo
	s_cbranch_execz .LBB1_275
; %bb.273:
	s_mov_b32 s4, 0
.LBB1_274:                              ; =>This Inner Loop Header: Depth=1
	v_dual_mov_b32 v6, s0 :: v_dual_mov_b32 v7, s1
	s_sleep 1
	global_store_b64 v[2:3], v[8:9], off
	global_wb scope:SCOPE_SYS
	s_wait_storecnt 0x0
	s_wait_xcnt 0x0
	global_atomic_cmpswap_b64 v[6:7], v10, v[6:9], s[2:3] offset:24 th:TH_ATOMIC_RETURN scope:SCOPE_SYS
	s_wait_loadcnt 0x0
	v_cmp_eq_u64_e32 vcc_lo, v[6:7], v[8:9]
	v_mov_b64_e32 v[8:9], v[6:7]
	s_or_b32 s4, vcc_lo, s4
	s_delay_alu instid0(SALU_CYCLE_1)
	s_and_not1_b32 exec_lo, exec_lo, s4
	s_cbranch_execnz .LBB1_274
.LBB1_275:
	s_or_b32 exec_lo, exec_lo, s6
	v_mov_b64_e32 v[2:3], v[4:5]
	s_mov_b32 s0, 0
.LBB1_276:                              ; =>This Inner Loop Header: Depth=1
	global_load_u8 v6, v[2:3], off
	s_wait_xcnt 0x0
	v_add_nc_u64_e32 v[2:3], 1, v[2:3]
	s_wait_loadcnt 0x0
	v_cmp_eq_u16_e32 vcc_lo, 0, v6
	s_or_b32 s0, vcc_lo, s0
	s_delay_alu instid0(SALU_CYCLE_1)
	s_and_not1_b32 exec_lo, exec_lo, s0
	s_cbranch_execnz .LBB1_276
; %bb.277:
	s_or_b32 exec_lo, exec_lo, s0
	s_delay_alu instid0(SALU_CYCLE_1)
	s_mov_b32 s0, exec_lo
	v_cmpx_ne_u64_e32 0, v[4:5]
	s_xor_b32 s6, exec_lo, s0
	s_cbranch_execz .LBB1_363
; %bb.278:
	v_dual_mov_b32 v31, 0 :: v_dual_sub_nc_u32 v26, v2, v4
	v_mov_b64_e32 v[8:9], 0x100000002
	v_and_b32_e32 v28, 2, v0
	s_delay_alu instid0(VALU_DEP_3)
	v_dual_ashrrev_i32 v27, 31, v26 :: v_dual_bitop2_b32 v0, -3, v0 bitop3:0x40
	s_mov_b32 s10, 0
	s_mov_b32 s7, 0
	s_branch .LBB1_280
.LBB1_279:                              ;   in Loop: Header=BB1_280 Depth=1
	s_or_b32 exec_lo, exec_lo, s11
	v_sub_nc_u64_e32 v[26:27], v[26:27], v[32:33]
	v_add_nc_u64_e32 v[4:5], v[4:5], v[32:33]
	s_delay_alu instid0(VALU_DEP_2) | instskip(SKIP_1) | instid1(SALU_CYCLE_1)
	v_cmp_eq_u64_e32 vcc_lo, 0, v[26:27]
	s_or_b32 s7, vcc_lo, s7
	s_and_not1_b32 exec_lo, exec_lo, s7
	s_cbranch_execz .LBB1_362
.LBB1_280:                              ; =>This Loop Header: Depth=1
                                        ;     Child Loop BB1_283 Depth 2
                                        ;     Child Loop BB1_291 Depth 2
	;; [unrolled: 1-line block ×11, first 2 shown]
	s_delay_alu instid0(VALU_DEP_1) | instskip(NEXT) | instid1(VALU_DEP_3)
	v_min_u64 v[32:33], v[26:27], 56
	v_add_nc_u64_e32 v[12:13], 8, v[4:5]
	s_mov_b32 s0, exec_lo
	v_cmpx_gt_u64_e32 8, v[26:27]
	s_xor_b32 s4, exec_lo, s0
	s_cbranch_execz .LBB1_286
; %bb.281:                              ;   in Loop: Header=BB1_280 Depth=1
	v_mov_b64_e32 v[2:3], 0
	s_mov_b32 s5, exec_lo
	v_cmpx_ne_u64_e32 0, v[26:27]
	s_cbranch_execz .LBB1_285
; %bb.282:                              ;   in Loop: Header=BB1_280 Depth=1
	v_mov_b64_e32 v[2:3], 0
	v_mov_b64_e32 v[10:11], v[4:5]
	v_lshlrev_b32_e32 v6, 3, v32
	s_mov_b64 s[0:1], 0
	s_mov_b32 s11, 0
.LBB1_283:                              ;   Parent Loop BB1_280 Depth=1
                                        ; =>  This Inner Loop Header: Depth=2
	global_load_u8 v7, v[10:11], off
	v_mov_b32_e32 v13, s10
	s_wait_xcnt 0x0
	v_add_nc_u64_e32 v[10:11], 1, v[10:11]
	s_wait_loadcnt 0x0
	v_and_b32_e32 v12, 0xffff, v7
	s_delay_alu instid0(VALU_DEP_1) | instskip(SKIP_1) | instid1(SALU_CYCLE_1)
	v_lshlrev_b64_e32 v[12:13], s0, v[12:13]
	s_add_nc_u64 s[0:1], s[0:1], 8
	v_cmp_eq_u32_e32 vcc_lo, s0, v6
	s_delay_alu instid0(VALU_DEP_2) | instskip(NEXT) | instid1(VALU_DEP_3)
	v_or_b32_e32 v3, v13, v3
	v_or_b32_e32 v2, v12, v2
	s_or_b32 s11, vcc_lo, s11
	s_delay_alu instid0(SALU_CYCLE_1)
	s_and_not1_b32 exec_lo, exec_lo, s11
	s_cbranch_execnz .LBB1_283
; %bb.284:                              ;   in Loop: Header=BB1_280 Depth=1
	s_or_b32 exec_lo, exec_lo, s11
.LBB1_285:                              ;   in Loop: Header=BB1_280 Depth=1
	s_delay_alu instid0(SALU_CYCLE_1)
	s_or_b32 exec_lo, exec_lo, s5
	v_mov_b64_e32 v[12:13], v[4:5]
.LBB1_286:                              ;   in Loop: Header=BB1_280 Depth=1
	s_or_saveexec_b32 s0, s4
	v_mov_b32_e32 v14, 0
	s_xor_b32 exec_lo, exec_lo, s0
	s_cbranch_execz .LBB1_288
; %bb.287:                              ;   in Loop: Header=BB1_280 Depth=1
	global_load_b64 v[2:3], v[4:5], off
	v_add_nc_u32_e32 v14, -8, v32
.LBB1_288:                              ;   in Loop: Header=BB1_280 Depth=1
	s_wait_xcnt 0x0
	s_or_b32 exec_lo, exec_lo, s0
	v_add_nc_u64_e32 v[6:7], 8, v[12:13]
                                        ; implicit-def: $vgpr10_vgpr11
	s_mov_b32 s0, exec_lo
	v_cmpx_gt_u32_e32 8, v14
	s_xor_b32 s11, exec_lo, s0
	s_cbranch_execz .LBB1_294
; %bb.289:                              ;   in Loop: Header=BB1_280 Depth=1
	v_mov_b64_e32 v[10:11], 0
	s_mov_b32 s12, exec_lo
	v_cmpx_ne_u32_e32 0, v14
	s_cbranch_execz .LBB1_293
; %bb.290:                              ;   in Loop: Header=BB1_280 Depth=1
	v_mov_b64_e32 v[10:11], 0
	s_mov_b64 s[0:1], 0
	s_mov_b32 s13, 0
	s_mov_b64 s[4:5], 0
.LBB1_291:                              ;   Parent Loop BB1_280 Depth=1
                                        ; =>  This Inner Loop Header: Depth=2
	s_delay_alu instid0(SALU_CYCLE_1) | instskip(SKIP_1) | instid1(SALU_CYCLE_1)
	v_add_nc_u64_e32 v[6:7], s[4:5], v[12:13]
	s_add_nc_u64 s[4:5], s[4:5], 1
	v_cmp_eq_u32_e32 vcc_lo, s4, v14
	global_load_u8 v6, v[6:7], off
	s_wait_xcnt 0x0
	v_mov_b32_e32 v7, s10
	s_or_b32 s13, vcc_lo, s13
	s_wait_loadcnt 0x0
	v_and_b32_e32 v6, 0xffff, v6
	s_delay_alu instid0(VALU_DEP_1) | instskip(SKIP_1) | instid1(VALU_DEP_1)
	v_lshlrev_b64_e32 v[6:7], s0, v[6:7]
	s_add_nc_u64 s[0:1], s[0:1], 8
	v_or_b32_e32 v11, v7, v11
	s_delay_alu instid0(VALU_DEP_2)
	v_or_b32_e32 v10, v6, v10
	s_and_not1_b32 exec_lo, exec_lo, s13
	s_cbranch_execnz .LBB1_291
; %bb.292:                              ;   in Loop: Header=BB1_280 Depth=1
	s_or_b32 exec_lo, exec_lo, s13
.LBB1_293:                              ;   in Loop: Header=BB1_280 Depth=1
	s_delay_alu instid0(SALU_CYCLE_1)
	s_or_b32 exec_lo, exec_lo, s12
	v_mov_b64_e32 v[6:7], v[12:13]
                                        ; implicit-def: $vgpr14
.LBB1_294:                              ;   in Loop: Header=BB1_280 Depth=1
	s_or_saveexec_b32 s0, s11
	v_mov_b32_e32 v15, 0
	s_xor_b32 exec_lo, exec_lo, s0
	s_cbranch_execz .LBB1_296
; %bb.295:                              ;   in Loop: Header=BB1_280 Depth=1
	global_load_b64 v[10:11], v[12:13], off
	v_add_nc_u32_e32 v15, -8, v14
.LBB1_296:                              ;   in Loop: Header=BB1_280 Depth=1
	s_wait_xcnt 0x0
	s_or_b32 exec_lo, exec_lo, s0
	v_add_nc_u64_e32 v[16:17], 8, v[6:7]
	s_mov_b32 s0, exec_lo
	v_cmpx_gt_u32_e32 8, v15
	s_xor_b32 s11, exec_lo, s0
	s_cbranch_execz .LBB1_302
; %bb.297:                              ;   in Loop: Header=BB1_280 Depth=1
	v_mov_b64_e32 v[12:13], 0
	s_mov_b32 s12, exec_lo
	v_cmpx_ne_u32_e32 0, v15
	s_cbranch_execz .LBB1_301
; %bb.298:                              ;   in Loop: Header=BB1_280 Depth=1
	v_mov_b64_e32 v[12:13], 0
	s_mov_b64 s[0:1], 0
	s_mov_b32 s13, 0
	s_mov_b64 s[4:5], 0
.LBB1_299:                              ;   Parent Loop BB1_280 Depth=1
                                        ; =>  This Inner Loop Header: Depth=2
	s_delay_alu instid0(SALU_CYCLE_1) | instskip(SKIP_1) | instid1(SALU_CYCLE_1)
	v_add_nc_u64_e32 v[16:17], s[4:5], v[6:7]
	s_add_nc_u64 s[4:5], s[4:5], 1
	v_cmp_eq_u32_e32 vcc_lo, s4, v15
	global_load_u8 v14, v[16:17], off
	s_wait_xcnt 0x0
	v_mov_b32_e32 v17, s10
	s_or_b32 s13, vcc_lo, s13
	s_wait_loadcnt 0x0
	v_and_b32_e32 v16, 0xffff, v14
	s_delay_alu instid0(VALU_DEP_1) | instskip(SKIP_1) | instid1(VALU_DEP_1)
	v_lshlrev_b64_e32 v[16:17], s0, v[16:17]
	s_add_nc_u64 s[0:1], s[0:1], 8
	v_or_b32_e32 v13, v17, v13
	s_delay_alu instid0(VALU_DEP_2)
	v_or_b32_e32 v12, v16, v12
	s_and_not1_b32 exec_lo, exec_lo, s13
	s_cbranch_execnz .LBB1_299
; %bb.300:                              ;   in Loop: Header=BB1_280 Depth=1
	s_or_b32 exec_lo, exec_lo, s13
.LBB1_301:                              ;   in Loop: Header=BB1_280 Depth=1
	s_delay_alu instid0(SALU_CYCLE_1)
	s_or_b32 exec_lo, exec_lo, s12
	v_mov_b64_e32 v[16:17], v[6:7]
                                        ; implicit-def: $vgpr15
.LBB1_302:                              ;   in Loop: Header=BB1_280 Depth=1
	s_or_saveexec_b32 s0, s11
	v_mov_b32_e32 v18, 0
	s_xor_b32 exec_lo, exec_lo, s0
	s_cbranch_execz .LBB1_304
; %bb.303:                              ;   in Loop: Header=BB1_280 Depth=1
	global_load_b64 v[12:13], v[6:7], off
	v_add_nc_u32_e32 v18, -8, v15
.LBB1_304:                              ;   in Loop: Header=BB1_280 Depth=1
	s_wait_xcnt 0x0
	s_or_b32 exec_lo, exec_lo, s0
	v_add_nc_u64_e32 v[6:7], 8, v[16:17]
                                        ; implicit-def: $vgpr14_vgpr15
	s_mov_b32 s0, exec_lo
	v_cmpx_gt_u32_e32 8, v18
	s_xor_b32 s11, exec_lo, s0
	s_cbranch_execz .LBB1_310
; %bb.305:                              ;   in Loop: Header=BB1_280 Depth=1
	v_mov_b64_e32 v[14:15], 0
	s_mov_b32 s12, exec_lo
	v_cmpx_ne_u32_e32 0, v18
	s_cbranch_execz .LBB1_309
; %bb.306:                              ;   in Loop: Header=BB1_280 Depth=1
	v_mov_b64_e32 v[14:15], 0
	s_mov_b64 s[0:1], 0
	s_mov_b32 s13, 0
	s_mov_b64 s[4:5], 0
.LBB1_307:                              ;   Parent Loop BB1_280 Depth=1
                                        ; =>  This Inner Loop Header: Depth=2
	s_delay_alu instid0(SALU_CYCLE_1) | instskip(SKIP_1) | instid1(SALU_CYCLE_1)
	v_add_nc_u64_e32 v[6:7], s[4:5], v[16:17]
	s_add_nc_u64 s[4:5], s[4:5], 1
	v_cmp_eq_u32_e32 vcc_lo, s4, v18
	global_load_u8 v6, v[6:7], off
	s_wait_xcnt 0x0
	v_mov_b32_e32 v7, s10
	s_or_b32 s13, vcc_lo, s13
	s_wait_loadcnt 0x0
	v_and_b32_e32 v6, 0xffff, v6
	s_delay_alu instid0(VALU_DEP_1) | instskip(SKIP_1) | instid1(VALU_DEP_1)
	v_lshlrev_b64_e32 v[6:7], s0, v[6:7]
	s_add_nc_u64 s[0:1], s[0:1], 8
	v_or_b32_e32 v15, v7, v15
	s_delay_alu instid0(VALU_DEP_2)
	v_or_b32_e32 v14, v6, v14
	s_and_not1_b32 exec_lo, exec_lo, s13
	s_cbranch_execnz .LBB1_307
; %bb.308:                              ;   in Loop: Header=BB1_280 Depth=1
	s_or_b32 exec_lo, exec_lo, s13
.LBB1_309:                              ;   in Loop: Header=BB1_280 Depth=1
	s_delay_alu instid0(SALU_CYCLE_1)
	s_or_b32 exec_lo, exec_lo, s12
	v_mov_b64_e32 v[6:7], v[16:17]
                                        ; implicit-def: $vgpr18
.LBB1_310:                              ;   in Loop: Header=BB1_280 Depth=1
	s_or_saveexec_b32 s0, s11
	v_mov_b32_e32 v19, 0
	s_xor_b32 exec_lo, exec_lo, s0
	s_cbranch_execz .LBB1_312
; %bb.311:                              ;   in Loop: Header=BB1_280 Depth=1
	global_load_b64 v[14:15], v[16:17], off
	v_add_nc_u32_e32 v19, -8, v18
.LBB1_312:                              ;   in Loop: Header=BB1_280 Depth=1
	s_wait_xcnt 0x0
	s_or_b32 exec_lo, exec_lo, s0
	v_add_nc_u64_e32 v[20:21], 8, v[6:7]
	s_mov_b32 s0, exec_lo
	v_cmpx_gt_u32_e32 8, v19
	s_xor_b32 s11, exec_lo, s0
	s_cbranch_execz .LBB1_318
; %bb.313:                              ;   in Loop: Header=BB1_280 Depth=1
	v_mov_b64_e32 v[16:17], 0
	s_mov_b32 s12, exec_lo
	v_cmpx_ne_u32_e32 0, v19
	s_cbranch_execz .LBB1_317
; %bb.314:                              ;   in Loop: Header=BB1_280 Depth=1
	v_mov_b64_e32 v[16:17], 0
	s_mov_b64 s[0:1], 0
	s_mov_b32 s13, 0
	s_mov_b64 s[4:5], 0
.LBB1_315:                              ;   Parent Loop BB1_280 Depth=1
                                        ; =>  This Inner Loop Header: Depth=2
	s_delay_alu instid0(SALU_CYCLE_1) | instskip(SKIP_1) | instid1(SALU_CYCLE_1)
	v_add_nc_u64_e32 v[20:21], s[4:5], v[6:7]
	s_add_nc_u64 s[4:5], s[4:5], 1
	v_cmp_eq_u32_e32 vcc_lo, s4, v19
	global_load_u8 v18, v[20:21], off
	s_wait_xcnt 0x0
	v_mov_b32_e32 v21, s10
	s_or_b32 s13, vcc_lo, s13
	s_wait_loadcnt 0x0
	v_and_b32_e32 v20, 0xffff, v18
	s_delay_alu instid0(VALU_DEP_1) | instskip(SKIP_1) | instid1(VALU_DEP_1)
	v_lshlrev_b64_e32 v[20:21], s0, v[20:21]
	s_add_nc_u64 s[0:1], s[0:1], 8
	v_or_b32_e32 v17, v21, v17
	s_delay_alu instid0(VALU_DEP_2)
	v_or_b32_e32 v16, v20, v16
	s_and_not1_b32 exec_lo, exec_lo, s13
	s_cbranch_execnz .LBB1_315
; %bb.316:                              ;   in Loop: Header=BB1_280 Depth=1
	s_or_b32 exec_lo, exec_lo, s13
.LBB1_317:                              ;   in Loop: Header=BB1_280 Depth=1
	s_delay_alu instid0(SALU_CYCLE_1)
	s_or_b32 exec_lo, exec_lo, s12
	v_mov_b64_e32 v[20:21], v[6:7]
                                        ; implicit-def: $vgpr19
.LBB1_318:                              ;   in Loop: Header=BB1_280 Depth=1
	s_or_saveexec_b32 s0, s11
	v_mov_b32_e32 v22, 0
	s_xor_b32 exec_lo, exec_lo, s0
	s_cbranch_execz .LBB1_320
; %bb.319:                              ;   in Loop: Header=BB1_280 Depth=1
	global_load_b64 v[16:17], v[6:7], off
	v_add_nc_u32_e32 v22, -8, v19
.LBB1_320:                              ;   in Loop: Header=BB1_280 Depth=1
	s_wait_xcnt 0x0
	s_or_b32 exec_lo, exec_lo, s0
	v_add_nc_u64_e32 v[6:7], 8, v[20:21]
                                        ; implicit-def: $vgpr18_vgpr19
	s_mov_b32 s0, exec_lo
	v_cmpx_gt_u32_e32 8, v22
	s_xor_b32 s11, exec_lo, s0
	s_cbranch_execz .LBB1_326
; %bb.321:                              ;   in Loop: Header=BB1_280 Depth=1
	v_mov_b64_e32 v[18:19], 0
	s_mov_b32 s12, exec_lo
	v_cmpx_ne_u32_e32 0, v22
	s_cbranch_execz .LBB1_325
; %bb.322:                              ;   in Loop: Header=BB1_280 Depth=1
	v_mov_b64_e32 v[18:19], 0
	s_mov_b64 s[0:1], 0
	s_mov_b32 s13, 0
	s_mov_b64 s[4:5], 0
.LBB1_323:                              ;   Parent Loop BB1_280 Depth=1
                                        ; =>  This Inner Loop Header: Depth=2
	s_delay_alu instid0(SALU_CYCLE_1) | instskip(SKIP_1) | instid1(SALU_CYCLE_1)
	v_add_nc_u64_e32 v[6:7], s[4:5], v[20:21]
	s_add_nc_u64 s[4:5], s[4:5], 1
	v_cmp_eq_u32_e32 vcc_lo, s4, v22
	global_load_u8 v6, v[6:7], off
	s_wait_xcnt 0x0
	v_mov_b32_e32 v7, s10
	s_or_b32 s13, vcc_lo, s13
	s_wait_loadcnt 0x0
	v_and_b32_e32 v6, 0xffff, v6
	s_delay_alu instid0(VALU_DEP_1) | instskip(SKIP_1) | instid1(VALU_DEP_1)
	v_lshlrev_b64_e32 v[6:7], s0, v[6:7]
	s_add_nc_u64 s[0:1], s[0:1], 8
	v_or_b32_e32 v19, v7, v19
	s_delay_alu instid0(VALU_DEP_2)
	v_or_b32_e32 v18, v6, v18
	s_and_not1_b32 exec_lo, exec_lo, s13
	s_cbranch_execnz .LBB1_323
; %bb.324:                              ;   in Loop: Header=BB1_280 Depth=1
	s_or_b32 exec_lo, exec_lo, s13
.LBB1_325:                              ;   in Loop: Header=BB1_280 Depth=1
	s_delay_alu instid0(SALU_CYCLE_1)
	s_or_b32 exec_lo, exec_lo, s12
	v_mov_b64_e32 v[6:7], v[20:21]
                                        ; implicit-def: $vgpr22
.LBB1_326:                              ;   in Loop: Header=BB1_280 Depth=1
	s_or_saveexec_b32 s0, s11
	v_mov_b32_e32 v23, 0
	s_xor_b32 exec_lo, exec_lo, s0
	s_cbranch_execz .LBB1_328
; %bb.327:                              ;   in Loop: Header=BB1_280 Depth=1
	global_load_b64 v[18:19], v[20:21], off
	v_add_nc_u32_e32 v23, -8, v22
.LBB1_328:                              ;   in Loop: Header=BB1_280 Depth=1
	s_wait_xcnt 0x0
	s_or_b32 exec_lo, exec_lo, s0
	s_delay_alu instid0(SALU_CYCLE_1) | instskip(NEXT) | instid1(VALU_DEP_1)
	s_mov_b32 s0, exec_lo
	v_cmpx_gt_u32_e32 8, v23
	s_xor_b32 s4, exec_lo, s0
	s_cbranch_execz .LBB1_334
; %bb.329:                              ;   in Loop: Header=BB1_280 Depth=1
	v_mov_b64_e32 v[20:21], 0
	s_mov_b32 s5, exec_lo
	v_cmpx_ne_u32_e32 0, v23
	s_cbranch_execz .LBB1_333
; %bb.330:                              ;   in Loop: Header=BB1_280 Depth=1
	v_mov_b64_e32 v[20:21], 0
	s_mov_b64 s[0:1], 0
	s_mov_b32 s11, 0
.LBB1_331:                              ;   Parent Loop BB1_280 Depth=1
                                        ; =>  This Inner Loop Header: Depth=2
	global_load_u8 v22, v[6:7], off
	v_dual_mov_b32 v25, s10 :: v_dual_add_nc_u32 v23, -1, v23
	s_wait_xcnt 0x0
	v_add_nc_u64_e32 v[6:7], 1, v[6:7]
	s_delay_alu instid0(VALU_DEP_2) | instskip(SKIP_3) | instid1(VALU_DEP_1)
	v_cmp_eq_u32_e32 vcc_lo, 0, v23
	s_or_b32 s11, vcc_lo, s11
	s_wait_loadcnt 0x0
	v_and_b32_e32 v24, 0xffff, v22
	v_lshlrev_b64_e32 v[24:25], s0, v[24:25]
	s_add_nc_u64 s[0:1], s[0:1], 8
	s_delay_alu instid0(VALU_DEP_1) | instskip(NEXT) | instid1(VALU_DEP_2)
	v_or_b32_e32 v21, v25, v21
	v_or_b32_e32 v20, v24, v20
	s_and_not1_b32 exec_lo, exec_lo, s11
	s_cbranch_execnz .LBB1_331
; %bb.332:                              ;   in Loop: Header=BB1_280 Depth=1
	s_or_b32 exec_lo, exec_lo, s11
.LBB1_333:                              ;   in Loop: Header=BB1_280 Depth=1
	s_delay_alu instid0(SALU_CYCLE_1)
	s_or_b32 exec_lo, exec_lo, s5
                                        ; implicit-def: $vgpr6_vgpr7
.LBB1_334:                              ;   in Loop: Header=BB1_280 Depth=1
	s_and_not1_saveexec_b32 s0, s4
	s_cbranch_execz .LBB1_336
; %bb.335:                              ;   in Loop: Header=BB1_280 Depth=1
	global_load_b64 v[20:21], v[6:7], off
.LBB1_336:                              ;   in Loop: Header=BB1_280 Depth=1
	s_wait_xcnt 0x0
	s_or_b32 exec_lo, exec_lo, s0
	v_readfirstlane_b32 s0, v48
	v_mov_b64_e32 v[6:7], 0
	s_delay_alu instid0(VALU_DEP_2)
	v_cmp_eq_u32_e64 s0, s0, v48
	s_and_saveexec_b32 s1, s0
	s_cbranch_execz .LBB1_342
; %bb.337:                              ;   in Loop: Header=BB1_280 Depth=1
	global_load_b64 v[24:25], v31, s[2:3] offset:24 scope:SCOPE_SYS
	s_wait_loadcnt 0x0
	global_inv scope:SCOPE_SYS
	s_clause 0x1
	global_load_b64 v[6:7], v31, s[2:3] offset:40
	global_load_b64 v[22:23], v31, s[2:3]
	s_mov_b32 s4, exec_lo
	s_wait_loadcnt 0x1
	v_and_b32_e32 v6, v6, v24
	v_and_b32_e32 v7, v7, v25
	s_delay_alu instid0(VALU_DEP_1) | instskip(SKIP_1) | instid1(VALU_DEP_1)
	v_mul_u64_e32 v[6:7], 24, v[6:7]
	s_wait_loadcnt 0x0
	v_add_nc_u64_e32 v[6:7], v[22:23], v[6:7]
	global_load_b64 v[22:23], v[6:7], off scope:SCOPE_SYS
	s_wait_xcnt 0x0
	s_wait_loadcnt 0x0
	global_atomic_cmpswap_b64 v[6:7], v31, v[22:25], s[2:3] offset:24 th:TH_ATOMIC_RETURN scope:SCOPE_SYS
	s_wait_loadcnt 0x0
	global_inv scope:SCOPE_SYS
	s_wait_xcnt 0x0
	v_cmpx_ne_u64_e64 v[6:7], v[24:25]
	s_cbranch_execz .LBB1_341
; %bb.338:                              ;   in Loop: Header=BB1_280 Depth=1
	s_mov_b32 s5, 0
.LBB1_339:                              ;   Parent Loop BB1_280 Depth=1
                                        ; =>  This Inner Loop Header: Depth=2
	s_sleep 1
	s_clause 0x1
	global_load_b64 v[22:23], v31, s[2:3] offset:40
	global_load_b64 v[34:35], v31, s[2:3]
	v_mov_b64_e32 v[24:25], v[6:7]
	s_wait_loadcnt 0x1
	s_delay_alu instid0(VALU_DEP_1) | instskip(NEXT) | instid1(VALU_DEP_2)
	v_and_b32_e32 v6, v22, v24
	v_and_b32_e32 v22, v23, v25
	s_wait_loadcnt 0x0
	s_delay_alu instid0(VALU_DEP_2) | instskip(NEXT) | instid1(VALU_DEP_1)
	v_mad_nc_u64_u32 v[6:7], v6, 24, v[34:35]
	v_mad_u32 v7, v22, 24, v7
	global_load_b64 v[22:23], v[6:7], off scope:SCOPE_SYS
	s_wait_xcnt 0x0
	s_wait_loadcnt 0x0
	global_atomic_cmpswap_b64 v[6:7], v31, v[22:25], s[2:3] offset:24 th:TH_ATOMIC_RETURN scope:SCOPE_SYS
	s_wait_loadcnt 0x0
	global_inv scope:SCOPE_SYS
	v_cmp_eq_u64_e32 vcc_lo, v[6:7], v[24:25]
	s_or_b32 s5, vcc_lo, s5
	s_wait_xcnt 0x0
	s_and_not1_b32 exec_lo, exec_lo, s5
	s_cbranch_execnz .LBB1_339
; %bb.340:                              ;   in Loop: Header=BB1_280 Depth=1
	s_or_b32 exec_lo, exec_lo, s5
.LBB1_341:                              ;   in Loop: Header=BB1_280 Depth=1
	s_delay_alu instid0(SALU_CYCLE_1)
	s_or_b32 exec_lo, exec_lo, s4
.LBB1_342:                              ;   in Loop: Header=BB1_280 Depth=1
	s_delay_alu instid0(SALU_CYCLE_1)
	s_or_b32 exec_lo, exec_lo, s1
	s_clause 0x1
	global_load_b64 v[34:35], v31, s[2:3] offset:40
	global_load_b128 v[22:25], v31, s[2:3]
	v_readfirstlane_b32 s4, v6
	v_readfirstlane_b32 s5, v7
	s_mov_b32 s1, exec_lo
	s_wait_loadcnt 0x1
	v_and_b32_e32 v36, s4, v34
	v_and_b32_e32 v37, s5, v35
	s_delay_alu instid0(VALU_DEP_1) | instskip(SKIP_1) | instid1(VALU_DEP_1)
	v_mul_u64_e32 v[6:7], 24, v[36:37]
	s_wait_loadcnt 0x0
	v_add_nc_u64_e32 v[34:35], v[22:23], v[6:7]
	s_wait_xcnt 0x0
	s_and_saveexec_b32 s11, s0
	s_cbranch_execz .LBB1_344
; %bb.343:                              ;   in Loop: Header=BB1_280 Depth=1
	v_dual_mov_b32 v6, s1 :: v_dual_mov_b32 v7, v31
	global_store_b128 v[34:35], v[6:9], off offset:8
.LBB1_344:                              ;   in Loop: Header=BB1_280 Depth=1
	s_wait_xcnt 0x0
	s_or_b32 exec_lo, exec_lo, s11
	v_cmp_gt_u64_e32 vcc_lo, 57, v[26:27]
	v_lshlrev_b64_e32 v[6:7], 12, v[36:37]
	v_and_b32_e32 v0, 0xffffff1f, v0
	v_lshl_add_u32 v36, v32, 2, 28
	v_cndmask_b32_e32 v29, 0, v28, vcc_lo
	s_delay_alu instid0(VALU_DEP_4) | instskip(NEXT) | instid1(VALU_DEP_2)
	v_add_nc_u64_e32 v[6:7], v[24:25], v[6:7]
	v_or_b32_e32 v0, v0, v29
	s_delay_alu instid0(VALU_DEP_2) | instskip(NEXT) | instid1(VALU_DEP_3)
	v_readfirstlane_b32 s12, v6
	v_readfirstlane_b32 s13, v7
	s_delay_alu instid0(VALU_DEP_3)
	v_and_or_b32 v0, 0x1e0, v36, v0
	s_clause 0x3
	global_store_b128 v30, v[0:3], s[12:13]
	global_store_b128 v30, v[10:13], s[12:13] offset:16
	global_store_b128 v30, v[14:17], s[12:13] offset:32
	;; [unrolled: 1-line block ×3, first 2 shown]
	s_wait_xcnt 0x0
	s_and_saveexec_b32 s1, s0
	s_cbranch_execz .LBB1_352
; %bb.345:                              ;   in Loop: Header=BB1_280 Depth=1
	s_clause 0x1
	global_load_b64 v[14:15], v31, s[2:3] offset:32 scope:SCOPE_SYS
	global_load_b64 v[0:1], v31, s[2:3] offset:40
	s_mov_b32 s11, exec_lo
	v_dual_mov_b32 v12, s4 :: v_dual_mov_b32 v13, s5
	s_wait_loadcnt 0x0
	v_and_b32_e32 v1, s5, v1
	v_and_b32_e32 v0, s4, v0
	s_delay_alu instid0(VALU_DEP_1) | instskip(NEXT) | instid1(VALU_DEP_1)
	v_mul_u64_e32 v[0:1], 24, v[0:1]
	v_add_nc_u64_e32 v[10:11], v[22:23], v[0:1]
	global_store_b64 v[10:11], v[14:15], off
	global_wb scope:SCOPE_SYS
	s_wait_storecnt 0x0
	s_wait_xcnt 0x0
	global_atomic_cmpswap_b64 v[2:3], v31, v[12:15], s[2:3] offset:32 th:TH_ATOMIC_RETURN scope:SCOPE_SYS
	s_wait_loadcnt 0x0
	v_cmpx_ne_u64_e64 v[2:3], v[14:15]
	s_cbranch_execz .LBB1_348
; %bb.346:                              ;   in Loop: Header=BB1_280 Depth=1
	s_mov_b32 s12, 0
.LBB1_347:                              ;   Parent Loop BB1_280 Depth=1
                                        ; =>  This Inner Loop Header: Depth=2
	v_dual_mov_b32 v0, s4 :: v_dual_mov_b32 v1, s5
	s_sleep 1
	global_store_b64 v[10:11], v[2:3], off
	global_wb scope:SCOPE_SYS
	s_wait_storecnt 0x0
	s_wait_xcnt 0x0
	global_atomic_cmpswap_b64 v[0:1], v31, v[0:3], s[2:3] offset:32 th:TH_ATOMIC_RETURN scope:SCOPE_SYS
	s_wait_loadcnt 0x0
	v_cmp_eq_u64_e32 vcc_lo, v[0:1], v[2:3]
	v_mov_b64_e32 v[2:3], v[0:1]
	s_or_b32 s12, vcc_lo, s12
	s_delay_alu instid0(SALU_CYCLE_1)
	s_and_not1_b32 exec_lo, exec_lo, s12
	s_cbranch_execnz .LBB1_347
.LBB1_348:                              ;   in Loop: Header=BB1_280 Depth=1
	s_or_b32 exec_lo, exec_lo, s11
	global_load_b64 v[0:1], v31, s[2:3] offset:16
	s_mov_b32 s12, exec_lo
	s_mov_b32 s11, exec_lo
	v_mbcnt_lo_u32_b32 v2, s12, 0
	s_wait_xcnt 0x0
	s_delay_alu instid0(VALU_DEP_1)
	v_cmpx_eq_u32_e32 0, v2
	s_cbranch_execz .LBB1_350
; %bb.349:                              ;   in Loop: Header=BB1_280 Depth=1
	s_bcnt1_i32_b32 s12, s12
	s_delay_alu instid0(SALU_CYCLE_1)
	v_dual_mov_b32 v3, v31 :: v_dual_mov_b32 v2, s12
	global_wb scope:SCOPE_SYS
	s_wait_loadcnt 0x0
	s_wait_storecnt 0x0
	global_atomic_add_u64 v[0:1], v[2:3], off offset:8 scope:SCOPE_SYS
.LBB1_350:                              ;   in Loop: Header=BB1_280 Depth=1
	s_wait_xcnt 0x0
	s_or_b32 exec_lo, exec_lo, s11
	s_wait_loadcnt 0x0
	global_load_b64 v[2:3], v[0:1], off offset:16
	s_wait_loadcnt 0x0
	v_cmp_eq_u64_e32 vcc_lo, 0, v[2:3]
	s_cbranch_vccnz .LBB1_352
; %bb.351:                              ;   in Loop: Header=BB1_280 Depth=1
	global_load_b32 v0, v[0:1], off offset:24
	s_wait_xcnt 0x0
	v_mov_b32_e32 v1, v31
	s_wait_loadcnt 0x0
	v_readfirstlane_b32 s11, v0
	global_wb scope:SCOPE_SYS
	s_wait_storecnt 0x0
	global_store_b64 v[2:3], v[0:1], off scope:SCOPE_SYS
	s_and_b32 m0, s11, 0xffffff
	s_sendmsg sendmsg(MSG_INTERRUPT)
.LBB1_352:                              ;   in Loop: Header=BB1_280 Depth=1
	s_wait_xcnt 0x0
	s_or_b32 exec_lo, exec_lo, s1
	v_add_nc_u64_e32 v[0:1], v[6:7], v[30:31]
	s_branch .LBB1_356
.LBB1_353:                              ;   in Loop: Header=BB1_356 Depth=2
	s_wait_xcnt 0x0
	s_or_b32 exec_lo, exec_lo, s1
	s_delay_alu instid0(VALU_DEP_1)
	v_readfirstlane_b32 s1, v2
	s_cmp_eq_u32 s1, 0
	s_cbranch_scc1 .LBB1_355
; %bb.354:                              ;   in Loop: Header=BB1_356 Depth=2
	s_sleep 1
	s_cbranch_execnz .LBB1_356
	s_branch .LBB1_358
.LBB1_355:                              ;   in Loop: Header=BB1_280 Depth=1
	s_branch .LBB1_358
.LBB1_356:                              ;   Parent Loop BB1_280 Depth=1
                                        ; =>  This Inner Loop Header: Depth=2
	v_mov_b32_e32 v2, 1
	s_and_saveexec_b32 s1, s0
	s_cbranch_execz .LBB1_353
; %bb.357:                              ;   in Loop: Header=BB1_356 Depth=2
	global_load_b32 v2, v[34:35], off offset:20 scope:SCOPE_SYS
	s_wait_loadcnt 0x0
	global_inv scope:SCOPE_SYS
	v_and_b32_e32 v2, 1, v2
	s_branch .LBB1_353
.LBB1_358:                              ;   in Loop: Header=BB1_280 Depth=1
	global_load_b64 v[0:1], v[0:1], off
	s_wait_xcnt 0x0
	s_and_saveexec_b32 s11, s0
	s_cbranch_execz .LBB1_279
; %bb.359:                              ;   in Loop: Header=BB1_280 Depth=1
	s_clause 0x2
	global_load_b64 v[2:3], v31, s[2:3] offset:40
	global_load_b64 v[14:15], v31, s[2:3] offset:24 scope:SCOPE_SYS
	global_load_b64 v[6:7], v31, s[2:3]
	s_wait_loadcnt 0x2
	v_readfirstlane_b32 s12, v2
	v_readfirstlane_b32 s13, v3
	s_add_nc_u64 s[0:1], s[12:13], 1
	s_delay_alu instid0(SALU_CYCLE_1) | instskip(NEXT) | instid1(SALU_CYCLE_1)
	s_add_nc_u64 s[4:5], s[0:1], s[4:5]
	s_cmp_eq_u64 s[4:5], 0
	s_cselect_b32 s1, s1, s5
	s_cselect_b32 s0, s0, s4
	s_delay_alu instid0(SALU_CYCLE_1) | instskip(SKIP_1) | instid1(SALU_CYCLE_1)
	v_dual_mov_b32 v13, s1 :: v_dual_mov_b32 v12, s0
	s_and_b64 s[4:5], s[0:1], s[12:13]
	s_mul_u64 s[4:5], s[4:5], 24
	s_wait_loadcnt 0x0
	v_add_nc_u64_e32 v[2:3], s[4:5], v[6:7]
	global_store_b64 v[2:3], v[14:15], off
	global_wb scope:SCOPE_SYS
	s_wait_storecnt 0x0
	s_wait_xcnt 0x0
	global_atomic_cmpswap_b64 v[12:13], v31, v[12:15], s[2:3] offset:24 th:TH_ATOMIC_RETURN scope:SCOPE_SYS
	s_wait_loadcnt 0x0
	v_cmp_ne_u64_e32 vcc_lo, v[12:13], v[14:15]
	s_and_b32 exec_lo, exec_lo, vcc_lo
	s_cbranch_execz .LBB1_279
; %bb.360:                              ;   in Loop: Header=BB1_280 Depth=1
	s_mov_b32 s4, 0
.LBB1_361:                              ;   Parent Loop BB1_280 Depth=1
                                        ; =>  This Inner Loop Header: Depth=2
	v_dual_mov_b32 v10, s0 :: v_dual_mov_b32 v11, s1
	s_sleep 1
	global_store_b64 v[2:3], v[12:13], off
	global_wb scope:SCOPE_SYS
	s_wait_storecnt 0x0
	s_wait_xcnt 0x0
	global_atomic_cmpswap_b64 v[6:7], v31, v[10:13], s[2:3] offset:24 th:TH_ATOMIC_RETURN scope:SCOPE_SYS
	s_wait_loadcnt 0x0
	v_cmp_eq_u64_e32 vcc_lo, v[6:7], v[12:13]
	v_mov_b64_e32 v[12:13], v[6:7]
	s_or_b32 s4, vcc_lo, s4
	s_delay_alu instid0(SALU_CYCLE_1)
	s_and_not1_b32 exec_lo, exec_lo, s4
	s_cbranch_execnz .LBB1_361
	s_branch .LBB1_279
.LBB1_362:
	s_or_b32 exec_lo, exec_lo, s7
                                        ; implicit-def: $vgpr30
                                        ; implicit-def: $vgpr48
.LBB1_363:
	s_and_not1_saveexec_b32 s6, s6
	s_cbranch_execz .LBB1_391
; %bb.364:
	v_readfirstlane_b32 s0, v48
	v_mov_b64_e32 v[2:3], 0
	s_delay_alu instid0(VALU_DEP_2)
	v_cmp_eq_u32_e64 s0, s0, v48
	s_and_saveexec_b32 s1, s0
	s_cbranch_execz .LBB1_370
; %bb.365:
	v_mov_b32_e32 v4, 0
	s_mov_b32 s4, exec_lo
	global_load_b64 v[8:9], v4, s[2:3] offset:24 scope:SCOPE_SYS
	s_wait_loadcnt 0x0
	global_inv scope:SCOPE_SYS
	s_clause 0x1
	global_load_b64 v[2:3], v4, s[2:3] offset:40
	global_load_b64 v[6:7], v4, s[2:3]
	s_wait_loadcnt 0x1
	v_and_b32_e32 v2, v2, v8
	v_and_b32_e32 v3, v3, v9
	s_delay_alu instid0(VALU_DEP_1) | instskip(SKIP_1) | instid1(VALU_DEP_1)
	v_mul_u64_e32 v[2:3], 24, v[2:3]
	s_wait_loadcnt 0x0
	v_add_nc_u64_e32 v[2:3], v[6:7], v[2:3]
	global_load_b64 v[6:7], v[2:3], off scope:SCOPE_SYS
	s_wait_xcnt 0x0
	s_wait_loadcnt 0x0
	global_atomic_cmpswap_b64 v[2:3], v4, v[6:9], s[2:3] offset:24 th:TH_ATOMIC_RETURN scope:SCOPE_SYS
	s_wait_loadcnt 0x0
	global_inv scope:SCOPE_SYS
	s_wait_xcnt 0x0
	v_cmpx_ne_u64_e64 v[2:3], v[8:9]
	s_cbranch_execz .LBB1_369
; %bb.366:
	s_mov_b32 s5, 0
.LBB1_367:                              ; =>This Inner Loop Header: Depth=1
	s_sleep 1
	s_clause 0x1
	global_load_b64 v[6:7], v4, s[2:3] offset:40
	global_load_b64 v[10:11], v4, s[2:3]
	v_mov_b64_e32 v[8:9], v[2:3]
	s_wait_loadcnt 0x1
	s_delay_alu instid0(VALU_DEP_1) | instskip(NEXT) | instid1(VALU_DEP_2)
	v_and_b32_e32 v2, v6, v8
	v_and_b32_e32 v5, v7, v9
	s_wait_loadcnt 0x0
	s_delay_alu instid0(VALU_DEP_2) | instskip(NEXT) | instid1(VALU_DEP_1)
	v_mad_nc_u64_u32 v[2:3], v2, 24, v[10:11]
	v_mad_u32 v3, v5, 24, v3
	global_load_b64 v[6:7], v[2:3], off scope:SCOPE_SYS
	s_wait_xcnt 0x0
	s_wait_loadcnt 0x0
	global_atomic_cmpswap_b64 v[2:3], v4, v[6:9], s[2:3] offset:24 th:TH_ATOMIC_RETURN scope:SCOPE_SYS
	s_wait_loadcnt 0x0
	global_inv scope:SCOPE_SYS
	v_cmp_eq_u64_e32 vcc_lo, v[2:3], v[8:9]
	s_or_b32 s5, vcc_lo, s5
	s_wait_xcnt 0x0
	s_and_not1_b32 exec_lo, exec_lo, s5
	s_cbranch_execnz .LBB1_367
; %bb.368:
	s_or_b32 exec_lo, exec_lo, s5
.LBB1_369:
	s_delay_alu instid0(SALU_CYCLE_1)
	s_or_b32 exec_lo, exec_lo, s4
.LBB1_370:
	s_delay_alu instid0(SALU_CYCLE_1)
	s_or_b32 exec_lo, exec_lo, s1
	v_readfirstlane_b32 s4, v2
	v_mov_b32_e32 v31, 0
	v_readfirstlane_b32 s5, v3
	s_mov_b32 s1, exec_lo
	s_clause 0x1
	global_load_b64 v[8:9], v31, s[2:3] offset:40
	global_load_b128 v[4:7], v31, s[2:3]
	s_wait_loadcnt 0x1
	v_and_b32_e32 v2, s4, v8
	v_and_b32_e32 v3, s5, v9
	s_delay_alu instid0(VALU_DEP_1) | instskip(SKIP_1) | instid1(VALU_DEP_1)
	v_mul_u64_e32 v[8:9], 24, v[2:3]
	s_wait_loadcnt 0x0
	v_add_nc_u64_e32 v[8:9], v[4:5], v[8:9]
	s_wait_xcnt 0x0
	s_and_saveexec_b32 s7, s0
	s_cbranch_execz .LBB1_372
; %bb.371:
	v_mov_b64_e32 v[12:13], 0x100000002
	v_dual_mov_b32 v10, s1 :: v_dual_mov_b32 v11, v31
	global_store_b128 v[8:9], v[10:13], off offset:8
.LBB1_372:
	s_wait_xcnt 0x0
	s_or_b32 exec_lo, exec_lo, s7
	v_lshlrev_b64_e32 v[2:3], 12, v[2:3]
	s_mov_b32 s12, 0
	v_and_or_b32 v0, 0xffffff1f, v0, 32
	s_mov_b32 s13, s12
	s_mov_b32 s14, s12
	;; [unrolled: 1-line block ×3, first 2 shown]
	v_mov_b64_e32 v[10:11], s[12:13]
	v_add_nc_u64_e32 v[6:7], v[6:7], v[2:3]
	v_mov_b64_e32 v[12:13], s[14:15]
	v_dual_mov_b32 v2, v31 :: v_dual_mov_b32 v3, v31
	s_delay_alu instid0(VALU_DEP_3) | instskip(NEXT) | instid1(VALU_DEP_4)
	v_readfirstlane_b32 s10, v6
	v_readfirstlane_b32 s11, v7
	s_clause 0x3
	global_store_b128 v30, v[0:3], s[10:11]
	global_store_b128 v30, v[10:13], s[10:11] offset:16
	global_store_b128 v30, v[10:13], s[10:11] offset:32
	global_store_b128 v30, v[10:13], s[10:11] offset:48
	s_wait_xcnt 0x0
	s_and_saveexec_b32 s1, s0
	s_cbranch_execz .LBB1_380
; %bb.373:
	v_dual_mov_b32 v10, 0 :: v_dual_mov_b32 v13, s5
	s_mov_b32 s7, exec_lo
	s_clause 0x1
	global_load_b64 v[14:15], v10, s[2:3] offset:32 scope:SCOPE_SYS
	global_load_b64 v[0:1], v10, s[2:3] offset:40
	s_wait_loadcnt 0x0
	v_dual_mov_b32 v12, s4 :: v_dual_bitop2_b32 v1, s5, v1 bitop3:0x40
	v_and_b32_e32 v0, s4, v0
	s_delay_alu instid0(VALU_DEP_1) | instskip(NEXT) | instid1(VALU_DEP_1)
	v_mul_u64_e32 v[0:1], 24, v[0:1]
	v_add_nc_u64_e32 v[4:5], v[4:5], v[0:1]
	global_store_b64 v[4:5], v[14:15], off
	global_wb scope:SCOPE_SYS
	s_wait_storecnt 0x0
	s_wait_xcnt 0x0
	global_atomic_cmpswap_b64 v[2:3], v10, v[12:15], s[2:3] offset:32 th:TH_ATOMIC_RETURN scope:SCOPE_SYS
	s_wait_loadcnt 0x0
	v_cmpx_ne_u64_e64 v[2:3], v[14:15]
	s_cbranch_execz .LBB1_376
; %bb.374:
	s_mov_b32 s10, 0
.LBB1_375:                              ; =>This Inner Loop Header: Depth=1
	v_dual_mov_b32 v0, s4 :: v_dual_mov_b32 v1, s5
	s_sleep 1
	global_store_b64 v[4:5], v[2:3], off
	global_wb scope:SCOPE_SYS
	s_wait_storecnt 0x0
	s_wait_xcnt 0x0
	global_atomic_cmpswap_b64 v[0:1], v10, v[0:3], s[2:3] offset:32 th:TH_ATOMIC_RETURN scope:SCOPE_SYS
	s_wait_loadcnt 0x0
	v_cmp_eq_u64_e32 vcc_lo, v[0:1], v[2:3]
	v_mov_b64_e32 v[2:3], v[0:1]
	s_or_b32 s10, vcc_lo, s10
	s_delay_alu instid0(SALU_CYCLE_1)
	s_and_not1_b32 exec_lo, exec_lo, s10
	s_cbranch_execnz .LBB1_375
.LBB1_376:
	s_or_b32 exec_lo, exec_lo, s7
	v_mov_b32_e32 v3, 0
	s_mov_b32 s10, exec_lo
	s_mov_b32 s7, exec_lo
	v_mbcnt_lo_u32_b32 v2, s10, 0
	global_load_b64 v[0:1], v3, s[2:3] offset:16
	s_wait_xcnt 0x0
	v_cmpx_eq_u32_e32 0, v2
	s_cbranch_execz .LBB1_378
; %bb.377:
	s_bcnt1_i32_b32 s10, s10
	s_delay_alu instid0(SALU_CYCLE_1)
	v_mov_b32_e32 v2, s10
	global_wb scope:SCOPE_SYS
	s_wait_loadcnt 0x0
	s_wait_storecnt 0x0
	global_atomic_add_u64 v[0:1], v[2:3], off offset:8 scope:SCOPE_SYS
.LBB1_378:
	s_wait_xcnt 0x0
	s_or_b32 exec_lo, exec_lo, s7
	s_wait_loadcnt 0x0
	global_load_b64 v[2:3], v[0:1], off offset:16
	s_wait_loadcnt 0x0
	v_cmp_eq_u64_e32 vcc_lo, 0, v[2:3]
	s_cbranch_vccnz .LBB1_380
; %bb.379:
	global_load_b32 v0, v[0:1], off offset:24
	s_wait_xcnt 0x0
	v_mov_b32_e32 v1, 0
	s_wait_loadcnt 0x0
	v_readfirstlane_b32 s7, v0
	global_wb scope:SCOPE_SYS
	s_wait_storecnt 0x0
	global_store_b64 v[2:3], v[0:1], off scope:SCOPE_SYS
	s_and_b32 m0, s7, 0xffffff
	s_sendmsg sendmsg(MSG_INTERRUPT)
.LBB1_380:
	s_wait_xcnt 0x0
	s_or_b32 exec_lo, exec_lo, s1
	v_add_nc_u64_e32 v[0:1], v[6:7], v[30:31]
	s_branch .LBB1_384
.LBB1_381:                              ;   in Loop: Header=BB1_384 Depth=1
	s_wait_xcnt 0x0
	s_or_b32 exec_lo, exec_lo, s1
	s_delay_alu instid0(VALU_DEP_1)
	v_readfirstlane_b32 s1, v2
	s_cmp_eq_u32 s1, 0
	s_cbranch_scc1 .LBB1_383
; %bb.382:                              ;   in Loop: Header=BB1_384 Depth=1
	s_sleep 1
	s_cbranch_execnz .LBB1_384
	s_branch .LBB1_386
.LBB1_383:
	s_branch .LBB1_386
.LBB1_384:                              ; =>This Inner Loop Header: Depth=1
	v_mov_b32_e32 v2, 1
	s_and_saveexec_b32 s1, s0
	s_cbranch_execz .LBB1_381
; %bb.385:                              ;   in Loop: Header=BB1_384 Depth=1
	global_load_b32 v2, v[8:9], off offset:20 scope:SCOPE_SYS
	s_wait_loadcnt 0x0
	global_inv scope:SCOPE_SYS
	v_and_b32_e32 v2, 1, v2
	s_branch .LBB1_381
.LBB1_386:
	global_load_b64 v[0:1], v[0:1], off
	s_wait_xcnt 0x0
	s_and_saveexec_b32 s7, s0
	s_cbranch_execz .LBB1_390
; %bb.387:
	v_mov_b32_e32 v8, 0
	s_clause 0x2
	global_load_b64 v[2:3], v8, s[2:3] offset:40
	global_load_b64 v[12:13], v8, s[2:3] offset:24 scope:SCOPE_SYS
	global_load_b64 v[4:5], v8, s[2:3]
	s_wait_loadcnt 0x2
	v_readfirstlane_b32 s10, v2
	v_readfirstlane_b32 s11, v3
	s_add_nc_u64 s[0:1], s[10:11], 1
	s_delay_alu instid0(SALU_CYCLE_1) | instskip(NEXT) | instid1(SALU_CYCLE_1)
	s_add_nc_u64 s[4:5], s[0:1], s[4:5]
	s_cmp_eq_u64 s[4:5], 0
	s_cselect_b32 s1, s1, s5
	s_cselect_b32 s0, s0, s4
	v_mov_b32_e32 v11, s1
	s_and_b64 s[4:5], s[0:1], s[10:11]
	v_mov_b32_e32 v10, s0
	s_mul_u64 s[4:5], s[4:5], 24
	s_wait_loadcnt 0x0
	v_add_nc_u64_e32 v[6:7], s[4:5], v[4:5]
	global_store_b64 v[6:7], v[12:13], off
	global_wb scope:SCOPE_SYS
	s_wait_storecnt 0x0
	s_wait_xcnt 0x0
	global_atomic_cmpswap_b64 v[4:5], v8, v[10:13], s[2:3] offset:24 th:TH_ATOMIC_RETURN scope:SCOPE_SYS
	s_wait_loadcnt 0x0
	v_cmp_ne_u64_e32 vcc_lo, v[4:5], v[12:13]
	s_and_b32 exec_lo, exec_lo, vcc_lo
	s_cbranch_execz .LBB1_390
; %bb.388:
	s_mov_b32 s4, 0
.LBB1_389:                              ; =>This Inner Loop Header: Depth=1
	v_dual_mov_b32 v2, s0 :: v_dual_mov_b32 v3, s1
	s_sleep 1
	global_store_b64 v[6:7], v[4:5], off
	global_wb scope:SCOPE_SYS
	s_wait_storecnt 0x0
	s_wait_xcnt 0x0
	global_atomic_cmpswap_b64 v[2:3], v8, v[2:5], s[2:3] offset:24 th:TH_ATOMIC_RETURN scope:SCOPE_SYS
	s_wait_loadcnt 0x0
	v_cmp_eq_u64_e32 vcc_lo, v[2:3], v[4:5]
	v_mov_b64_e32 v[4:5], v[2:3]
	s_or_b32 s4, vcc_lo, s4
	s_delay_alu instid0(SALU_CYCLE_1)
	s_and_not1_b32 exec_lo, exec_lo, s4
	s_cbranch_execnz .LBB1_389
.LBB1_390:
	s_or_b32 exec_lo, exec_lo, s7
.LBB1_391:
	s_delay_alu instid0(SALU_CYCLE_1)
	s_or_b32 exec_lo, exec_lo, s6
	s_get_pc_i64 s[0:1]
	s_add_nc_u64 s[0:1], s[0:1], .str.3@rel64+4
	s_get_pc_i64 s[2:3]
	s_add_nc_u64 s[2:3], s[2:3], .str.3@rel64+32
	v_dual_mov_b32 v2, s0 :: v_dual_mov_b32 v3, s1
	s_sub_co_i32 s4, s2, s0
	v_mov_b32_e32 v6, 1
	s_ashr_i32 s5, s4, 31
	s_delay_alu instid0(SALU_CYCLE_1) | instskip(SKIP_2) | instid1(SALU_CYCLE_1)
	v_dual_mov_b32 v4, s4 :: v_dual_mov_b32 v5, s5
	s_get_pc_i64 s[2:3]
	s_add_nc_u64 s[2:3], s[2:3], __ockl_fprintf_append_string_n@rel64+4
	s_swap_pc_i64 s[30:31], s[2:3]
	s_trap 2
.Lfunc_end1:
	.size	__assert_fail, .Lfunc_end1-__assert_fail
                                        ; -- End function
	.set .L__assert_fail.num_vgpr, max(49, .L__ockl_fprintf_append_string_n.num_vgpr)
	.set .L__assert_fail.num_agpr, max(0, .L__ockl_fprintf_append_string_n.num_agpr)
	.set .L__assert_fail.numbered_sgpr, max(34, .L__ockl_fprintf_append_string_n.numbered_sgpr)
	.set .L__assert_fail.num_named_barrier, max(0, .L__ockl_fprintf_append_string_n.num_named_barrier)
	.set .L__assert_fail.private_seg_size, 64+max(.L__ockl_fprintf_append_string_n.private_seg_size)
	.set .L__assert_fail.uses_vcc, or(1, .L__ockl_fprintf_append_string_n.uses_vcc)
	.set .L__assert_fail.uses_flat_scratch, or(1, .L__ockl_fprintf_append_string_n.uses_flat_scratch)
	.set .L__assert_fail.has_dyn_sized_stack, or(0, .L__ockl_fprintf_append_string_n.has_dyn_sized_stack)
	.set .L__assert_fail.has_recursion, or(0, .L__ockl_fprintf_append_string_n.has_recursion)
	.set .L__assert_fail.has_indirect_call, or(0, .L__ockl_fprintf_append_string_n.has_indirect_call)
	.section	.AMDGPU.csdata,"",@progbits
; Function info:
; codeLenInByte = 15740
; TotalNumSgprs: 36
; NumVgprs: 49
; ScratchSize: 64
; MemoryBound: 0
	.text
	.p2align	2                               ; -- Begin function _ZN12_GLOBAL__N_17runRingI14__hip_fp8_e4m313FuncPreMulSumIS1_E11ProtoSimpleILi1ELi1ELi0ELi1ELi0ELi0EELi0ELi1ELi0EEEviiP15ncclDevWorkColl
	.type	_ZN12_GLOBAL__N_17runRingI14__hip_fp8_e4m313FuncPreMulSumIS1_E11ProtoSimpleILi1ELi1ELi0ELi1ELi0ELi0EELi0ELi1ELi0EEEviiP15ncclDevWorkColl,@function
_ZN12_GLOBAL__N_17runRingI14__hip_fp8_e4m313FuncPreMulSumIS1_E11ProtoSimpleILi1ELi1ELi0ELi1ELi0ELi0EELi0ELi1ELi0EEEviiP15ncclDevWorkColl: ; @_ZN12_GLOBAL__N_17runRingI14__hip_fp8_e4m313FuncPreMulSumIS1_E11ProtoSimpleILi1ELi1ELi0ELi1ELi0ELi0EELi0ELi1ELi0EEEviiP15ncclDevWorkColl
; %bb.0:
	s_wait_loadcnt_dscnt 0x0
	s_wait_kmcnt 0x0
	s_mov_b32 s47, s33
	s_mov_b32 s33, s32
	s_or_saveexec_b32 s0, -1
	scratch_store_b32 off, v88, s33 offset:96 ; 4-byte Folded Spill
	s_wait_xcnt 0x0
	s_mov_b32 exec_lo, s0
	s_addk_co_i32 s32, 0x70
	s_clause 0x17
	scratch_store_b32 off, v40, s33 offset:92
	; meta instruction
	scratch_store_b32 off, v41, s33 offset:88
	; meta instruction
	;; [unrolled: 2-line block ×23, first 2 shown]
	scratch_store_b32 off, v79, s33
	v_writelane_b32 v88, s30, 0
	v_writelane_b32 v88, s31, 1
	s_trap 2
	ds_load_b64 v[34:35], v0
	ds_load_b32 v9, v0
	flat_load_b64 v[6:7], v[2:3]
                                        ; implicit-def: $vgpr28_vgpr29
                                        ; implicit-def: $vgpr4_vgpr5
                                        ; implicit-def: $vgpr14_vgpr15
	s_wait_dscnt 0x2
	v_readfirstlane_b32 s0, v34
	v_readfirstlane_b32 s1, v35
	flat_load_u16 v25, v[2:3] offset:8
	flat_load_b32 v21, v35, s[0:1] offset:-4 scale_offset
	s_wait_xcnt 0x0
	s_mov_b32 s0, exec_lo
	s_wait_loadcnt_dscnt 0x202
	v_and_b32_e32 v8, 0xff, v6
	v_mov_b32_e32 v24, v7
	s_delay_alu instid0(VALU_DEP_2)
	v_cmpx_ne_u32_e64 v9, v8
	s_xor_b32 s0, exec_lo, s0
	s_cbranch_execz .LBB2_6
; %bb.1:
	v_bfe_u32 v10, v6, 8, 8
	v_not_b32_e32 v8, v8
	s_mov_b32 s1, exec_lo
                                        ; implicit-def: $vgpr28_vgpr29
                                        ; implicit-def: $vgpr4_vgpr5
                                        ; implicit-def: $vgpr14_vgpr15
	s_delay_alu instid0(VALU_DEP_2)
	v_cmpx_ne_u32_e64 v9, v10
	s_xor_b32 s1, exec_lo, s1
	s_cbranch_execz .LBB2_3
; %bb.2:
	s_clause 0x1
	flat_load_b128 v[4:7], v[2:3] offset:72
	flat_load_b64 v[10:11], v[2:3] offset:96
	v_add_nc_u32_e32 v8, v9, v8
	s_wait_loadcnt_dscnt 0x101
	s_delay_alu instid0(VALU_DEP_1) | instskip(SKIP_3) | instid1(VALU_DEP_3)
	v_mad_nc_u64_u32 v[14:15], v6, v8, v[4:5]
	v_ashrrev_i32_e32 v5, 31, v8
	s_wait_loadcnt_dscnt 0x0
	v_lshrrev_b64 v[28:29], 12, v[10:11]
                                        ; implicit-def: $vgpr10
	v_mad_u32 v4, v7, v8, v15
                                        ; implicit-def: $vgpr8
	s_delay_alu instid0(VALU_DEP_1)
	v_mad_u32 v15, v6, v5, v4
	v_mov_b64_e32 v[4:5], v[6:7]
.LBB2_3:
	s_wait_xcnt 0x0
	s_and_not1_saveexec_b32 s1, s1
	s_cbranch_execz .LBB2_5
; %bb.4:
	s_clause 0x1
	flat_load_b128 v[14:17], v[2:3] offset:72
	flat_load_b128 v[4:7], v[2:3] offset:88
	s_wait_loadcnt_dscnt 0x0
	v_dual_add_nc_u32 v6, v10, v8 :: v_dual_lshrrev_b32 v28, 1, v7
	s_delay_alu instid0(VALU_DEP_1) | instskip(NEXT) | instid1(VALU_DEP_1)
	v_mad_nc_u64_u32 v[14:15], v16, v6, v[14:15]
	v_mad_u32 v8, v17, v6, v15
	v_ashrrev_i32_e32 v6, 31, v6
	s_delay_alu instid0(VALU_DEP_1)
	v_mad_u32 v15, v16, v6, v8
.LBB2_5:
	s_wait_xcnt 0x0
	s_or_b32 exec_lo, exec_lo, s1
.LBB2_6:
	s_and_not1_saveexec_b32 s0, s0
	s_cbranch_execz .LBB2_8
; %bb.7:
	s_clause 0x1
	flat_load_b64 v[6:7], v[2:3] offset:96
	flat_load_b64 v[4:5], v[2:3] offset:72
	v_mov_b64_e32 v[14:15], 0
	s_wait_loadcnt_dscnt 0x101
	v_lshlrev_b64_e32 v[28:29], 9, v[6:7]
.LBB2_8:
	s_wait_xcnt 0x0
	s_or_b32 exec_lo, exec_lo, s0
	s_trap 2
	ds_load_b64 v[6:7], v0
	s_mov_b32 s1, 0
	s_mov_b32 s2, exec_lo
	s_wait_dscnt 0x0
	v_cmp_ne_u32_e32 vcc_lo, -1, v6
	v_cndmask_b32_e64 v38, 0, 1, vcc_lo
	v_cmp_ne_u32_e32 vcc_lo, -1, v7
	s_delay_alu instid0(VALU_DEP_2) | instskip(NEXT) | instid1(VALU_DEP_1)
	v_add_co_ci_u32_e64 v6, null, 0, v38, vcc_lo
	v_lshlrev_b32_e32 v7, 1, v6
	s_delay_alu instid0(VALU_DEP_1)
	v_cmpx_le_u32_e64 v7, v1
	s_xor_b32 s18, exec_lo, s2
	s_cbranch_execnz .LBB2_9
; %bb.6694:
	s_add_pc_i64 .LBB2_6691-.Lpost_addpc0
.Lpost_addpc0:
.LBB2_9:
	s_clause 0x1
	flat_load_b128 v[10:13], v[2:3] offset:16
	flat_load_b64 v[36:37], v[2:3] offset:104
	s_trap 2
	s_load_b32 s0, s[8:9], 0x0
	s_bfe_u32 s2, ttmp6, 0x4000c
	s_and_b32 s3, ttmp6, 15
	s_add_co_i32 s2, s2, 1
	s_getreg_b32 s4, hwreg(HW_REG_IB_STS2, 6, 4)
	s_mul_i32 s2, ttmp9, s2
	v_dual_mov_b32 v2, 0 :: v_dual_mov_b32 v102, 4
	s_add_co_i32 s3, s3, s2
	s_cmp_eq_u32 s4, 0
	s_cselect_b32 s2, ttmp9, s3
	s_wait_kmcnt 0x0
	s_cmp_lt_u32 s2, s0
	s_cselect_b32 s0, 12, 18
	s_delay_alu instid0(SALU_CYCLE_1)
	s_add_nc_u64 s[0:1], s[8:9], s[0:1]
	global_load_u16 v30, v2, s[0:1]
	s_wait_xcnt 0x0
	ds_load_b32 v2, v0
	s_mov_b32 s1, exec_lo
	s_wait_dscnt 0x0
	v_readfirstlane_b32 s19, v2
	v_cmpx_ge_u32_e64 v0, v38
	s_cbranch_execz .LBB2_19
; %bb.10:
	v_cmp_ge_u32_e64 s0, v0, v6
                                        ; implicit-def: $vgpr102
	s_and_saveexec_b32 s2, s0
	s_delay_alu instid0(SALU_CYCLE_1)
	s_xor_b32 s0, exec_lo, s2
	s_cbranch_execz .LBB2_16
; %bb.11:
	v_cndmask_b32_e64 v2, 0, 1, vcc_lo
	s_mov_b32 s2, exec_lo
	s_delay_alu instid0(VALU_DEP_1) | instskip(NEXT) | instid1(VALU_DEP_1)
	v_sub_nc_u32_e32 v2, v1, v2
	v_cmpx_ge_u32_e64 v0, v2
	s_xor_b32 s2, exec_lo, s2
; %bb.12:
                                        ; implicit-def: $vgpr6
; %bb.13:
	s_delay_alu instid0(SALU_CYCLE_1)
	s_or_saveexec_b32 s2, s2
	v_mov_b32_e32 v102, 16
	s_xor_b32 exec_lo, exec_lo, s2
; %bb.14:
	v_sub_nc_u32_e32 v2, v1, v6
	s_delay_alu instid0(VALU_DEP_1)
	v_cmp_lt_i32_e32 vcc_lo, v0, v2
	v_cndmask_b32_e64 v102, 32, 0, vcc_lo
; %bb.15:
	s_or_b32 exec_lo, exec_lo, s2
.LBB2_16:
	s_and_not1_saveexec_b32 s0, s0
; %bb.17:
	v_mov_b32_e32 v102, 8
; %bb.18:
	s_or_b32 exec_lo, exec_lo, s0
.LBB2_19:
	s_delay_alu instid0(SALU_CYCLE_1) | instskip(NEXT) | instid1(VALU_DEP_1)
	s_or_b32 exec_lo, exec_lo, s1
	v_dual_mov_b32 v29, -1 :: v_dual_bitop2_b32 v2, 36, v102 bitop3:0x40
	s_delay_alu instid0(VALU_DEP_1)
	v_cmp_ne_u32_e32 vcc_lo, 0, v2
	s_and_saveexec_b32 s0, vcc_lo
	s_cbranch_execz .LBB2_21
; %bb.20:
	s_trap 2
	ds_load_b32 v29, v0
.LBB2_21:
	s_or_b32 exec_lo, exec_lo, s0
	v_and_b32_e32 v2, 24, v102
	s_mov_b32 s1, exec_lo
	s_delay_alu instid0(VALU_DEP_1)
	v_cmpx_ne_u32_e32 0, v2
	s_cbranch_execz .LBB2_23
; %bb.22:
	s_trap 2
	s_wait_dscnt 0x0
	ds_load_b32 v29, v0
.LBB2_23:
	s_or_b32 exec_lo, exec_lo, s1
	s_wait_loadcnt 0x4
	v_lshrrev_b64 v[2:3], 31, v[24:25]
	v_mov_b64_e32 v[16:17], 0
	v_mov_b64_e32 v[6:7], 0
                                        ; implicit-def: $vgpr20
                                        ; implicit-def: $vgpr26_vgpr27
                                        ; implicit-def: $vgpr22_vgpr23
                                        ; implicit-def: $vgpr18_vgpr19
	s_delay_alu instid0(VALU_DEP_3) | instskip(NEXT) | instid1(VALU_DEP_1)
	v_and_b32_e32 v2, 3, v2
	v_and_b32_e32 v25, 0xffff, v2
                                        ; implicit-def: $vgpr2_vgpr3
	s_and_saveexec_b32 s0, vcc_lo
	s_cbranch_execz .LBB2_33
; %bb.24:
	s_trap 2
	ds_load_b64 v[2:3], v0
	s_wait_dscnt 0x0
	v_readfirstlane_b32 s2, v2
	v_readfirstlane_b32 s3, v3
	flat_load_b64 v[2:3], v29, s[2:3] scale_offset
	s_wait_loadcnt_dscnt 0x0
	v_mad_nc_u64_u32 v[32:33], 0xa8, v25, v[2:3]
	flat_load_b32 v2, v[32:33] offset:640
	s_wait_loadcnt_dscnt 0x0
	v_cmp_eq_u32_e32 vcc_lo, 1, v2
                                        ; implicit-def: $vgpr2_vgpr3
	s_wait_xcnt 0x0
	s_and_saveexec_b32 s1, vcc_lo
	s_cbranch_execz .LBB2_26
; %bb.25:
	flat_load_b64 v[2:3], v[32:33] offset:648
	v_or_b32_e32 v102, 0x2000, v102
	s_wait_loadcnt_dscnt 0x0
	flat_load_b64 v[6:7], v[2:3]
	s_trap 2
	s_wait_loadcnt_dscnt 0x0
	ds_store_b64 v0, v[6:7]
	flat_load_b64 v[6:7], v[2:3] offset:8
	s_wait_loadcnt_dscnt 0x0
	ds_store_b64 v0, v[6:7]
	flat_load_b64 v[6:7], v[2:3] offset:16
	s_wait_loadcnt_dscnt 0x0
	ds_store_b64 v0, v[6:7]
.LBB2_26:
	s_wait_xcnt 0x0
	s_or_b32 exec_lo, exec_lo, s1
	flat_load_b64 v[8:9], v[32:33] offset:608
	v_and_b32_e32 v6, 32, v102
	s_mov_b32 s1, exec_lo
                                        ; implicit-def: $vgpr18_vgpr19
	s_wait_xcnt 0x0
	s_delay_alu instid0(VALU_DEP_1)
	v_cmpx_ne_u32_e32 0, v6
	s_cbranch_execz .LBB2_28
; %bb.27:
	flat_load_b64 v[18:19], v[32:33] offset:560
	global_wb scope:SCOPE_SYS
	s_wait_storecnt 0x0
	s_wait_xcnt 0x0
	s_wait_loadcnt_dscnt 0x0
	flat_store_b64 v[18:19], v[8:9] scope:SCOPE_SYS
.LBB2_28:
	s_wait_xcnt 0x0
	s_or_b32 exec_lo, exec_lo, s1
	v_and_b32_e32 v20, 4, v102
	v_add_nc_u64_e32 v[16:17], 0x1f8, v[32:33]
	v_mov_b64_e32 v[6:7], 0
                                        ; implicit-def: $vgpr26_vgpr27
                                        ; implicit-def: $vgpr22_vgpr23
	s_delay_alu instid0(VALU_DEP_3)
	v_cmp_ne_u32_e32 vcc_lo, 0, v20
                                        ; implicit-def: $vgpr20
	s_and_saveexec_b32 s1, vcc_lo
	s_cbranch_execz .LBB2_32
; %bb.29:
	v_and_b32_e32 v6, 0x800, v102
	s_mov_b32 s2, exec_lo
	s_delay_alu instid0(VALU_DEP_1)
	v_cmpx_eq_u32_e32 0, v6
	s_cbranch_execz .LBB2_31
; %bb.30:
	s_trap 2
	ds_store_b64 v0, v[16:17]
.LBB2_31:
	s_or_b32 exec_lo, exec_lo, s2
	flat_load_b64 v[18:19], v[32:33] offset:552
	s_wait_loadcnt_dscnt 0x0
	flat_load_b64 v[26:27], v[18:19] scope:SCOPE_SYS
	s_clause 0x2
	flat_load_b64 v[6:7], v[32:33] offset:600
	flat_load_b32 v20, v[32:33] offset:576
	flat_load_b64 v[22:23], v[32:33] offset:520
	s_wait_xcnt 0x0
	v_or_b32_e32 v32, 0x100, v102
	s_wait_loadcnt_dscnt 0x202
	v_cmp_eq_u64_e32 vcc_lo, 0, v[6:7]
	s_delay_alu instid0(VALU_DEP_2)
	v_cndmask_b32_e32 v102, v32, v102, vcc_lo
.LBB2_32:
	s_or_b32 exec_lo, exec_lo, s1
.LBB2_33:
	s_delay_alu instid0(SALU_CYCLE_1) | instskip(NEXT) | instid1(VALU_DEP_1)
	s_or_b32 exec_lo, exec_lo, s0
	v_and_b32_e32 v32, 24, v102
	s_delay_alu instid0(VALU_DEP_1)
	v_cmp_ne_u32_e32 vcc_lo, 0, v32
                                        ; implicit-def: $vgpr32_vgpr33
	s_and_saveexec_b32 s0, vcc_lo
	s_cbranch_execz .LBB2_41
; %bb.34:
	s_trap 2
	ds_load_b64 v[6:7], v0
	s_mov_b32 s1, exec_lo
                                        ; implicit-def: $vgpr32_vgpr33
	s_wait_dscnt 0x0
	v_readfirstlane_b32 s2, v6
	v_readfirstlane_b32 s3, v7
	flat_load_b64 v[6:7], v29, s[2:3] scale_offset
	s_wait_loadcnt_dscnt 0x0
	v_mad_nc_u64_u32 v[16:17], 0xa8, v25, v[6:7]
	v_or_b32_e32 v25, 0x100, v102
	flat_load_b128 v[6:9], v[16:17] offset:96
	s_wait_loadcnt_dscnt 0x0
	v_cmp_eq_u64_e32 vcc_lo, 0, v[6:7]
	v_cndmask_b32_e32 v102, v25, v102, vcc_lo
	s_delay_alu instid0(VALU_DEP_1) | instskip(SKIP_1) | instid1(VALU_DEP_1)
	v_and_b32_e32 v25, 16, v102
	s_wait_xcnt 0x0
	v_cmpx_ne_u32_e32 0, v25
	s_cbranch_execz .LBB2_36
; %bb.35:
	s_clause 0x2
	flat_load_b64 v[18:19], v[16:17] offset:48
	flat_load_b64 v[32:33], v[16:17] offset:120
	;; [unrolled: 1-line block ×3, first 2 shown]
.LBB2_36:
	s_wait_xcnt 0x0
	s_or_b32 exec_lo, exec_lo, s1
	v_and_b32_e32 v25, 8, v102
	s_mov_b32 s1, exec_lo
	s_delay_alu instid0(VALU_DEP_1)
	v_cmpx_ne_u32_e32 0, v25
	s_cbranch_execz .LBB2_40
; %bb.37:
	s_wait_loadcnt_dscnt 0x202
	v_and_b32_e32 v18, 0x800, v102
	s_mov_b32 s2, exec_lo
	s_delay_alu instid0(VALU_DEP_1)
	v_cmpx_eq_u32_e32 0, v18
	s_cbranch_execz .LBB2_39
; %bb.38:
	s_trap 2
	ds_store_b64 v0, v[16:17]
.LBB2_39:
	s_or_b32 exec_lo, exec_lo, s2
	flat_load_b64 v[18:19], v[16:17] offset:56
	s_wait_loadcnt_dscnt 0x0
	flat_load_b64 v[26:27], v[18:19] scope:SCOPE_SYS
	s_clause 0x1
	flat_load_b32 v20, v[16:17] offset:72
	flat_load_b64 v[22:23], v[16:17] offset:16
.LBB2_40:
	s_wait_xcnt 0x0
	s_or_b32 exec_lo, exec_lo, s1
.LBB2_41:
	s_delay_alu instid0(SALU_CYCLE_1)
	s_or_b32 exec_lo, exec_lo, s0
	v_cmp_eq_u32_e64 s0, 0, v0
	s_and_saveexec_b32 s1, s0
	s_cbranch_execz .LBB2_43
; %bb.42:
	v_mov_b64_e32 v[48:49], 0
	s_wait_loadcnt 0x2
	ds_store_2addr_b64 v0, v[12:13], v[10:11] offset1:1
	s_trap 2
	ds_store_b64 v0, v[48:49]
	s_wait_loadcnt 0x1
	ds_store_b64 v0, v[36:37]
.LBB2_43:
	s_or_b32 exec_lo, exec_lo, s1
	s_wait_loadcnt 0x2
	v_bfe_u32 v10, v24, 1, 30
	v_and_b32_e32 v28, 0x3ffffe00, v28
	s_wait_dscnt 0x0
	v_mov_b32_e32 v29, 0
	s_wait_loadcnt 0x0
	v_and_b32_e32 v103, 0xffff, v30
                                        ; implicit-def: $vgpr24_vgpr25
	s_mov_b32 s1, exec_lo
	v_cmpx_ne_u32_e64 v21, v10
	s_xor_b32 s20, exec_lo, s1
	s_cbranch_execnz .LBB2_44
; %bb.6696:
	s_add_pc_i64 .LBB2_5081-.Lpost_addpc1
.Lpost_addpc1:
.LBB2_44:
                                        ; implicit-def: $vgpr24_vgpr25
	s_mov_b32 s1, exec_lo
	v_cmpx_ne_u32_e64 v34, v10
	s_xor_b32 s13, exec_lo, s1
	s_cbranch_execz .LBB2_2568
; %bb.45:
	v_mov_b64_e32 v[24:25], 0
	s_mov_b32 s21, exec_lo
	v_cmpx_ne_u64_e32 0, v[4:5]
	s_cbranch_execz .LBB2_2567
; %bb.46:
	v_dual_ashrrev_i32 v21, 31, v20 :: v_dual_bitop2_b32 v10, 31, v31 bitop3:0x40
	v_dual_mov_b32 v35, 0 :: v_dual_bitop2_b32 v112, 31, v0 bitop3:0x40
	v_lshrrev_b32_e32 v36, 5, v1
	s_ashr_i32 s2, s19, 31
	v_cmp_eq_u32_e32 vcc_lo, 32, v1
	s_lshr_b32 s2, s2, 24
	v_mov_b64_e32 v[54:55], 0
	v_cmp_eq_u64_e64 s7, 0, v[32:33]
	v_mov_b64_e32 v[64:65], 0
	v_mov_b64_e32 v[24:25], 0
	v_cmp_ge_u32_e64 s1, v0, v1
	s_add_co_i32 s10, s19, s2
	v_cmp_ne_u32_e64 s2, 32, v1
	v_cmp_ne_u32_e64 s3, v1, v103
	v_cmp_eq_u32_e64 s4, 0, v10
	v_mov_b32_e32 v37, v35
	v_cmp_le_u32_e64 s5, v112, v38
	v_cmp_lt_u32_e64 s6, v112, v38
	v_dual_lshrrev_b32 v113, 5, v0 :: v_dual_lshlrev_b32 v38, 4, v0
	v_dual_mov_b32 v39, v35 :: v_dual_lshlrev_b32 v48, 9, v36
	v_dual_mov_b32 v49, v35 :: v_dual_lshlrev_b32 v50, 8, v36
	v_dual_mov_b32 v51, v35 :: v_dual_mov_b32 v53, v35
	v_and_b32_e32 v52, 0x1fe0, v1
	v_dual_mov_b32 v114, 1 :: v_dual_mov_b32 v115, 0x90
	v_bfrev_b32_e32 v116, 1
	s_mov_b64 s[14:15], 0xffffffffffffff
	s_mov_b64 s[16:17], 0x100000000000000
	s_ashr_i32 s23, s10, 8
	s_mov_b32 s22, 0
	s_xor_b32 s24, vcc_lo, -1
	s_trap 2
	s_branch .LBB2_49
.LBB2_47:                               ;   in Loop: Header=BB2_49 Depth=1
	s_wait_xcnt 0x0
	s_or_b32 exec_lo, exec_lo, s10
.LBB2_48:                               ;   in Loop: Header=BB2_49 Depth=1
	s_delay_alu instid0(SALU_CYCLE_1) | instskip(SKIP_1) | instid1(VALU_DEP_1)
	s_or_b32 exec_lo, exec_lo, s11
	v_add_nc_u64_e32 v[64:65], v[64:65], v[28:29]
	v_cmp_ge_u64_e32 vcc_lo, v[64:65], v[4:5]
	s_or_b32 s22, vcc_lo, s22
	s_delay_alu instid0(SALU_CYCLE_1)
	s_and_not1_b32 exec_lo, exec_lo, s22
	s_cbranch_execz .LBB2_2566
.LBB2_49:                               ; =>This Loop Header: Depth=1
                                        ;     Child Loop BB2_57 Depth 2
                                        ;     Child Loop BB2_86 Depth 2
	;; [unrolled: 1-line block ×10, first 2 shown]
	v_sub_nc_u64_e32 v[10:11], v[4:5], v[64:65]
	s_delay_alu instid0(VALU_DEP_1) | instskip(NEXT) | instid1(VALU_DEP_1)
	v_min_u64 v[66:67], v[28:29], v[10:11]
	v_add_nc_u32_e32 v10, 15, v66
	s_delay_alu instid0(VALU_DEP_2) | instskip(NEXT) | instid1(VALU_DEP_2)
	v_cmp_eq_u64_e32 vcc_lo, 0, v[66:67]
	v_and_b32_e32 v10, 0x7ffffff0, v10
	s_or_b32 s25, s1, vcc_lo
	s_delay_alu instid0(SALU_CYCLE_1) | instskip(NEXT) | instid1(VALU_DEP_1)
	s_xor_b32 s10, s25, -1
	v_dual_mov_b32 v10, v35 :: v_dual_max_i32 v68, s23, v10
	s_and_saveexec_b32 s26, s10
	s_cbranch_execz .LBB2_2514
; %bb.50:                               ;   in Loop: Header=BB2_49 Depth=1
	s_and_saveexec_b32 s10, s0
	s_cbranch_execz .LBB2_52
; %bb.51:                               ;   in Loop: Header=BB2_49 Depth=1
	s_trap 2
	ds_load_b64 v[10:11], v0
	s_wait_dscnt 0x0
	v_add_nc_u64_e32 v[10:11], v[10:11], v[14:15]
	s_delay_alu instid0(VALU_DEP_1)
	v_add_nc_u64_e32 v[10:11], v[10:11], v[64:65]
	ds_store_b64 v0, v[10:11]
	ds_store_b64 v0, v[54:55]
.LBB2_52:                               ;   in Loop: Header=BB2_49 Depth=1
	s_or_b32 exec_lo, exec_lo, s10
	v_and_b32_e32 v10, 12, v102
	v_min_u32_e32 v68, v68, v66
	s_mov_b32 s11, exec_lo
	s_delay_alu instid0(VALU_DEP_2)
	v_cmpx_ne_u32_e32 0, v10
	s_cbranch_execz .LBB2_78
; %bb.53:                               ;   in Loop: Header=BB2_49 Depth=1
	v_and_b32_e32 v34, 8, v102
	v_add_nc_u64_e32 v[10:11], 1, v[8:9]
	s_mov_b32 s12, exec_lo
	s_wait_loadcnt 0x0
	s_delay_alu instid0(VALU_DEP_2) | instskip(NEXT) | instid1(VALU_DEP_1)
	v_add_nc_u64_e32 v[12:13], v[26:27], v[34:35]
	v_cmpx_lt_u64_e64 v[12:13], v[10:11]
	s_cbranch_execz .LBB2_65
; %bb.54:                               ;   in Loop: Header=BB2_49 Depth=1
	v_and_b32_e32 v9, 64, v102
	s_mov_b32 s27, 0
	s_mov_b32 s41, 0
                                        ; implicit-def: $sgpr28
                                        ; implicit-def: $sgpr29
                                        ; implicit-def: $sgpr40
	s_delay_alu instid0(VALU_DEP_1)
	v_cmp_eq_u32_e32 vcc_lo, 0, v9
	s_branch .LBB2_57
.LBB2_55:                               ;   in Loop: Header=BB2_57 Depth=2
	s_or_b32 exec_lo, exec_lo, s46
	s_delay_alu instid0(SALU_CYCLE_1)
	s_and_not1_b32 s10, s40, exec_lo
	s_and_b32 s40, s44, exec_lo
	s_and_not1_b32 s29, s29, exec_lo
	s_and_b32 s43, s43, exec_lo
	s_or_b32 s40, s10, s40
	s_or_b32 s29, s29, s43
.LBB2_56:                               ;   in Loop: Header=BB2_57 Depth=2
	s_or_b32 exec_lo, exec_lo, s42
	s_delay_alu instid0(SALU_CYCLE_1) | instskip(NEXT) | instid1(SALU_CYCLE_1)
	s_and_b32 s10, exec_lo, s29
	s_or_b32 s27, s10, s27
	s_and_not1_b32 s10, s28, exec_lo
	s_and_b32 s28, s40, exec_lo
	s_delay_alu instid0(SALU_CYCLE_1)
	s_or_b32 s28, s10, s28
	s_and_not1_b32 exec_lo, exec_lo, s27
	s_cbranch_execz .LBB2_62
.LBB2_57:                               ;   Parent Loop BB2_49 Depth=1
                                        ; =>  This Inner Loop Header: Depth=2
	s_sleep 1
	s_wait_loadcnt_dscnt 0x0
	flat_load_b64 v[26:27], v[18:19] scope:SCOPE_SYS
	s_or_b32 s40, s40, exec_lo
	s_or_b32 s29, s29, exec_lo
                                        ; implicit-def: $vgpr9
	s_wait_xcnt 0x0
	s_and_saveexec_b32 s42, vcc_lo
	s_cbranch_execz .LBB2_56
; %bb.58:                               ;   in Loop: Header=BB2_57 Depth=2
	s_cmp_lt_i32 s41, 0x270f
	s_mov_b32 s43, -1
	s_cselect_b32 s45, -1, 0
	s_cmp_gt_i32 s41, 0x270e
	s_cbranch_scc0 .LBB2_60
; %bb.59:                               ;   in Loop: Header=BB2_57 Depth=2
	s_trap 2
	ds_load_b64 v[12:13], v0
	s_and_not1_b32 s41, s45, exec_lo
	s_mov_b32 s44, 0
	s_wait_storecnt 0x0
	s_wait_loadcnt_dscnt 0x0
	flat_load_b32 v9, v[12:13] scope:SCOPE_SYS
	s_wait_loadcnt_dscnt 0x0
	global_inv scope:SCOPE_SYS
	v_cmp_eq_u32_e64 s10, 0, v9
	s_and_b32 s10, s10, exec_lo
	s_delay_alu instid0(SALU_CYCLE_1)
	s_or_b32 s45, s41, s10
	s_mov_b32 s41, 0
	s_and_saveexec_b32 s46, s45
	s_cbranch_execz .LBB2_55
	s_branch .LBB2_61
.LBB2_60:                               ;   in Loop: Header=BB2_57 Depth=2
	s_add_co_i32 s41, s41, 1
	s_mov_b32 s44, -1
                                        ; implicit-def: $vgpr9
	s_and_saveexec_b32 s46, s45
	s_cbranch_execz .LBB2_55
.LBB2_61:                               ;   in Loop: Header=BB2_57 Depth=2
	s_wait_loadcnt_dscnt 0x0
	v_add_nc_u64_e32 v[12:13], v[26:27], v[34:35]
	s_or_b32 s44, s44, exec_lo
	s_delay_alu instid0(VALU_DEP_1)
	v_cmp_ge_u64_e64 s10, v[12:13], v[10:11]
	s_or_not1_b32 s43, s10, exec_lo
	s_branch .LBB2_55
.LBB2_62:                               ;   in Loop: Header=BB2_49 Depth=1
	s_or_b32 exec_lo, exec_lo, s27
	s_xor_b32 s10, s28, -1
	s_delay_alu instid0(SALU_CYCLE_1) | instskip(NEXT) | instid1(SALU_CYCLE_1)
	s_and_saveexec_b32 s27, s10
	s_xor_b32 s10, exec_lo, s27
	s_cbranch_execz .LBB2_64
; %bb.63:                               ;   in Loop: Header=BB2_49 Depth=1
	v_or_b32_e32 v102, 64, v102
	s_wait_storecnt 0x0
	s_wait_loadcnt_dscnt 0x0
	ds_store_b32 v0, v9
	s_trap 2
.LBB2_64:                               ;   in Loop: Header=BB2_49 Depth=1
	s_or_b32 exec_lo, exec_lo, s10
.LBB2_65:                               ;   in Loop: Header=BB2_49 Depth=1
	s_delay_alu instid0(SALU_CYCLE_1) | instskip(SKIP_2) | instid1(VALU_DEP_1)
	s_or_b32 exec_lo, exec_lo, s12
	v_and_b32_e32 v9, 0x108, v102
	;;#ASMSTART
	s_wakeup
	;;#ASMEND
	v_cmp_ne_u32_e32 vcc_lo, 0x108, v9
	v_and_b32_e32 v8, 7, v8
	s_and_saveexec_b32 s10, vcc_lo
	s_delay_alu instid0(SALU_CYCLE_1)
	s_xor_b32 s10, exec_lo, s10
; %bb.66:                               ;   in Loop: Header=BB2_49 Depth=1
	v_mov_b32_e32 v9, v35
; %bb.67:                               ;   in Loop: Header=BB2_49 Depth=1
	s_and_not1_saveexec_b32 s10, s10
	s_cbranch_execz .LBB2_69
; %bb.68:                               ;   in Loop: Header=BB2_49 Depth=1
	v_mad_nc_u64_u32 v[12:13], v8, 24, v[6:7]
	v_dual_mov_b32 v69, v35 :: v_dual_mov_b32 v9, v35
	flat_store_b64 v[12:13], v[68:69] offset:8
.LBB2_69:                               ;   in Loop: Header=BB2_49 Depth=1
	s_wait_xcnt 0x0
	s_or_b32 exec_lo, exec_lo, s10
	v_and_b32_e32 v12, 0x100, v102
	s_mov_b32 s10, -1
	s_delay_alu instid0(VALU_DEP_1)
	v_cmp_ne_u32_e32 vcc_lo, 0, v12
                                        ; implicit-def: $vgpr12_vgpr13
	s_and_saveexec_b32 s12, vcc_lo
	s_cbranch_execz .LBB2_73
; %bb.70:                               ;   in Loop: Header=BB2_49 Depth=1
	v_mad_nc_u64_u32 v[70:71], v8, 24, v[6:7]
	s_delay_alu instid0(VALU_DEP_1)
	v_mad_u32 v71, v9, 24, v71
	flat_load_b32 v12, v[70:71]
	s_wait_loadcnt_dscnt 0x0
	v_cmp_eq_u32_e64 s10, 1, v12
	v_cmp_ne_u32_e32 vcc_lo, 1, v12
                                        ; implicit-def: $vgpr12_vgpr13
	s_wait_xcnt 0x0
	s_and_saveexec_b32 s27, s10
	s_cbranch_execz .LBB2_72
; %bb.71:                               ;   in Loop: Header=BB2_49 Depth=1
	flat_load_b32 v12, v[70:71] offset:4 scope:SCOPE_SYS
	s_wait_loadcnt_dscnt 0x0
	v_ashrrev_i32_e32 v13, 31, v12
.LBB2_72:                               ;   in Loop: Header=BB2_49 Depth=1
	s_wait_xcnt 0x0
	s_or_b32 exec_lo, exec_lo, s27
	s_delay_alu instid0(SALU_CYCLE_1)
	s_or_not1_b32 s10, vcc_lo, exec_lo
.LBB2_73:                               ;   in Loop: Header=BB2_49 Depth=1
	s_or_b32 exec_lo, exec_lo, s12
	s_and_saveexec_b32 s12, s10
; %bb.74:                               ;   in Loop: Header=BB2_49 Depth=1
	v_mul_u64_e32 v[12:13], v[8:9], v[20:21]
; %bb.75:                               ;   in Loop: Header=BB2_49 Depth=1
	s_or_b32 exec_lo, exec_lo, s12
	v_cmp_eq_u32_e32 vcc_lo, 0, v34
	s_delay_alu instid0(VALU_DEP_2) | instskip(SKIP_3) | instid1(VALU_DEP_1)
	v_add_nc_u64_e32 v[8:9], v[22:23], v[12:13]
	v_and_b32_e32 v34, 0x2000, v102
	s_mov_b32 s10, exec_lo
	v_cndmask_b32_e32 v30, 0xc8, v115, vcc_lo
	v_add_nc_u32_e32 v12, v0, v30
	ds_store_b64 v12, v[8:9] offset:584
	v_cmpx_ne_u32_e32 0, v34
	s_cbranch_execz .LBB2_77
; %bb.76:                               ;   in Loop: Header=BB2_49 Depth=1
	ds_load_b64 v[8:9], v0 offset:872
	s_wait_dscnt 0x0
	v_add_nc_u64_e32 v[8:9], 1, v[8:9]
	ds_store_b64 v0, v[8:9] offset:872
.LBB2_77:                               ;   in Loop: Header=BB2_49 Depth=1
	s_or_b32 exec_lo, exec_lo, s10
	v_mov_b64_e32 v[8:9], v[10:11]
.LBB2_78:                               ;   in Loop: Header=BB2_49 Depth=1
	s_or_b32 exec_lo, exec_lo, s11
	s_and_saveexec_b32 s10, s2
	s_cbranch_execz .LBB2_97
; %bb.79:                               ;   in Loop: Header=BB2_49 Depth=1
	s_and_saveexec_b32 s11, s3
	s_delay_alu instid0(SALU_CYCLE_1)
	s_xor_b32 s11, exec_lo, s11
	s_cbranch_execz .LBB2_94
; %bb.80:                               ;   in Loop: Header=BB2_49 Depth=1
	s_and_saveexec_b32 s12, s4
	s_cbranch_execz .LBB2_93
; %bb.81:                               ;   in Loop: Header=BB2_49 Depth=1
	s_mov_b32 s28, exec_lo
	s_mov_b32 s27, exec_lo
	v_mbcnt_lo_u32_b32 v10, s28, 0
	global_wb scope:SCOPE_DEV
	s_wait_storecnt 0x0
	s_wait_loadcnt_dscnt 0x0
	global_inv scope:SCOPE_DEV
	v_cmpx_eq_u32_e32 0, v10
	s_cbranch_execz .LBB2_83
; %bb.82:                               ;   in Loop: Header=BB2_49 Depth=1
	s_bcnt1_i32_b32 s28, s28
	s_delay_alu instid0(SALU_CYCLE_1)
	v_mov_b32_e32 v34, s28
	s_wait_loadcnt 0x0
	ds_add_u64 v0, v[34:35]
	s_trap 2
.LBB2_83:                               ;   in Loop: Header=BB2_49 Depth=1
	s_or_b32 exec_lo, exec_lo, s27
	s_trap 2
	ds_load_b64 v[10:11], v0
	s_wait_dscnt 0x0
	v_add_nc_u64_e32 v[24:25], v[24:25], v[36:37]
	s_mov_b32 s27, exec_lo
	s_delay_alu instid0(VALU_DEP_1)
	v_cmpx_lt_u64_e64 v[10:11], v[24:25]
	s_cbranch_execz .LBB2_92
; %bb.84:                               ;   in Loop: Header=BB2_49 Depth=1
	s_mov_b32 s28, 0
	s_mov_b32 s41, 0
                                        ; implicit-def: $sgpr29
                                        ; implicit-def: $sgpr40
	s_branch .LBB2_86
.LBB2_85:                               ;   in Loop: Header=BB2_86 Depth=2
	s_or_b32 exec_lo, exec_lo, s43
	s_delay_alu instid0(SALU_CYCLE_1) | instskip(NEXT) | instid1(SALU_CYCLE_1)
	s_and_b32 s42, exec_lo, s44
	s_or_b32 s28, s42, s28
	s_and_not1_b32 s29, s29, exec_lo
	s_and_b32 s42, s40, exec_lo
	s_delay_alu instid0(SALU_CYCLE_1)
	s_or_b32 s29, s29, s42
	s_and_not1_b32 exec_lo, exec_lo, s28
	s_cbranch_execz .LBB2_90
.LBB2_86:                               ;   Parent Loop BB2_49 Depth=1
                                        ; =>  This Inner Loop Header: Depth=2
	s_add_co_i32 s41, s41, 1
	s_delay_alu instid0(SALU_CYCLE_1) | instskip(SKIP_1) | instid1(SALU_CYCLE_1)
	s_cmp_lg_u32 s41, 0x2710
	s_cselect_b32 s42, -1, 0
	s_and_b32 vcc_lo, exec_lo, s42
	s_cbranch_vccz .LBB2_88
; %bb.87:                               ;   in Loop: Header=BB2_86 Depth=2
	s_mov_b32 s44, -1
	s_or_b32 s40, s40, exec_lo
	s_and_saveexec_b32 s43, s42
	s_cbranch_execz .LBB2_85
	s_branch .LBB2_89
.LBB2_88:                               ;   in Loop: Header=BB2_86 Depth=2
	s_trap 2
	ds_load_b64 v[10:11], v0
	s_and_not1_b32 s42, s42, exec_lo
	s_mov_b32 s41, 0
	s_wait_loadcnt_dscnt 0x0
	flat_load_b32 v10, v[10:11] scope:SCOPE_SYS
	s_wait_loadcnt_dscnt 0x0
	global_inv scope:SCOPE_SYS
	v_cmp_eq_u32_e32 vcc_lo, 0, v10
	s_and_b32 s43, vcc_lo, exec_lo
	s_delay_alu instid0(SALU_CYCLE_1)
	s_or_b32 s42, s42, s43
	s_mov_b32 s44, -1
	s_or_b32 s40, s40, exec_lo
	s_and_saveexec_b32 s43, s42
	s_cbranch_execz .LBB2_85
.LBB2_89:                               ;   in Loop: Header=BB2_86 Depth=2
	s_sleep 1
	s_trap 2
	ds_load_b64 v[10:11], v0
	s_wait_dscnt 0x0
	s_and_not1_b32 s40, s40, exec_lo
	v_cmp_ge_u64_e32 vcc_lo, v[10:11], v[24:25]
	s_or_not1_b32 s44, vcc_lo, exec_lo
	s_branch .LBB2_85
.LBB2_90:                               ;   in Loop: Header=BB2_49 Depth=1
	s_or_b32 exec_lo, exec_lo, s28
	s_and_saveexec_b32 s28, s29
	s_delay_alu instid0(SALU_CYCLE_1)
	s_xor_b32 s28, exec_lo, s28
	s_cbranch_execz .LBB2_92
; %bb.91:                               ;   in Loop: Header=BB2_49 Depth=1
	ds_store_b32 v0, v114
	s_trap 2
.LBB2_92:                               ;   in Loop: Header=BB2_49 Depth=1
	s_or_b32 exec_lo, exec_lo, s27
	;;#ASMSTART
	s_wakeup
	;;#ASMEND
.LBB2_93:                               ;   in Loop: Header=BB2_49 Depth=1
	s_or_b32 exec_lo, exec_lo, s12
.LBB2_94:                               ;   in Loop: Header=BB2_49 Depth=1
	s_and_not1_saveexec_b32 s11, s11
	s_cbranch_execz .LBB2_96
; %bb.95:                               ;   in Loop: Header=BB2_49 Depth=1
	global_wb scope:SCOPE_DEV
	s_wait_storecnt 0x0
	s_wait_loadcnt_dscnt 0x0
	global_inv scope:SCOPE_DEV
	s_barrier_signal -1
	s_barrier_wait -1
.LBB2_96:                               ;   in Loop: Header=BB2_49 Depth=1
	s_or_b32 exec_lo, exec_lo, s11
.LBB2_97:                               ;   in Loop: Header=BB2_49 Depth=1
	s_delay_alu instid0(SALU_CYCLE_1) | instskip(SKIP_3) | instid1(VALU_DEP_1)
	s_or_b32 exec_lo, exec_lo, s10
	s_trap 2
	ds_load_b32 v10, v0
	v_and_b32_e32 v11, 0x4000, v102
	v_cmp_ne_u32_e32 vcc_lo, 0, v11
	s_and_b32 s11, s24, vcc_lo
	s_delay_alu instid0(SALU_CYCLE_1)
	s_and_saveexec_b32 s10, s11
	s_cbranch_execz .LBB2_116
; %bb.98:                               ;   in Loop: Header=BB2_49 Depth=1
	s_and_saveexec_b32 s11, s3
	s_delay_alu instid0(SALU_CYCLE_1)
	s_xor_b32 s11, exec_lo, s11
	s_cbranch_execz .LBB2_113
; %bb.99:                               ;   in Loop: Header=BB2_49 Depth=1
	s_and_saveexec_b32 s12, s4
	s_cbranch_execz .LBB2_112
; %bb.100:                              ;   in Loop: Header=BB2_49 Depth=1
	s_mov_b32 s28, exec_lo
	s_mov_b32 s27, exec_lo
	v_mbcnt_lo_u32_b32 v11, s28, 0
	global_wb scope:SCOPE_DEV
	s_wait_storecnt 0x0
	s_wait_loadcnt_dscnt 0x0
	global_inv scope:SCOPE_DEV
	v_cmpx_eq_u32_e32 0, v11
	s_cbranch_execz .LBB2_102
; %bb.101:                              ;   in Loop: Header=BB2_49 Depth=1
	s_bcnt1_i32_b32 s28, s28
	s_delay_alu instid0(SALU_CYCLE_1)
	v_mov_b32_e32 v34, s28
	s_wait_loadcnt 0x0
	ds_add_u64 v0, v[34:35]
	s_trap 2
.LBB2_102:                              ;   in Loop: Header=BB2_49 Depth=1
	s_or_b32 exec_lo, exec_lo, s27
	s_trap 2
	ds_load_b64 v[12:13], v0
	s_wait_dscnt 0x0
	v_add_nc_u64_e32 v[24:25], v[24:25], v[36:37]
	s_mov_b32 s27, exec_lo
	s_delay_alu instid0(VALU_DEP_1)
	v_cmpx_lt_u64_e64 v[12:13], v[24:25]
	s_cbranch_execz .LBB2_111
; %bb.103:                              ;   in Loop: Header=BB2_49 Depth=1
	s_mov_b32 s28, 0
	s_mov_b32 s41, 0
                                        ; implicit-def: $sgpr29
                                        ; implicit-def: $sgpr40
	s_branch .LBB2_105
.LBB2_104:                              ;   in Loop: Header=BB2_105 Depth=2
	s_or_b32 exec_lo, exec_lo, s43
	s_delay_alu instid0(SALU_CYCLE_1) | instskip(NEXT) | instid1(SALU_CYCLE_1)
	s_and_b32 s42, exec_lo, s44
	s_or_b32 s28, s42, s28
	s_and_not1_b32 s29, s29, exec_lo
	s_and_b32 s42, s40, exec_lo
	s_delay_alu instid0(SALU_CYCLE_1)
	s_or_b32 s29, s29, s42
	s_and_not1_b32 exec_lo, exec_lo, s28
	s_cbranch_execz .LBB2_109
.LBB2_105:                              ;   Parent Loop BB2_49 Depth=1
                                        ; =>  This Inner Loop Header: Depth=2
	s_add_co_i32 s41, s41, 1
	s_delay_alu instid0(SALU_CYCLE_1) | instskip(SKIP_1) | instid1(SALU_CYCLE_1)
	s_cmp_lg_u32 s41, 0x2710
	s_cselect_b32 s42, -1, 0
	s_and_b32 vcc_lo, exec_lo, s42
	s_cbranch_vccz .LBB2_107
; %bb.106:                              ;   in Loop: Header=BB2_105 Depth=2
	s_mov_b32 s44, -1
	s_or_b32 s40, s40, exec_lo
	s_and_saveexec_b32 s43, s42
	s_cbranch_execz .LBB2_104
	s_branch .LBB2_108
.LBB2_107:                              ;   in Loop: Header=BB2_105 Depth=2
	s_trap 2
	ds_load_b64 v[12:13], v0
	s_and_not1_b32 s42, s42, exec_lo
	s_mov_b32 s41, 0
	s_wait_loadcnt_dscnt 0x0
	flat_load_b32 v11, v[12:13] scope:SCOPE_SYS
	s_wait_loadcnt_dscnt 0x0
	global_inv scope:SCOPE_SYS
	v_cmp_eq_u32_e32 vcc_lo, 0, v11
	s_and_b32 s43, vcc_lo, exec_lo
	s_delay_alu instid0(SALU_CYCLE_1)
	s_or_b32 s42, s42, s43
	s_mov_b32 s44, -1
	s_or_b32 s40, s40, exec_lo
	s_and_saveexec_b32 s43, s42
	s_cbranch_execz .LBB2_104
.LBB2_108:                              ;   in Loop: Header=BB2_105 Depth=2
	s_sleep 1
	s_trap 2
	ds_load_b64 v[12:13], v0
	s_wait_dscnt 0x0
	s_and_not1_b32 s40, s40, exec_lo
	v_cmp_ge_u64_e32 vcc_lo, v[12:13], v[24:25]
	s_or_not1_b32 s44, vcc_lo, exec_lo
	s_branch .LBB2_104
.LBB2_109:                              ;   in Loop: Header=BB2_49 Depth=1
	s_or_b32 exec_lo, exec_lo, s28
	s_and_saveexec_b32 s28, s29
	s_delay_alu instid0(SALU_CYCLE_1)
	s_xor_b32 s28, exec_lo, s28
	s_cbranch_execz .LBB2_111
; %bb.110:                              ;   in Loop: Header=BB2_49 Depth=1
	ds_store_b32 v0, v114
	s_trap 2
.LBB2_111:                              ;   in Loop: Header=BB2_49 Depth=1
	s_or_b32 exec_lo, exec_lo, s27
	;;#ASMSTART
	s_wakeup
	;;#ASMEND
.LBB2_112:                              ;   in Loop: Header=BB2_49 Depth=1
	s_or_b32 exec_lo, exec_lo, s12
.LBB2_113:                              ;   in Loop: Header=BB2_49 Depth=1
	s_and_not1_saveexec_b32 s11, s11
	s_cbranch_execz .LBB2_115
; %bb.114:                              ;   in Loop: Header=BB2_49 Depth=1
	global_wb scope:SCOPE_DEV
	s_wait_storecnt 0x0
	s_wait_loadcnt_dscnt 0x0
	global_inv scope:SCOPE_DEV
	s_barrier_signal -1
	s_barrier_wait -1
.LBB2_115:                              ;   in Loop: Header=BB2_49 Depth=1
	s_or_b32 exec_lo, exec_lo, s11
.LBB2_116:                              ;   in Loop: Header=BB2_49 Depth=1
	s_delay_alu instid0(SALU_CYCLE_1)
	s_or_b32 exec_lo, exec_lo, s10
	s_trap 2
	ds_load_b64 v[70:71], v0
	s_wait_dscnt 0x0
	v_cmp_eq_u64_e32 vcc_lo, 0, v[70:71]
	s_cbranch_vccnz .LBB2_124
; %bb.117:                              ;   in Loop: Header=BB2_49 Depth=1
	s_trap 2
	ds_load_b64 v[80:81], v0
	s_wait_dscnt 0x0
	v_cmp_eq_u64_e32 vcc_lo, 0, v[80:81]
	s_cbranch_vccnz .LBB2_124
; %bb.118:                              ;   in Loop: Header=BB2_49 Depth=1
	s_mov_b32 s10, -1
	s_and_saveexec_b32 s11, s5
	s_cbranch_execz .LBB2_120
; %bb.119:                              ;   in Loop: Header=BB2_49 Depth=1
	ds_load_b32 v11, v0 offset:720
	s_wait_dscnt 0x0
	v_and_b32_e32 v11, 15, v11
	s_delay_alu instid0(VALU_DEP_1)
	v_cmp_eq_u32_e32 vcc_lo, 0, v11
	s_or_not1_b32 s10, vcc_lo, exec_lo
.LBB2_120:                              ;   in Loop: Header=BB2_49 Depth=1
	s_or_b32 exec_lo, exec_lo, s11
	s_and_saveexec_b32 s11, s6
	s_cbranch_execz .LBB2_122
; %bb.121:                              ;   in Loop: Header=BB2_49 Depth=1
	ds_load_b32 v11, v0 offset:784
	s_wait_dscnt 0x0
	v_and_b32_e32 v11, 15, v11
	s_delay_alu instid0(VALU_DEP_1) | instskip(SKIP_3) | instid1(SALU_CYCLE_1)
	v_cmp_eq_u32_e32 vcc_lo, 0, v11
	s_and_b32 s12, s10, vcc_lo
	s_and_not1_b32 s10, s10, exec_lo
	s_and_b32 s12, s12, exec_lo
	s_or_b32 s10, s10, s12
.LBB2_122:                              ;   in Loop: Header=BB2_49 Depth=1
	s_or_b32 exec_lo, exec_lo, s11
	v_cmp_eq_u32_e32 vcc_lo, 0, v10
	s_xor_b32 s10, s10, -1
	s_mov_b32 s11, -1
	v_cndmask_b32_e64 v11, 0, 1, s10
	v_dual_mov_b32 v69, 0 :: v_dual_cndmask_b32 v67, 0, v68, vcc_lo
	v_mov_b32_e32 v30, v0
	s_delay_alu instid0(VALU_DEP_3) | instskip(NEXT) | instid1(VALU_DEP_3)
	v_cmp_ne_u32_e32 vcc_lo, 0, v11
	v_mov_b32_e32 v117, v67
	s_cbranch_vccz .LBB2_125
; %bb.123:                              ;   in Loop: Header=BB2_49 Depth=1
	s_and_saveexec_b32 s12, s11
	s_cbranch_execnz .LBB2_1896
	s_branch .LBB2_2488
.LBB2_124:                              ;   in Loop: Header=BB2_49 Depth=1
	s_mov_b32 s10, 0
	s_and_saveexec_b32 s11, s2
	s_cbranch_execnz .LBB2_2489
	s_branch .LBB2_2507
.LBB2_125:                              ;   in Loop: Header=BB2_49 Depth=1
	v_dual_lshrrev_b32 v10, 9, v67 :: v_dual_sub_nc_u32 v117, v67, v38
	v_and_b32_e32 v69, 0x1ff, v67
	s_mov_b32 s27, exec_lo
	s_delay_alu instid0(VALU_DEP_2) | instskip(NEXT) | instid1(VALU_DEP_2)
	v_sub_nc_u32_e32 v10, v10, v113
	v_cmp_lt_u32_e64 s10, 15, v69
	s_delay_alu instid0(VALU_DEP_1)
	v_add_co_ci_u32_e64 v118, null, 0, v10, s10
	v_cmpx_lt_i32_e32 15, v117
	s_cbranch_execz .LBB2_1009
; %bb.126:                              ;   in Loop: Header=BB2_49 Depth=1
	s_trap 2
	ds_load_b64 v[10:11], v0
	v_add_nc_u64_e32 v[82:83], v[70:71], v[38:39]
	v_add_nc_u64_e32 v[84:85], v[80:81], v[38:39]
	s_wait_dscnt 0x0
	v_readfirstlane_b32 s40, v10
	v_readfirstlane_b32 s41, v11
	v_add_nc_u64_e32 v[86:87], v[10:11], v[38:39]
	s_and_b32 s11, s40, 7
	s_and_b32 s12, s40, 0x7f
	s_clz_i32_u32 s11, s11
	s_bfe_u32 s28, s40, 0x40003
	s_min_u32 s11, s11, 32
	s_delay_alu instid0(SALU_CYCLE_1)
	s_sub_co_i32 s29, s11, 28
	s_sub_co_i32 s11, 29, s11
	s_cmp_lt_u32 s12, 8
	s_cselect_b32 s11, s11, s28
	s_cselect_b32 s28, s29, 0
	s_lshl_b32 s42, s40, 24
	s_lshl_b64 s[28:29], s[40:41], s28
	s_and_b32 s29, s42, 0x80000000
	s_lshl_b32 s28, s28, 20
	s_lshl_b32 s11, s11, 23
	s_and_b32 s28, s28, 0x700000
	s_add_co_i32 s11, s11, 0x3c000000
	s_or_b32 s28, s28, s29
	s_mov_b32 s29, 0
	s_or_b32 s11, s11, s28
	s_cmp_lg_u32 s12, 0x7f
	s_cselect_b32 s28, s11, 0x7f800001
	s_and_b32 s40, s40, 0xff
	s_delay_alu instid0(SALU_CYCLE_1)
	s_and_b32 s41, 0xffff, s40
	s_branch .LBB2_128
.LBB2_127:                              ;   in Loop: Header=BB2_128 Depth=2
	s_or_b32 exec_lo, exec_lo, s11
	v_lshl_or_b32 v11, v101, 8, v100
	v_dual_lshlrev_b32 v12, 16, v59 :: v_dual_lshlrev_b32 v13, 24, v30
	v_lshl_or_b32 v30, v41, 8, v119
	v_dual_lshlrev_b32 v34, 16, v44 :: v_dual_lshlrev_b32 v97, 24, v47
	;; [unrolled: 2-line block ×3, first 2 shown]
	v_dual_lshlrev_b32 v40, 24, v10 :: v_dual_lshlrev_b32 v96, 16, v96
	v_lshl_or_b32 v98, v99, 8, v98
	v_or3_b32 v11, v11, v12, v13
	v_or3_b32 v10, v30, v34, v97
	v_or3_b32 v12, v100, v101, v119
	v_sub_nc_u32_e32 v117, v117, v48
	v_or3_b32 v13, v98, v96, v40
	v_add_nc_u64_e32 v[82:83], v[82:83], v[48:49]
	v_add_nc_u64_e32 v[86:87], v[86:87], v[48:49]
	v_sub_nc_u32_e32 v118, v118, v36
	v_cmp_gt_i32_e32 vcc_lo, 16, v117
	global_store_b128 v[84:85], v[10:13], off th:TH_STORE_NT
	s_wait_xcnt 0x0
	v_add_nc_u64_e32 v[84:85], v[84:85], v[48:49]
	s_or_b32 s29, vcc_lo, s29
	s_delay_alu instid0(SALU_CYCLE_1)
	s_and_not1_b32 exec_lo, exec_lo, s29
	s_cbranch_execz .LBB2_1008
.LBB2_128:                              ;   Parent Loop BB2_49 Depth=1
                                        ; =>  This Inner Loop Header: Depth=2
	s_cmp_lt_i32 s40, 0x80
	s_cbranch_scc1 .LBB2_132
; %bb.129:                              ;   in Loop: Header=BB2_128 Depth=2
	s_cmp_eq_u32 s41, 0x80
	s_mov_b32 s11, -1
	s_cbranch_scc0 .LBB2_131
; %bb.130:                              ;   in Loop: Header=BB2_128 Depth=2
	s_mov_b32 s11, 0
.LBB2_131:                              ;   in Loop: Header=BB2_128 Depth=2
	s_brev_b32 s12, 1
	s_branch .LBB2_134
.LBB2_132:                              ;   in Loop: Header=BB2_128 Depth=2
	s_mov_b32 s11, 0
	s_brev_b32 s12, 1
	s_cbranch_execz .LBB2_134
; %bb.133:                              ;   in Loop: Header=BB2_128 Depth=2
	s_cmp_lg_u32 s41, 0
	s_mov_b32 s12, 0
	s_cselect_b32 s11, -1, 0
.LBB2_134:                              ;   in Loop: Header=BB2_128 Depth=2
	s_delay_alu instid0(SALU_CYCLE_1)
	s_and_not1_b32 vcc_lo, exec_lo, s11
	s_cbranch_vccnz .LBB2_136
; %bb.135:                              ;   in Loop: Header=BB2_128 Depth=2
	s_mov_b32 s12, s28
.LBB2_136:                              ;   in Loop: Header=BB2_128 Depth=2
	global_load_b128 v[10:13], v[82:83], off th:TH_LOAD_NT
	v_mov_b32_e32 v30, 0
	s_mov_b32 s11, exec_lo
	s_wait_loadcnt 0x0
	v_and_b32_e32 v34, 0xff, v10
	s_wait_xcnt 0x0
	s_delay_alu instid0(VALU_DEP_1)
	v_cmpx_ne_u16_e32 0, v34
	s_cbranch_execz .LBB2_142
; %bb.137:                              ;   in Loop: Header=BB2_128 Depth=2
	v_bfrev_b32_e32 v30, 1
	s_mov_b32 s42, exec_lo
	v_cmpx_ne_u16_e32 0x80, v34
	s_cbranch_execz .LBB2_141
; %bb.138:                              ;   in Loop: Header=BB2_128 Depth=2
	v_and_b32_e32 v34, 0x7f, v10
	v_mov_b32_e32 v30, 0x7f800001
	s_mov_b32 s43, exec_lo
	s_delay_alu instid0(VALU_DEP_2)
	v_cmpx_ne_u32_e32 0x7f, v34
	s_cbranch_execz .LBB2_140
; %bb.139:                              ;   in Loop: Header=BB2_128 Depth=2
	v_cmp_gt_u32_e32 vcc_lo, 8, v34
	v_and_b32_e32 v30, 7, v10
	v_lshrrev_b32_e32 v96, 3, v34
	s_delay_alu instid0(VALU_DEP_2) | instskip(NEXT) | instid1(VALU_DEP_1)
	v_clz_i32_u32_e32 v30, v30
	v_min_u32_e32 v30, 32, v30
	s_delay_alu instid0(VALU_DEP_1) | instskip(NEXT) | instid1(VALU_DEP_1)
	v_subrev_nc_u32_e32 v97, 28, v30
	v_dual_sub_nc_u32 v30, 29, v30 :: v_dual_cndmask_b32 v34, 0, v97, vcc_lo
	s_delay_alu instid0(VALU_DEP_1) | instskip(NEXT) | instid1(VALU_DEP_2)
	v_cndmask_b32_e32 v30, v96, v30, vcc_lo
	v_lshlrev_b64_e32 v[96:97], v34, v[10:11]
	v_lshlrev_b32_e32 v34, 24, v10
	s_delay_alu instid0(VALU_DEP_3) | instskip(NEXT) | instid1(VALU_DEP_2)
	v_lshl_add_u32 v30, v30, 23, 0x3c000000
	v_and_b32_e32 v34, 0x80000000, v34
	s_delay_alu instid0(VALU_DEP_4) | instskip(NEXT) | instid1(VALU_DEP_1)
	v_lshlrev_b32_e32 v96, 20, v96
	v_and_b32_e32 v96, 0x700000, v96
	s_delay_alu instid0(VALU_DEP_1)
	v_or3_b32 v30, v96, v34, v30
.LBB2_140:                              ;   in Loop: Header=BB2_128 Depth=2
	s_or_b32 exec_lo, exec_lo, s43
.LBB2_141:                              ;   in Loop: Header=BB2_128 Depth=2
	s_delay_alu instid0(SALU_CYCLE_1)
	s_or_b32 exec_lo, exec_lo, s42
.LBB2_142:                              ;   in Loop: Header=BB2_128 Depth=2
	s_delay_alu instid0(SALU_CYCLE_1) | instskip(NEXT) | instid1(VALU_DEP_1)
	s_or_b32 exec_lo, exec_lo, s11
	v_mul_f32_e32 v96, s12, v30
                                        ; implicit-def: $vgpr30
	s_mov_b32 s11, exec_lo
	s_delay_alu instid0(VALU_DEP_1) | instskip(SKIP_1) | instid1(VALU_DEP_2)
	v_and_b32_e32 v34, 0x7f800000, v96
	v_lshrrev_b32_e32 v97, 24, v96
	v_cmpx_ne_u64_e32 0x7f800000, v[34:35]
	s_xor_b32 s42, exec_lo, s11
	s_cbranch_execz .LBB2_156
; %bb.143:                              ;   in Loop: Header=BB2_128 Depth=2
	v_and_b32_e32 v34, 0x7fffffff, v96
	v_and_b32_e32 v100, 0x80, v97
                                        ; implicit-def: $vgpr30
	s_mov_b32 s11, exec_lo
	s_delay_alu instid0(VALU_DEP_2)
	v_cmpx_gt_u64_e32 0x43e00001, v[34:35]
	s_xor_b32 s43, exec_lo, s11
	s_cbranch_execz .LBB2_153
; %bb.144:                              ;   in Loop: Header=BB2_128 Depth=2
	v_mov_b32_e32 v30, 0
	s_mov_b32 s44, exec_lo
	v_cmpx_ne_u32_e32 0, v96
	s_cbranch_execz .LBB2_152
; %bb.145:                              ;   in Loop: Header=BB2_128 Depth=2
	v_bfe_u32 v30, v96, 23, 8
	s_delay_alu instid0(VALU_DEP_1) | instskip(SKIP_1) | instid1(VALU_DEP_2)
	v_sub_nc_u32_e32 v34, 0x79, v30
	v_cmp_gt_u32_e32 vcc_lo, 0x7a, v30
	v_cndmask_b32_e32 v34, 0, v34, vcc_lo
	v_cmp_eq_u32_e32 vcc_lo, 0, v30
	s_delay_alu instid0(VALU_DEP_2) | instskip(SKIP_1) | instid1(VALU_DEP_2)
	v_cndmask_b32_e64 v101, v34, 0x78, vcc_lo
	v_and_b32_e32 v34, 0x7fffff, v96
	v_add_nc_u32_e32 v96, 20, v101
	s_delay_alu instid0(VALU_DEP_2) | instskip(SKIP_1) | instid1(VALU_DEP_3)
	v_or_b32_e32 v98, 0x800000, v34
	v_add_nc_u32_e32 v99, 19, v101
	v_lshlrev_b64_e64 v[96:97], v96, -1
	s_delay_alu instid0(VALU_DEP_3) | instskip(NEXT) | instid1(VALU_DEP_3)
	v_cndmask_b32_e32 v34, v98, v34, vcc_lo
	v_lshlrev_b64_e64 v[98:99], v99, 1
	s_delay_alu instid0(VALU_DEP_3) | instskip(NEXT) | instid1(VALU_DEP_3)
	v_bfi_b32 v41, v97, 0, 0
	v_bfi_b32 v40, v96, 0, v34
	v_lshrrev_b64 v[96:97], v101, v[34:35]
	s_delay_alu instid0(VALU_DEP_2) | instskip(NEXT) | instid1(VALU_DEP_2)
	v_cmp_eq_u64_e64 s11, v[40:41], v[98:99]
	v_mov_b64_e32 v[98:99], v[96:97]
	s_and_saveexec_b32 s45, s11
; %bb.146:                              ;   in Loop: Header=BB2_128 Depth=2
	v_bfe_u32 v34, v96, 20, 1
	s_delay_alu instid0(VALU_DEP_1) | instskip(NEXT) | instid1(VALU_DEP_1)
	v_add_nc_u64_e32 v[98:99], v[96:97], v[34:35]
	v_add_nc_u64_e32 v[98:99], -1, v[98:99]
; %bb.147:                              ;   in Loop: Header=BB2_128 Depth=2
	s_or_b32 exec_lo, exec_lo, s45
	v_add_nc_u32_e32 v30, 0xffffff81, v30
	v_lshrrev_b32_e32 v34, 23, v96
	s_mov_b32 s11, exec_lo
	s_delay_alu instid0(VALU_DEP_2) | instskip(NEXT) | instid1(VALU_DEP_1)
	v_cndmask_b32_e64 v30, v30, 0xffffff82, vcc_lo
	v_add3_u32 v99, v101, v30, v34
	v_and_b32_e32 v30, 0xfffff, v98
	s_delay_alu instid0(VALU_DEP_1) | instskip(NEXT) | instid1(VALU_DEP_1)
	v_dual_add_nc_u32 v98, 6, v99 :: v_dual_add_nc_u32 v34, v30, v96
                                        ; implicit-def: $vgpr96_vgpr97
                                        ; implicit-def: $vgpr30
	v_cmpx_ne_u32_e32 0, v98
	s_xor_b32 s11, exec_lo, s11
; %bb.148:                              ;   in Loop: Header=BB2_128 Depth=2
	s_delay_alu instid0(VALU_DEP_2) | instskip(SKIP_2) | instid1(VALU_DEP_2)
	v_cmp_lt_u64_e32 vcc_lo, 0xffffff, v[34:35]
	v_add_nc_u32_e32 v30, 7, v99
	v_cndmask_b32_e64 v96, 0, 1, vcc_lo
	v_cndmask_b32_e32 v30, v98, v30, vcc_lo
	s_delay_alu instid0(VALU_DEP_2)
	v_lshrrev_b64 v[96:97], v96, v[34:35]
; %bb.149:                              ;   in Loop: Header=BB2_128 Depth=2
	s_and_not1_saveexec_b32 s11, s11
; %bb.150:                              ;   in Loop: Header=BB2_128 Depth=2
	v_mov_b64_e32 v[96:97], v[34:35]
	v_bfe_u32 v30, v34, 23, 1
; %bb.151:                              ;   in Loop: Header=BB2_128 Depth=2
	s_or_b32 exec_lo, exec_lo, s11
	s_delay_alu instid0(VALU_DEP_2) | instskip(NEXT) | instid1(VALU_DEP_2)
	v_lshrrev_b64 v[96:97], 20, v[96:97]
	v_cmp_gt_i32_e32 vcc_lo, 16, v30
	v_min_i32_e32 v34, 15, v30
	v_cmp_eq_u32_e64 s11, 0, v30
	s_delay_alu instid0(VALU_DEP_2) | instskip(SKIP_1) | instid1(VALU_DEP_2)
	v_dual_cndmask_b32 v97, 0, v97 :: v_dual_lshlrev_b32 v34, 3, v34
	v_cndmask_b32_e32 v96, 7, v96, vcc_lo
	v_and_b32_e32 v34, 0xf8, v34
	s_delay_alu instid0(VALU_DEP_2) | instskip(NEXT) | instid1(VALU_DEP_2)
	v_cmp_eq_u64_e32 vcc_lo, 0, v[96:97]
	v_and_or_b32 v30, v96, 7, v34
	s_and_b32 s11, s11, vcc_lo
	s_delay_alu instid0(VALU_DEP_1) | instid1(SALU_CYCLE_1)
	v_cndmask_b32_e64 v30, v30, 0, s11
	s_delay_alu instid0(VALU_DEP_1)
	v_or_b32_e32 v30, v30, v100
.LBB2_152:                              ;   in Loop: Header=BB2_128 Depth=2
	s_or_b32 exec_lo, exec_lo, s44
                                        ; implicit-def: $vgpr100
.LBB2_153:                              ;   in Loop: Header=BB2_128 Depth=2
	s_and_not1_saveexec_b32 s11, s43
; %bb.154:                              ;   in Loop: Header=BB2_128 Depth=2
	v_or_b32_e32 v30, 0x7e, v100
; %bb.155:                              ;   in Loop: Header=BB2_128 Depth=2
	s_or_b32 exec_lo, exec_lo, s11
                                        ; implicit-def: $vgpr97
.LBB2_156:                              ;   in Loop: Header=BB2_128 Depth=2
	s_and_not1_saveexec_b32 s11, s42
; %bb.157:                              ;   in Loop: Header=BB2_128 Depth=2
	v_or_b32_e32 v30, 0x7f, v97
; %bb.158:                              ;   in Loop: Header=BB2_128 Depth=2
	s_or_b32 exec_lo, exec_lo, s11
	v_lshrrev_b16 v96, 8, v10
	v_mov_b32_e32 v34, 0
	s_mov_b32 s11, exec_lo
	s_delay_alu instid0(VALU_DEP_2)
	v_cmpx_ne_u16_e32 0, v96
	s_cbranch_execz .LBB2_166
; %bb.159:                              ;   in Loop: Header=BB2_128 Depth=2
	v_bfrev_b32_e32 v34, 1
	s_mov_b32 s42, exec_lo
	v_cmpx_ne_u16_e32 0x80, v96
	s_cbranch_execz .LBB2_165
; %bb.160:                              ;   in Loop: Header=BB2_128 Depth=2
	v_and_b32_e32 v96, 0xffff, v96
	v_mov_b32_e32 v34, 0x7f800001
	s_mov_b32 s43, exec_lo
	s_delay_alu instid0(VALU_DEP_2) | instskip(NEXT) | instid1(VALU_DEP_1)
	v_and_b32_e32 v97, 0x7f, v96
	v_cmpx_ne_u32_e32 0x7f, v97
	s_cbranch_execz .LBB2_164
; %bb.161:                              ;   in Loop: Header=BB2_128 Depth=2
	v_dual_lshrrev_b32 v96, 3, v97 :: v_dual_bitop2_b32 v34, 7, v96 bitop3:0x40
	s_mov_b32 s44, exec_lo
	v_cmpx_gt_u32_e32 8, v97
; %bb.162:                              ;   in Loop: Header=BB2_128 Depth=2
	s_delay_alu instid0(VALU_DEP_2) | instskip(NEXT) | instid1(VALU_DEP_1)
	v_clz_i32_u32_e32 v96, v34
	v_min_u32_e32 v96, 32, v96
	s_delay_alu instid0(VALU_DEP_1) | instskip(NEXT) | instid1(VALU_DEP_1)
	v_subrev_nc_u32_e32 v97, 28, v96
	v_lshlrev_b64_e32 v[98:99], v97, v[34:35]
	s_delay_alu instid0(VALU_DEP_1)
	v_dual_sub_nc_u32 v96, 29, v96 :: v_dual_bitop2_b32 v34, 7, v98 bitop3:0x40
; %bb.163:                              ;   in Loop: Header=BB2_128 Depth=2
	s_or_b32 exec_lo, exec_lo, s44
	v_lshlrev_b32_e32 v97, 16, v10
	s_delay_alu instid0(VALU_DEP_2) | instskip(NEXT) | instid1(VALU_DEP_3)
	v_lshlrev_b32_e32 v34, 20, v34
	v_lshl_add_u32 v96, v96, 23, 0x3c000000
	s_delay_alu instid0(VALU_DEP_3) | instskip(NEXT) | instid1(VALU_DEP_1)
	v_and_b32_e32 v97, 0x80000000, v97
	v_or3_b32 v34, v34, v97, v96
.LBB2_164:                              ;   in Loop: Header=BB2_128 Depth=2
	s_or_b32 exec_lo, exec_lo, s43
.LBB2_165:                              ;   in Loop: Header=BB2_128 Depth=2
	s_delay_alu instid0(SALU_CYCLE_1)
	s_or_b32 exec_lo, exec_lo, s42
.LBB2_166:                              ;   in Loop: Header=BB2_128 Depth=2
	s_delay_alu instid0(SALU_CYCLE_1) | instskip(NEXT) | instid1(VALU_DEP_1)
	s_or_b32 exec_lo, exec_lo, s11
	v_mul_f32_e32 v96, s12, v34
                                        ; implicit-def: $vgpr119
	s_mov_b32 s11, exec_lo
	s_delay_alu instid0(VALU_DEP_1) | instskip(SKIP_1) | instid1(VALU_DEP_2)
	v_and_b32_e32 v34, 0x7f800000, v96
	v_lshrrev_b32_e32 v97, 24, v96
	v_cmpx_ne_u64_e32 0x7f800000, v[34:35]
	s_xor_b32 s42, exec_lo, s11
	s_cbranch_execz .LBB2_180
; %bb.167:                              ;   in Loop: Header=BB2_128 Depth=2
	v_and_b32_e32 v34, 0x7fffffff, v96
	v_and_b32_e32 v100, 0x80, v97
                                        ; implicit-def: $vgpr119
	s_mov_b32 s11, exec_lo
	s_delay_alu instid0(VALU_DEP_2)
	v_cmpx_gt_u64_e32 0x43e00001, v[34:35]
	s_xor_b32 s43, exec_lo, s11
	s_cbranch_execz .LBB2_177
; %bb.168:                              ;   in Loop: Header=BB2_128 Depth=2
	v_mov_b32_e32 v119, 0
	s_mov_b32 s44, exec_lo
	v_cmpx_ne_u32_e32 0, v96
	s_cbranch_execz .LBB2_176
; %bb.169:                              ;   in Loop: Header=BB2_128 Depth=2
	v_bfe_u32 v101, v96, 23, 8
	s_delay_alu instid0(VALU_DEP_1) | instskip(SKIP_1) | instid1(VALU_DEP_2)
	v_sub_nc_u32_e32 v34, 0x79, v101
	v_cmp_gt_u32_e32 vcc_lo, 0x7a, v101
	v_cndmask_b32_e32 v34, 0, v34, vcc_lo
	v_cmp_eq_u32_e32 vcc_lo, 0, v101
	s_delay_alu instid0(VALU_DEP_2) | instskip(SKIP_1) | instid1(VALU_DEP_2)
	v_cndmask_b32_e64 v119, v34, 0x78, vcc_lo
	v_and_b32_e32 v34, 0x7fffff, v96
	v_add_nc_u32_e32 v96, 20, v119
	s_delay_alu instid0(VALU_DEP_2) | instskip(SKIP_1) | instid1(VALU_DEP_3)
	v_or_b32_e32 v98, 0x800000, v34
	v_add_nc_u32_e32 v99, 19, v119
	v_lshlrev_b64_e64 v[96:97], v96, -1
	s_delay_alu instid0(VALU_DEP_3) | instskip(NEXT) | instid1(VALU_DEP_3)
	v_cndmask_b32_e32 v34, v98, v34, vcc_lo
	v_lshlrev_b64_e64 v[98:99], v99, 1
	s_delay_alu instid0(VALU_DEP_3) | instskip(NEXT) | instid1(VALU_DEP_3)
	v_bfi_b32 v41, v97, 0, 0
	v_bfi_b32 v40, v96, 0, v34
	v_lshrrev_b64 v[96:97], v119, v[34:35]
	s_delay_alu instid0(VALU_DEP_2) | instskip(NEXT) | instid1(VALU_DEP_2)
	v_cmp_eq_u64_e64 s11, v[40:41], v[98:99]
	v_mov_b64_e32 v[98:99], v[96:97]
	s_and_saveexec_b32 s45, s11
; %bb.170:                              ;   in Loop: Header=BB2_128 Depth=2
	v_bfe_u32 v34, v96, 20, 1
	s_delay_alu instid0(VALU_DEP_1) | instskip(NEXT) | instid1(VALU_DEP_1)
	v_add_nc_u64_e32 v[98:99], v[96:97], v[34:35]
	v_add_nc_u64_e32 v[98:99], -1, v[98:99]
; %bb.171:                              ;   in Loop: Header=BB2_128 Depth=2
	s_or_b32 exec_lo, exec_lo, s45
	v_add_nc_u32_e32 v34, 0xffffff81, v101
	v_lshrrev_b32_e32 v97, 23, v96
	s_mov_b32 s11, exec_lo
	s_delay_alu instid0(VALU_DEP_2) | instskip(NEXT) | instid1(VALU_DEP_1)
	v_cndmask_b32_e64 v34, v34, 0xffffff82, vcc_lo
	v_add3_u32 v99, v119, v34, v97
	v_and_b32_e32 v34, 0xfffff, v98
                                        ; implicit-def: $vgpr98
	s_delay_alu instid0(VALU_DEP_1) | instskip(NEXT) | instid1(VALU_DEP_1)
	v_dual_add_nc_u32 v101, 6, v99 :: v_dual_add_nc_u32 v34, v34, v96
                                        ; implicit-def: $vgpr96_vgpr97
	v_cmpx_ne_u32_e32 0, v101
	s_xor_b32 s11, exec_lo, s11
; %bb.172:                              ;   in Loop: Header=BB2_128 Depth=2
	s_delay_alu instid0(VALU_DEP_2) | instskip(SKIP_1) | instid1(VALU_DEP_1)
	v_cmp_lt_u64_e32 vcc_lo, 0xffffff, v[34:35]
	v_add_nc_u32_e32 v96, 7, v99
	v_cndmask_b32_e32 v98, v101, v96, vcc_lo
	v_cndmask_b32_e64 v96, 0, 1, vcc_lo
	s_delay_alu instid0(VALU_DEP_1)
	v_lshrrev_b64 v[96:97], v96, v[34:35]
; %bb.173:                              ;   in Loop: Header=BB2_128 Depth=2
	s_and_not1_saveexec_b32 s11, s11
; %bb.174:                              ;   in Loop: Header=BB2_128 Depth=2
	v_mov_b64_e32 v[96:97], v[34:35]
	v_bfe_u32 v98, v34, 23, 1
; %bb.175:                              ;   in Loop: Header=BB2_128 Depth=2
	s_or_b32 exec_lo, exec_lo, s11
	s_delay_alu instid0(VALU_DEP_2) | instskip(NEXT) | instid1(VALU_DEP_2)
	v_lshrrev_b64 v[96:97], 20, v[96:97]
	v_cmp_gt_i32_e32 vcc_lo, 16, v98
	v_min_i32_e32 v34, 15, v98
	v_cmp_eq_u32_e64 s11, 0, v98
	s_delay_alu instid0(VALU_DEP_2) | instskip(SKIP_1) | instid1(VALU_DEP_2)
	v_dual_cndmask_b32 v97, 0, v97 :: v_dual_lshlrev_b32 v34, 3, v34
	v_cndmask_b32_e32 v96, 7, v96, vcc_lo
	v_and_b32_e32 v34, 0xf8, v34
	s_delay_alu instid0(VALU_DEP_2) | instskip(NEXT) | instid1(VALU_DEP_2)
	v_cmp_eq_u64_e32 vcc_lo, 0, v[96:97]
	v_and_or_b32 v34, v96, 7, v34
	s_and_b32 s11, s11, vcc_lo
	s_delay_alu instid0(VALU_DEP_1) | instid1(SALU_CYCLE_1)
	v_cndmask_b32_e64 v34, v34, 0, s11
	s_delay_alu instid0(VALU_DEP_1)
	v_or_b32_e32 v119, v34, v100
.LBB2_176:                              ;   in Loop: Header=BB2_128 Depth=2
	s_or_b32 exec_lo, exec_lo, s44
                                        ; implicit-def: $vgpr100
.LBB2_177:                              ;   in Loop: Header=BB2_128 Depth=2
	s_and_not1_saveexec_b32 s11, s43
; %bb.178:                              ;   in Loop: Header=BB2_128 Depth=2
	v_or_b32_e32 v119, 0x7e, v100
; %bb.179:                              ;   in Loop: Header=BB2_128 Depth=2
	s_or_b32 exec_lo, exec_lo, s11
                                        ; implicit-def: $vgpr97
.LBB2_180:                              ;   in Loop: Header=BB2_128 Depth=2
	s_and_not1_saveexec_b32 s11, s42
; %bb.181:                              ;   in Loop: Header=BB2_128 Depth=2
	v_or_b32_e32 v119, 0x7f, v97
; %bb.182:                              ;   in Loop: Header=BB2_128 Depth=2
	s_or_b32 exec_lo, exec_lo, s11
	v_dual_lshrrev_b32 v96, 16, v10 :: v_dual_mov_b32 v34, 0
	s_mov_b32 s11, exec_lo
	s_delay_alu instid0(VALU_DEP_1) | instskip(NEXT) | instid1(VALU_DEP_1)
	v_and_b32_e32 v97, 0xff, v96
	v_cmpx_ne_u16_e32 0, v97
	s_cbranch_execz .LBB2_190
; %bb.183:                              ;   in Loop: Header=BB2_128 Depth=2
	v_bfrev_b32_e32 v34, 1
	s_mov_b32 s42, exec_lo
	v_cmpx_ne_u16_e32 0x80, v97
	s_cbranch_execz .LBB2_189
; %bb.184:                              ;   in Loop: Header=BB2_128 Depth=2
	v_bfe_u32 v98, v10, 16, 7
	v_mov_b32_e32 v34, 0x7f800001
	s_mov_b32 s43, exec_lo
	s_delay_alu instid0(VALU_DEP_2)
	v_cmpx_ne_u32_e32 0x7f, v98
	s_cbranch_execz .LBB2_188
; %bb.185:                              ;   in Loop: Header=BB2_128 Depth=2
	v_dual_lshrrev_b32 v97, 3, v98 :: v_dual_bitop2_b32 v34, 7, v96 bitop3:0x40
	s_mov_b32 s44, exec_lo
	v_cmpx_gt_u32_e32 8, v98
; %bb.186:                              ;   in Loop: Header=BB2_128 Depth=2
	s_delay_alu instid0(VALU_DEP_2) | instskip(NEXT) | instid1(VALU_DEP_1)
	v_clz_i32_u32_e32 v97, v34
	v_min_u32_e32 v97, 32, v97
	s_delay_alu instid0(VALU_DEP_1) | instskip(NEXT) | instid1(VALU_DEP_1)
	v_subrev_nc_u32_e32 v98, 28, v97
	v_lshlrev_b64_e32 v[98:99], v98, v[34:35]
	s_delay_alu instid0(VALU_DEP_1)
	v_dual_sub_nc_u32 v97, 29, v97 :: v_dual_bitop2_b32 v34, 7, v98 bitop3:0x40
; %bb.187:                              ;   in Loop: Header=BB2_128 Depth=2
	s_or_b32 exec_lo, exec_lo, s44
	s_delay_alu instid0(VALU_DEP_1) | instskip(NEXT) | instid1(VALU_DEP_2)
	v_dual_lshlrev_b32 v96, 24, v96 :: v_dual_lshlrev_b32 v34, 20, v34
	v_lshl_add_u32 v97, v97, 23, 0x3c000000
	s_delay_alu instid0(VALU_DEP_2) | instskip(NEXT) | instid1(VALU_DEP_1)
	v_and_b32_e32 v96, 0x80000000, v96
	v_or3_b32 v34, v34, v96, v97
.LBB2_188:                              ;   in Loop: Header=BB2_128 Depth=2
	s_or_b32 exec_lo, exec_lo, s43
.LBB2_189:                              ;   in Loop: Header=BB2_128 Depth=2
	s_delay_alu instid0(SALU_CYCLE_1)
	s_or_b32 exec_lo, exec_lo, s42
.LBB2_190:                              ;   in Loop: Header=BB2_128 Depth=2
	s_delay_alu instid0(SALU_CYCLE_1) | instskip(NEXT) | instid1(VALU_DEP_1)
	s_or_b32 exec_lo, exec_lo, s11
	v_mul_f32_e32 v96, s12, v34
                                        ; implicit-def: $vgpr41
	s_mov_b32 s11, exec_lo
	s_delay_alu instid0(VALU_DEP_1) | instskip(SKIP_1) | instid1(VALU_DEP_2)
	v_and_b32_e32 v34, 0x7f800000, v96
	v_lshrrev_b32_e32 v97, 24, v96
	v_cmpx_ne_u64_e32 0x7f800000, v[34:35]
	s_xor_b32 s42, exec_lo, s11
	s_cbranch_execz .LBB2_204
; %bb.191:                              ;   in Loop: Header=BB2_128 Depth=2
	v_and_b32_e32 v34, 0x7fffffff, v96
	v_and_b32_e32 v100, 0x80, v97
                                        ; implicit-def: $vgpr41
	s_mov_b32 s11, exec_lo
	s_delay_alu instid0(VALU_DEP_2)
	v_cmpx_gt_u64_e32 0x43e00001, v[34:35]
	s_xor_b32 s43, exec_lo, s11
	s_cbranch_execz .LBB2_201
; %bb.192:                              ;   in Loop: Header=BB2_128 Depth=2
	v_mov_b32_e32 v41, 0
	s_mov_b32 s44, exec_lo
	v_cmpx_ne_u32_e32 0, v96
	s_cbranch_execz .LBB2_200
; %bb.193:                              ;   in Loop: Header=BB2_128 Depth=2
	v_bfe_u32 v101, v96, 23, 8
	s_delay_alu instid0(VALU_DEP_1) | instskip(SKIP_1) | instid1(VALU_DEP_2)
	v_sub_nc_u32_e32 v34, 0x79, v101
	v_cmp_gt_u32_e32 vcc_lo, 0x7a, v101
	v_cndmask_b32_e32 v34, 0, v34, vcc_lo
	v_cmp_eq_u32_e32 vcc_lo, 0, v101
	s_delay_alu instid0(VALU_DEP_2) | instskip(SKIP_1) | instid1(VALU_DEP_2)
	v_cndmask_b32_e64 v40, v34, 0x78, vcc_lo
	v_and_b32_e32 v34, 0x7fffff, v96
	v_add_nc_u32_e32 v96, 20, v40
	s_delay_alu instid0(VALU_DEP_2) | instskip(SKIP_1) | instid1(VALU_DEP_3)
	v_or_b32_e32 v98, 0x800000, v34
	v_add_nc_u32_e32 v99, 19, v40
	v_lshlrev_b64_e64 v[96:97], v96, -1
	s_delay_alu instid0(VALU_DEP_3) | instskip(NEXT) | instid1(VALU_DEP_3)
	v_cndmask_b32_e32 v34, v98, v34, vcc_lo
	v_lshlrev_b64_e64 v[98:99], v99, 1
	s_delay_alu instid0(VALU_DEP_3) | instskip(NEXT) | instid1(VALU_DEP_3)
	v_bfi_b32 v43, v97, 0, 0
	v_bfi_b32 v42, v96, 0, v34
	v_lshrrev_b64 v[96:97], v40, v[34:35]
	s_delay_alu instid0(VALU_DEP_2) | instskip(NEXT) | instid1(VALU_DEP_2)
	v_cmp_eq_u64_e64 s11, v[42:43], v[98:99]
	v_mov_b64_e32 v[98:99], v[96:97]
	s_and_saveexec_b32 s45, s11
; %bb.194:                              ;   in Loop: Header=BB2_128 Depth=2
	v_bfe_u32 v34, v96, 20, 1
	s_delay_alu instid0(VALU_DEP_1) | instskip(NEXT) | instid1(VALU_DEP_1)
	v_add_nc_u64_e32 v[98:99], v[96:97], v[34:35]
	v_add_nc_u64_e32 v[98:99], -1, v[98:99]
; %bb.195:                              ;   in Loop: Header=BB2_128 Depth=2
	s_or_b32 exec_lo, exec_lo, s45
	v_add_nc_u32_e32 v34, 0xffffff81, v101
	v_lshrrev_b32_e32 v97, 23, v96
	s_mov_b32 s11, exec_lo
	s_delay_alu instid0(VALU_DEP_2) | instskip(NEXT) | instid1(VALU_DEP_1)
	v_cndmask_b32_e64 v34, v34, 0xffffff82, vcc_lo
	v_add3_u32 v99, v40, v34, v97
	v_and_b32_e32 v34, 0xfffff, v98
                                        ; implicit-def: $vgpr98
	s_delay_alu instid0(VALU_DEP_1) | instskip(NEXT) | instid1(VALU_DEP_1)
	v_dual_add_nc_u32 v101, 6, v99 :: v_dual_add_nc_u32 v34, v34, v96
                                        ; implicit-def: $vgpr96_vgpr97
	v_cmpx_ne_u32_e32 0, v101
	s_xor_b32 s11, exec_lo, s11
; %bb.196:                              ;   in Loop: Header=BB2_128 Depth=2
	s_delay_alu instid0(VALU_DEP_2) | instskip(SKIP_1) | instid1(VALU_DEP_1)
	v_cmp_lt_u64_e32 vcc_lo, 0xffffff, v[34:35]
	v_add_nc_u32_e32 v96, 7, v99
	v_cndmask_b32_e32 v98, v101, v96, vcc_lo
	v_cndmask_b32_e64 v96, 0, 1, vcc_lo
	s_delay_alu instid0(VALU_DEP_1)
	v_lshrrev_b64 v[96:97], v96, v[34:35]
; %bb.197:                              ;   in Loop: Header=BB2_128 Depth=2
	s_and_not1_saveexec_b32 s11, s11
; %bb.198:                              ;   in Loop: Header=BB2_128 Depth=2
	v_mov_b64_e32 v[96:97], v[34:35]
	v_bfe_u32 v98, v34, 23, 1
; %bb.199:                              ;   in Loop: Header=BB2_128 Depth=2
	s_or_b32 exec_lo, exec_lo, s11
	s_delay_alu instid0(VALU_DEP_2) | instskip(NEXT) | instid1(VALU_DEP_2)
	v_lshrrev_b64 v[96:97], 20, v[96:97]
	v_cmp_gt_i32_e32 vcc_lo, 16, v98
	v_min_i32_e32 v34, 15, v98
	v_cmp_eq_u32_e64 s11, 0, v98
	s_delay_alu instid0(VALU_DEP_2) | instskip(SKIP_1) | instid1(VALU_DEP_2)
	v_dual_cndmask_b32 v97, 0, v97 :: v_dual_lshlrev_b32 v34, 3, v34
	v_cndmask_b32_e32 v96, 7, v96, vcc_lo
	v_and_b32_e32 v34, 0xf8, v34
	s_delay_alu instid0(VALU_DEP_2) | instskip(NEXT) | instid1(VALU_DEP_2)
	v_cmp_eq_u64_e32 vcc_lo, 0, v[96:97]
	v_and_or_b32 v34, v96, 7, v34
	s_and_b32 s11, s11, vcc_lo
	s_delay_alu instid0(VALU_DEP_1) | instid1(SALU_CYCLE_1)
	v_cndmask_b32_e64 v34, v34, 0, s11
	s_delay_alu instid0(VALU_DEP_1)
	v_or_b32_e32 v41, v34, v100
.LBB2_200:                              ;   in Loop: Header=BB2_128 Depth=2
	s_or_b32 exec_lo, exec_lo, s44
                                        ; implicit-def: $vgpr100
.LBB2_201:                              ;   in Loop: Header=BB2_128 Depth=2
	s_and_not1_saveexec_b32 s11, s43
; %bb.202:                              ;   in Loop: Header=BB2_128 Depth=2
	v_or_b32_e32 v41, 0x7e, v100
; %bb.203:                              ;   in Loop: Header=BB2_128 Depth=2
	s_or_b32 exec_lo, exec_lo, s11
                                        ; implicit-def: $vgpr97
.LBB2_204:                              ;   in Loop: Header=BB2_128 Depth=2
	s_and_not1_saveexec_b32 s11, s42
; %bb.205:                              ;   in Loop: Header=BB2_128 Depth=2
	v_or_b32_e32 v41, 0x7f, v97
; %bb.206:                              ;   in Loop: Header=BB2_128 Depth=2
	s_or_b32 exec_lo, exec_lo, s11
	v_mov_b32_e32 v34, 0
	s_mov_b32 s11, exec_lo
	v_cmpx_lt_u32_e32 0xffffff, v10
	s_cbranch_execz .LBB2_214
; %bb.207:                              ;   in Loop: Header=BB2_128 Depth=2
	v_lshrrev_b32_e32 v96, 24, v10
	v_bfrev_b32_e32 v34, 1
	s_mov_b32 s42, exec_lo
	s_delay_alu instid0(VALU_DEP_2)
	v_cmpx_ne_u32_e32 0x80, v96
	s_cbranch_execz .LBB2_213
; %bb.208:                              ;   in Loop: Header=BB2_128 Depth=2
	v_bfe_u32 v98, v10, 24, 7
	v_mov_b32_e32 v34, 0x7f800001
	s_mov_b32 s43, exec_lo
	s_delay_alu instid0(VALU_DEP_2)
	v_cmpx_ne_u32_e32 0x7f, v98
	s_cbranch_execz .LBB2_212
; %bb.209:                              ;   in Loop: Header=BB2_128 Depth=2
	v_dual_lshrrev_b32 v97, 3, v98 :: v_dual_bitop2_b32 v34, 7, v96 bitop3:0x40
	s_mov_b32 s44, exec_lo
	v_cmpx_gt_u32_e32 8, v98
; %bb.210:                              ;   in Loop: Header=BB2_128 Depth=2
	s_delay_alu instid0(VALU_DEP_2) | instskip(NEXT) | instid1(VALU_DEP_1)
	v_clz_i32_u32_e32 v97, v34
	v_min_u32_e32 v97, 32, v97
	s_delay_alu instid0(VALU_DEP_1) | instskip(NEXT) | instid1(VALU_DEP_1)
	v_subrev_nc_u32_e32 v98, 28, v97
	v_lshlrev_b64_e32 v[98:99], v98, v[34:35]
	s_delay_alu instid0(VALU_DEP_1)
	v_dual_sub_nc_u32 v97, 29, v97 :: v_dual_bitop2_b32 v34, 7, v98 bitop3:0x40
; %bb.211:                              ;   in Loop: Header=BB2_128 Depth=2
	s_or_b32 exec_lo, exec_lo, s44
	s_delay_alu instid0(VALU_DEP_1) | instskip(NEXT) | instid1(VALU_DEP_2)
	v_dual_lshlrev_b32 v96, 24, v96 :: v_dual_lshlrev_b32 v34, 20, v34
	v_lshl_add_u32 v97, v97, 23, 0x3c000000
	s_delay_alu instid0(VALU_DEP_2) | instskip(NEXT) | instid1(VALU_DEP_1)
	v_and_b32_e32 v96, 0x80000000, v96
	v_or3_b32 v34, v34, v96, v97
.LBB2_212:                              ;   in Loop: Header=BB2_128 Depth=2
	s_or_b32 exec_lo, exec_lo, s43
.LBB2_213:                              ;   in Loop: Header=BB2_128 Depth=2
	s_delay_alu instid0(SALU_CYCLE_1)
	s_or_b32 exec_lo, exec_lo, s42
.LBB2_214:                              ;   in Loop: Header=BB2_128 Depth=2
	s_delay_alu instid0(SALU_CYCLE_1) | instskip(NEXT) | instid1(VALU_DEP_1)
	s_or_b32 exec_lo, exec_lo, s11
	v_mul_f32_e32 v96, s12, v34
                                        ; implicit-def: $vgpr44
	s_mov_b32 s11, exec_lo
	s_delay_alu instid0(VALU_DEP_1) | instskip(SKIP_1) | instid1(VALU_DEP_2)
	v_and_b32_e32 v34, 0x7f800000, v96
	v_lshrrev_b32_e32 v97, 24, v96
	v_cmpx_ne_u64_e32 0x7f800000, v[34:35]
	s_xor_b32 s42, exec_lo, s11
	s_cbranch_execz .LBB2_228
; %bb.215:                              ;   in Loop: Header=BB2_128 Depth=2
	v_and_b32_e32 v34, 0x7fffffff, v96
	v_and_b32_e32 v100, 0x80, v97
                                        ; implicit-def: $vgpr44
	s_mov_b32 s11, exec_lo
	s_delay_alu instid0(VALU_DEP_2)
	v_cmpx_gt_u64_e32 0x43e00001, v[34:35]
	s_xor_b32 s43, exec_lo, s11
	s_cbranch_execz .LBB2_225
; %bb.216:                              ;   in Loop: Header=BB2_128 Depth=2
	v_mov_b32_e32 v44, 0
	s_mov_b32 s44, exec_lo
	v_cmpx_ne_u32_e32 0, v96
	s_cbranch_execz .LBB2_224
; %bb.217:                              ;   in Loop: Header=BB2_128 Depth=2
	v_bfe_u32 v101, v96, 23, 8
	s_delay_alu instid0(VALU_DEP_1) | instskip(SKIP_1) | instid1(VALU_DEP_2)
	v_sub_nc_u32_e32 v34, 0x79, v101
	v_cmp_gt_u32_e32 vcc_lo, 0x7a, v101
	v_cndmask_b32_e32 v34, 0, v34, vcc_lo
	v_cmp_eq_u32_e32 vcc_lo, 0, v101
	s_delay_alu instid0(VALU_DEP_2) | instskip(SKIP_1) | instid1(VALU_DEP_2)
	v_cndmask_b32_e64 v40, v34, 0x78, vcc_lo
	v_and_b32_e32 v34, 0x7fffff, v96
	v_add_nc_u32_e32 v96, 20, v40
	s_delay_alu instid0(VALU_DEP_2) | instskip(SKIP_1) | instid1(VALU_DEP_3)
	v_or_b32_e32 v98, 0x800000, v34
	v_add_nc_u32_e32 v99, 19, v40
	v_lshlrev_b64_e64 v[96:97], v96, -1
	s_delay_alu instid0(VALU_DEP_3) | instskip(NEXT) | instid1(VALU_DEP_3)
	v_cndmask_b32_e32 v34, v98, v34, vcc_lo
	v_lshlrev_b64_e64 v[98:99], v99, 1
	s_delay_alu instid0(VALU_DEP_3) | instskip(NEXT) | instid1(VALU_DEP_3)
	v_bfi_b32 v43, v97, 0, 0
	v_bfi_b32 v42, v96, 0, v34
	v_lshrrev_b64 v[96:97], v40, v[34:35]
	s_delay_alu instid0(VALU_DEP_2) | instskip(NEXT) | instid1(VALU_DEP_2)
	v_cmp_eq_u64_e64 s11, v[42:43], v[98:99]
	v_mov_b64_e32 v[98:99], v[96:97]
	s_and_saveexec_b32 s45, s11
; %bb.218:                              ;   in Loop: Header=BB2_128 Depth=2
	v_bfe_u32 v34, v96, 20, 1
	s_delay_alu instid0(VALU_DEP_1) | instskip(NEXT) | instid1(VALU_DEP_1)
	v_add_nc_u64_e32 v[98:99], v[96:97], v[34:35]
	v_add_nc_u64_e32 v[98:99], -1, v[98:99]
; %bb.219:                              ;   in Loop: Header=BB2_128 Depth=2
	s_or_b32 exec_lo, exec_lo, s45
	v_add_nc_u32_e32 v34, 0xffffff81, v101
	v_lshrrev_b32_e32 v97, 23, v96
	s_mov_b32 s11, exec_lo
	s_delay_alu instid0(VALU_DEP_2) | instskip(NEXT) | instid1(VALU_DEP_1)
	v_cndmask_b32_e64 v34, v34, 0xffffff82, vcc_lo
	v_add3_u32 v99, v40, v34, v97
	v_and_b32_e32 v34, 0xfffff, v98
                                        ; implicit-def: $vgpr98
	s_delay_alu instid0(VALU_DEP_1) | instskip(NEXT) | instid1(VALU_DEP_1)
	v_dual_add_nc_u32 v101, 6, v99 :: v_dual_add_nc_u32 v34, v34, v96
                                        ; implicit-def: $vgpr96_vgpr97
	v_cmpx_ne_u32_e32 0, v101
	s_xor_b32 s11, exec_lo, s11
; %bb.220:                              ;   in Loop: Header=BB2_128 Depth=2
	s_delay_alu instid0(VALU_DEP_2) | instskip(SKIP_1) | instid1(VALU_DEP_1)
	v_cmp_lt_u64_e32 vcc_lo, 0xffffff, v[34:35]
	v_add_nc_u32_e32 v96, 7, v99
	v_cndmask_b32_e32 v98, v101, v96, vcc_lo
	v_cndmask_b32_e64 v96, 0, 1, vcc_lo
	s_delay_alu instid0(VALU_DEP_1)
	v_lshrrev_b64 v[96:97], v96, v[34:35]
; %bb.221:                              ;   in Loop: Header=BB2_128 Depth=2
	s_and_not1_saveexec_b32 s11, s11
; %bb.222:                              ;   in Loop: Header=BB2_128 Depth=2
	v_mov_b64_e32 v[96:97], v[34:35]
	v_bfe_u32 v98, v34, 23, 1
; %bb.223:                              ;   in Loop: Header=BB2_128 Depth=2
	s_or_b32 exec_lo, exec_lo, s11
	s_delay_alu instid0(VALU_DEP_2) | instskip(NEXT) | instid1(VALU_DEP_2)
	v_lshrrev_b64 v[96:97], 20, v[96:97]
	v_cmp_gt_i32_e32 vcc_lo, 16, v98
	v_min_i32_e32 v34, 15, v98
	v_cmp_eq_u32_e64 s11, 0, v98
	s_delay_alu instid0(VALU_DEP_2) | instskip(SKIP_1) | instid1(VALU_DEP_2)
	v_dual_cndmask_b32 v97, 0, v97 :: v_dual_lshlrev_b32 v34, 3, v34
	v_cndmask_b32_e32 v96, 7, v96, vcc_lo
	v_and_b32_e32 v34, 0xf8, v34
	s_delay_alu instid0(VALU_DEP_2) | instskip(NEXT) | instid1(VALU_DEP_2)
	v_cmp_eq_u64_e32 vcc_lo, 0, v[96:97]
	v_and_or_b32 v34, v96, 7, v34
	s_and_b32 s11, s11, vcc_lo
	s_delay_alu instid0(VALU_DEP_1) | instid1(SALU_CYCLE_1)
	v_cndmask_b32_e64 v34, v34, 0, s11
	s_delay_alu instid0(VALU_DEP_1)
	v_or_b32_e32 v44, v34, v100
.LBB2_224:                              ;   in Loop: Header=BB2_128 Depth=2
	s_or_b32 exec_lo, exec_lo, s44
                                        ; implicit-def: $vgpr100
.LBB2_225:                              ;   in Loop: Header=BB2_128 Depth=2
	s_and_not1_saveexec_b32 s11, s43
; %bb.226:                              ;   in Loop: Header=BB2_128 Depth=2
	v_or_b32_e32 v44, 0x7e, v100
; %bb.227:                              ;   in Loop: Header=BB2_128 Depth=2
	s_or_b32 exec_lo, exec_lo, s11
                                        ; implicit-def: $vgpr97
.LBB2_228:                              ;   in Loop: Header=BB2_128 Depth=2
	s_and_not1_saveexec_b32 s11, s42
; %bb.229:                              ;   in Loop: Header=BB2_128 Depth=2
	v_or_b32_e32 v44, 0x7f, v97
; %bb.230:                              ;   in Loop: Header=BB2_128 Depth=2
	s_or_b32 exec_lo, exec_lo, s11
	v_and_b32_e32 v97, 0xff, v11
	v_dual_mov_b32 v34, v11 :: v_dual_mov_b32 v96, 0
	s_mov_b32 s11, exec_lo
	s_delay_alu instid0(VALU_DEP_2)
	v_cmpx_ne_u16_e32 0, v97
	s_cbranch_execz .LBB2_236
; %bb.231:                              ;   in Loop: Header=BB2_128 Depth=2
	v_bfrev_b32_e32 v96, 1
	s_mov_b32 s42, exec_lo
	v_cmpx_ne_u16_e32 0x80, v97
	s_cbranch_execz .LBB2_235
; %bb.232:                              ;   in Loop: Header=BB2_128 Depth=2
	v_and_b32_e32 v97, 0x7f, v11
	v_mov_b32_e32 v96, 0x7f800001
	s_mov_b32 s43, exec_lo
	s_delay_alu instid0(VALU_DEP_2)
	v_cmpx_ne_u32_e32 0x7f, v97
	s_cbranch_execz .LBB2_234
; %bb.233:                              ;   in Loop: Header=BB2_128 Depth=2
	v_dual_lshrrev_b32 v98, 3, v97 :: v_dual_bitop2_b32 v96, 7, v11 bitop3:0x40
	v_cmp_gt_u32_e32 vcc_lo, 8, v97
	s_delay_alu instid0(VALU_DEP_2) | instskip(NEXT) | instid1(VALU_DEP_1)
	v_clz_i32_u32_e32 v96, v96
	v_min_u32_e32 v96, 32, v96
	s_delay_alu instid0(VALU_DEP_1) | instskip(SKIP_1) | instid1(VALU_DEP_1)
	v_subrev_nc_u32_e32 v99, 28, v96
	v_sub_nc_u32_e32 v96, 29, v96
	v_dual_cndmask_b32 v98, v98, v96, vcc_lo :: v_dual_cndmask_b32 v96, 0, v99, vcc_lo
	s_delay_alu instid0(VALU_DEP_1) | instskip(NEXT) | instid1(VALU_DEP_2)
	v_lshl_add_u32 v98, v98, 23, 0x3c000000
	v_lshlrev_b64_e32 v[96:97], v96, v[34:35]
	v_lshlrev_b32_e32 v97, 24, v34
	s_delay_alu instid0(VALU_DEP_1) | instskip(NEXT) | instid1(VALU_DEP_3)
	v_and_b32_e32 v97, 0x80000000, v97
	v_lshlrev_b32_e32 v96, 20, v96
	s_delay_alu instid0(VALU_DEP_1) | instskip(NEXT) | instid1(VALU_DEP_1)
	v_and_b32_e32 v96, 0x700000, v96
	v_or3_b32 v96, v96, v97, v98
.LBB2_234:                              ;   in Loop: Header=BB2_128 Depth=2
	s_or_b32 exec_lo, exec_lo, s43
.LBB2_235:                              ;   in Loop: Header=BB2_128 Depth=2
	s_delay_alu instid0(SALU_CYCLE_1)
	s_or_b32 exec_lo, exec_lo, s42
.LBB2_236:                              ;   in Loop: Header=BB2_128 Depth=2
	s_delay_alu instid0(SALU_CYCLE_1) | instskip(NEXT) | instid1(VALU_DEP_1)
	s_or_b32 exec_lo, exec_lo, s11
	v_dual_mul_f32 v96, s12, v96 :: v_dual_mov_b32 v99, v35
                                        ; implicit-def: $vgpr100
	s_mov_b32 s11, exec_lo
	s_delay_alu instid0(VALU_DEP_1) | instskip(SKIP_1) | instid1(VALU_DEP_2)
	v_and_b32_e32 v98, 0x7f800000, v96
	v_lshrrev_b32_e32 v97, 24, v96
	v_cmpx_ne_u64_e32 0x7f800000, v[98:99]
	s_xor_b32 s42, exec_lo, s11
	s_cbranch_execz .LBB2_250
; %bb.237:                              ;   in Loop: Header=BB2_128 Depth=2
	v_and_b32_e32 v98, 0x7fffffff, v96
	v_mov_b32_e32 v99, v35
	v_and_b32_e32 v101, 0x80, v97
                                        ; implicit-def: $vgpr100
	s_mov_b32 s11, exec_lo
	s_delay_alu instid0(VALU_DEP_2)
	v_cmpx_gt_u64_e32 0x43e00001, v[98:99]
	s_xor_b32 s43, exec_lo, s11
	s_cbranch_execz .LBB2_247
; %bb.238:                              ;   in Loop: Header=BB2_128 Depth=2
	v_mov_b32_e32 v100, 0
	s_mov_b32 s44, exec_lo
	v_cmpx_ne_u32_e32 0, v96
	s_cbranch_execz .LBB2_246
; %bb.239:                              ;   in Loop: Header=BB2_128 Depth=2
	v_bfe_u32 v100, v96, 23, 8
	v_and_b32_e32 v98, 0x7fffff, v96
	s_mov_b32 s45, exec_lo
	s_delay_alu instid0(VALU_DEP_2) | instskip(NEXT) | instid1(VALU_DEP_2)
	v_cmp_gt_u32_e32 vcc_lo, 0x7a, v100
	v_or_b32_e32 v99, 0x800000, v98
	v_sub_nc_u32_e32 v97, 0x79, v100
	s_delay_alu instid0(VALU_DEP_1) | instskip(SKIP_1) | instid1(VALU_DEP_2)
	v_cndmask_b32_e32 v97, 0, v97, vcc_lo
	v_cmp_eq_u32_e32 vcc_lo, 0, v100
	v_cndmask_b32_e64 v40, v97, 0x78, vcc_lo
	v_cndmask_b32_e32 v98, v99, v98, vcc_lo
	s_delay_alu instid0(VALU_DEP_2) | instskip(SKIP_1) | instid1(VALU_DEP_2)
	v_dual_mov_b32 v99, v35 :: v_dual_add_nc_u32 v42, 19, v40
	v_add_nc_u32_e32 v96, 20, v40
	v_lshlrev_b64_e64 v[42:43], v42, 1
	s_delay_alu instid0(VALU_DEP_2) | instskip(NEXT) | instid1(VALU_DEP_1)
	v_lshlrev_b64_e64 v[96:97], v96, -1
	v_bfi_b32 v47, v97, 0, 0
	s_delay_alu instid0(VALU_DEP_2) | instskip(SKIP_1) | instid1(VALU_DEP_1)
	v_bfi_b32 v46, v96, 0, v98
	v_lshrrev_b64 v[96:97], v40, v[98:99]
	v_mov_b64_e32 v[98:99], v[96:97]
	s_delay_alu instid0(VALU_DEP_3)
	v_cmpx_eq_u64_e64 v[46:47], v[42:43]
; %bb.240:                              ;   in Loop: Header=BB2_128 Depth=2
	v_bfe_u32 v98, v96, 20, 1
	v_mov_b32_e32 v99, v35
	s_delay_alu instid0(VALU_DEP_1) | instskip(NEXT) | instid1(VALU_DEP_1)
	v_add_nc_u64_e32 v[98:99], v[96:97], v[98:99]
	v_add_nc_u64_e32 v[98:99], -1, v[98:99]
; %bb.241:                              ;   in Loop: Header=BB2_128 Depth=2
	s_or_b32 exec_lo, exec_lo, s45
	v_add_nc_u32_e32 v97, 0xffffff81, v100
	v_lshrrev_b32_e32 v99, 23, v96
	s_mov_b32 s11, exec_lo
	s_delay_alu instid0(VALU_DEP_2) | instskip(NEXT) | instid1(VALU_DEP_1)
	v_cndmask_b32_e64 v97, v97, 0xffffff82, vcc_lo
	v_add3_u32 v99, v40, v97, v99
	v_and_b32_e32 v97, 0xfffff, v98
                                        ; implicit-def: $vgpr98
	s_delay_alu instid0(VALU_DEP_1) | instskip(SKIP_1) | instid1(VALU_DEP_2)
	v_dual_add_nc_u32 v100, 6, v99 :: v_dual_add_nc_u32 v96, v97, v96
	v_mov_b32_e32 v97, v35
	v_cmpx_ne_u32_e32 0, v100
	s_xor_b32 s11, exec_lo, s11
; %bb.242:                              ;   in Loop: Header=BB2_128 Depth=2
	s_delay_alu instid0(VALU_DEP_2) | instskip(SKIP_2) | instid1(VALU_DEP_2)
	v_cmp_lt_u64_e32 vcc_lo, 0xffffff, v[96:97]
	v_add_nc_u32_e32 v98, 7, v99
	v_cndmask_b32_e64 v99, 0, 1, vcc_lo
	v_cndmask_b32_e32 v98, v100, v98, vcc_lo
	s_delay_alu instid0(VALU_DEP_2)
	v_lshrrev_b64 v[96:97], v99, v[96:97]
; %bb.243:                              ;   in Loop: Header=BB2_128 Depth=2
	s_and_not1_saveexec_b32 s11, s11
; %bb.244:                              ;   in Loop: Header=BB2_128 Depth=2
	s_delay_alu instid0(VALU_DEP_1)
	v_bfe_u32 v98, v96, 23, 1
; %bb.245:                              ;   in Loop: Header=BB2_128 Depth=2
	s_or_b32 exec_lo, exec_lo, s11
	s_delay_alu instid0(VALU_DEP_2) | instskip(NEXT) | instid1(VALU_DEP_2)
	v_lshrrev_b64 v[96:97], 20, v[96:97]
	v_cmp_gt_i32_e32 vcc_lo, 16, v98
	v_min_i32_e32 v99, 15, v98
	v_cmp_eq_u32_e64 s11, 0, v98
	s_delay_alu instid0(VALU_DEP_2) | instskip(SKIP_1) | instid1(VALU_DEP_2)
	v_dual_cndmask_b32 v97, 0, v97, vcc_lo :: v_dual_lshlrev_b32 v99, 3, v99
	v_cndmask_b32_e32 v96, 7, v96, vcc_lo
	v_and_b32_e32 v99, 0xf8, v99
	s_delay_alu instid0(VALU_DEP_2) | instskip(NEXT) | instid1(VALU_DEP_2)
	v_cmp_eq_u64_e32 vcc_lo, 0, v[96:97]
	v_and_or_b32 v96, v96, 7, v99
	s_and_b32 s11, s11, vcc_lo
	s_delay_alu instid0(VALU_DEP_1) | instid1(SALU_CYCLE_1)
	v_cndmask_b32_e64 v96, v96, 0, s11
	s_delay_alu instid0(VALU_DEP_1)
	v_or_b32_e32 v100, v96, v101
.LBB2_246:                              ;   in Loop: Header=BB2_128 Depth=2
	s_or_b32 exec_lo, exec_lo, s44
                                        ; implicit-def: $vgpr101
.LBB2_247:                              ;   in Loop: Header=BB2_128 Depth=2
	s_and_not1_saveexec_b32 s11, s43
; %bb.248:                              ;   in Loop: Header=BB2_128 Depth=2
	v_or_b32_e32 v100, 0x7e, v101
; %bb.249:                              ;   in Loop: Header=BB2_128 Depth=2
	s_or_b32 exec_lo, exec_lo, s11
                                        ; implicit-def: $vgpr97
.LBB2_250:                              ;   in Loop: Header=BB2_128 Depth=2
	s_and_not1_saveexec_b32 s11, s42
; %bb.251:                              ;   in Loop: Header=BB2_128 Depth=2
	v_or_b32_e32 v100, 0x7f, v97
; %bb.252:                              ;   in Loop: Header=BB2_128 Depth=2
	s_or_b32 exec_lo, exec_lo, s11
	v_lshrrev_b16 v97, 8, v34
	v_mov_b32_e32 v96, 0
	s_mov_b32 s11, exec_lo
	s_delay_alu instid0(VALU_DEP_2)
	v_cmpx_ne_u16_e32 0, v97
	s_cbranch_execz .LBB2_260
; %bb.253:                              ;   in Loop: Header=BB2_128 Depth=2
	v_bfrev_b32_e32 v96, 1
	s_mov_b32 s42, exec_lo
	v_cmpx_ne_u16_e32 0x80, v97
	s_cbranch_execz .LBB2_259
; %bb.254:                              ;   in Loop: Header=BB2_128 Depth=2
	v_and_b32_e32 v97, 0xffff, v97
	v_mov_b32_e32 v96, 0x7f800001
	s_mov_b32 s43, exec_lo
	s_delay_alu instid0(VALU_DEP_2) | instskip(NEXT) | instid1(VALU_DEP_1)
	v_and_b32_e32 v99, 0x7f, v97
	v_cmpx_ne_u32_e32 0x7f, v99
	s_cbranch_execz .LBB2_258
; %bb.255:                              ;   in Loop: Header=BB2_128 Depth=2
	v_dual_mov_b32 v97, v35 :: v_dual_bitop2_b32 v96, 7, v97 bitop3:0x40
	v_lshrrev_b32_e32 v98, 3, v99
	s_mov_b32 s44, exec_lo
	v_cmpx_gt_u32_e32 8, v99
; %bb.256:                              ;   in Loop: Header=BB2_128 Depth=2
	s_delay_alu instid0(VALU_DEP_3) | instskip(NEXT) | instid1(VALU_DEP_1)
	v_clz_i32_u32_e32 v98, v96
	v_min_u32_e32 v98, 32, v98
	s_delay_alu instid0(VALU_DEP_1) | instskip(NEXT) | instid1(VALU_DEP_1)
	v_subrev_nc_u32_e32 v99, 28, v98
	v_lshlrev_b64_e32 v[96:97], v99, v[96:97]
	s_delay_alu instid0(VALU_DEP_1)
	v_dual_sub_nc_u32 v98, 29, v98 :: v_dual_bitop2_b32 v96, 7, v96 bitop3:0x40
; %bb.257:                              ;   in Loop: Header=BB2_128 Depth=2
	s_or_b32 exec_lo, exec_lo, s44
	s_delay_alu instid0(VALU_DEP_1) | instskip(NEXT) | instid1(VALU_DEP_2)
	v_dual_lshlrev_b32 v34, 16, v34 :: v_dual_lshlrev_b32 v96, 20, v96
	v_lshl_add_u32 v97, v98, 23, 0x3c000000
	s_delay_alu instid0(VALU_DEP_2) | instskip(NEXT) | instid1(VALU_DEP_1)
	v_and_b32_e32 v34, 0x80000000, v34
	v_or3_b32 v96, v96, v34, v97
.LBB2_258:                              ;   in Loop: Header=BB2_128 Depth=2
	s_or_b32 exec_lo, exec_lo, s43
.LBB2_259:                              ;   in Loop: Header=BB2_128 Depth=2
	s_delay_alu instid0(SALU_CYCLE_1)
	s_or_b32 exec_lo, exec_lo, s42
.LBB2_260:                              ;   in Loop: Header=BB2_128 Depth=2
	s_delay_alu instid0(SALU_CYCLE_1) | instskip(NEXT) | instid1(VALU_DEP_1)
	s_or_b32 exec_lo, exec_lo, s11
	v_mul_f32_e32 v96, s12, v96
                                        ; implicit-def: $vgpr101
	s_mov_b32 s11, exec_lo
	s_delay_alu instid0(VALU_DEP_1) | instskip(SKIP_1) | instid1(VALU_DEP_2)
	v_and_b32_e32 v34, 0x7f800000, v96
	v_lshrrev_b32_e32 v97, 24, v96
	v_cmpx_ne_u64_e32 0x7f800000, v[34:35]
	s_xor_b32 s42, exec_lo, s11
	s_cbranch_execz .LBB2_274
; %bb.261:                              ;   in Loop: Header=BB2_128 Depth=2
	v_and_b32_e32 v34, 0x7fffffff, v96
	v_and_b32_e32 v40, 0x80, v97
                                        ; implicit-def: $vgpr101
	s_mov_b32 s11, exec_lo
	s_delay_alu instid0(VALU_DEP_2)
	v_cmpx_gt_u64_e32 0x43e00001, v[34:35]
	s_xor_b32 s43, exec_lo, s11
	s_cbranch_execz .LBB2_271
; %bb.262:                              ;   in Loop: Header=BB2_128 Depth=2
	v_mov_b32_e32 v101, 0
	s_mov_b32 s44, exec_lo
	v_cmpx_ne_u32_e32 0, v96
	s_cbranch_execz .LBB2_270
; %bb.263:                              ;   in Loop: Header=BB2_128 Depth=2
	v_bfe_u32 v101, v96, 23, 8
	s_delay_alu instid0(VALU_DEP_1) | instskip(SKIP_1) | instid1(VALU_DEP_2)
	v_sub_nc_u32_e32 v34, 0x79, v101
	v_cmp_gt_u32_e32 vcc_lo, 0x7a, v101
	v_cndmask_b32_e32 v34, 0, v34, vcc_lo
	v_cmp_eq_u32_e32 vcc_lo, 0, v101
	s_delay_alu instid0(VALU_DEP_2) | instskip(SKIP_1) | instid1(VALU_DEP_2)
	v_cndmask_b32_e64 v42, v34, 0x78, vcc_lo
	v_and_b32_e32 v34, 0x7fffff, v96
	v_dual_add_nc_u32 v96, 20, v42 :: v_dual_add_nc_u32 v99, 19, v42
	s_delay_alu instid0(VALU_DEP_2) | instskip(NEXT) | instid1(VALU_DEP_2)
	v_or_b32_e32 v98, 0x800000, v34
	v_lshlrev_b64_e64 v[96:97], v96, -1
	s_delay_alu instid0(VALU_DEP_2) | instskip(NEXT) | instid1(VALU_DEP_4)
	v_cndmask_b32_e32 v34, v98, v34, vcc_lo
	v_lshlrev_b64_e64 v[98:99], v99, 1
	s_delay_alu instid0(VALU_DEP_3) | instskip(NEXT) | instid1(VALU_DEP_3)
	v_bfi_b32 v47, v97, 0, 0
	v_bfi_b32 v46, v96, 0, v34
	v_lshrrev_b64 v[96:97], v42, v[34:35]
	s_delay_alu instid0(VALU_DEP_2) | instskip(NEXT) | instid1(VALU_DEP_2)
	v_cmp_eq_u64_e64 s11, v[46:47], v[98:99]
	v_mov_b64_e32 v[98:99], v[96:97]
	s_and_saveexec_b32 s45, s11
; %bb.264:                              ;   in Loop: Header=BB2_128 Depth=2
	v_bfe_u32 v34, v96, 20, 1
	s_delay_alu instid0(VALU_DEP_1) | instskip(NEXT) | instid1(VALU_DEP_1)
	v_add_nc_u64_e32 v[98:99], v[96:97], v[34:35]
	v_add_nc_u64_e32 v[98:99], -1, v[98:99]
; %bb.265:                              ;   in Loop: Header=BB2_128 Depth=2
	s_or_b32 exec_lo, exec_lo, s45
	v_add_nc_u32_e32 v34, 0xffffff81, v101
	v_lshrrev_b32_e32 v97, 23, v96
	s_mov_b32 s11, exec_lo
	s_delay_alu instid0(VALU_DEP_2) | instskip(NEXT) | instid1(VALU_DEP_1)
	v_cndmask_b32_e64 v34, v34, 0xffffff82, vcc_lo
	v_add3_u32 v99, v42, v34, v97
	v_and_b32_e32 v34, 0xfffff, v98
                                        ; implicit-def: $vgpr98
	s_delay_alu instid0(VALU_DEP_1) | instskip(NEXT) | instid1(VALU_DEP_1)
	v_dual_add_nc_u32 v101, 6, v99 :: v_dual_add_nc_u32 v34, v34, v96
                                        ; implicit-def: $vgpr96_vgpr97
	v_cmpx_ne_u32_e32 0, v101
	s_xor_b32 s11, exec_lo, s11
; %bb.266:                              ;   in Loop: Header=BB2_128 Depth=2
	s_delay_alu instid0(VALU_DEP_2) | instskip(SKIP_1) | instid1(VALU_DEP_1)
	v_cmp_lt_u64_e32 vcc_lo, 0xffffff, v[34:35]
	v_add_nc_u32_e32 v96, 7, v99
	v_cndmask_b32_e32 v98, v101, v96, vcc_lo
	v_cndmask_b32_e64 v96, 0, 1, vcc_lo
	s_delay_alu instid0(VALU_DEP_1)
	v_lshrrev_b64 v[96:97], v96, v[34:35]
; %bb.267:                              ;   in Loop: Header=BB2_128 Depth=2
	s_and_not1_saveexec_b32 s11, s11
; %bb.268:                              ;   in Loop: Header=BB2_128 Depth=2
	v_mov_b64_e32 v[96:97], v[34:35]
	v_bfe_u32 v98, v34, 23, 1
; %bb.269:                              ;   in Loop: Header=BB2_128 Depth=2
	s_or_b32 exec_lo, exec_lo, s11
	s_delay_alu instid0(VALU_DEP_2) | instskip(NEXT) | instid1(VALU_DEP_2)
	v_lshrrev_b64 v[96:97], 20, v[96:97]
	v_cmp_gt_i32_e32 vcc_lo, 16, v98
	v_min_i32_e32 v34, 15, v98
	v_cmp_eq_u32_e64 s11, 0, v98
	s_delay_alu instid0(VALU_DEP_2) | instskip(SKIP_1) | instid1(VALU_DEP_2)
	v_dual_cndmask_b32 v97, 0, v97 :: v_dual_lshlrev_b32 v34, 3, v34
	v_cndmask_b32_e32 v96, 7, v96, vcc_lo
	v_and_b32_e32 v34, 0xf8, v34
	s_delay_alu instid0(VALU_DEP_2) | instskip(NEXT) | instid1(VALU_DEP_2)
	v_cmp_eq_u64_e32 vcc_lo, 0, v[96:97]
	v_and_or_b32 v34, v96, 7, v34
	s_and_b32 s11, s11, vcc_lo
	s_delay_alu instid0(VALU_DEP_1) | instid1(SALU_CYCLE_1)
	v_cndmask_b32_e64 v34, v34, 0, s11
	s_delay_alu instid0(VALU_DEP_1)
	v_or_b32_e32 v101, v34, v40
.LBB2_270:                              ;   in Loop: Header=BB2_128 Depth=2
	s_or_b32 exec_lo, exec_lo, s44
                                        ; implicit-def: $vgpr40
.LBB2_271:                              ;   in Loop: Header=BB2_128 Depth=2
	s_and_not1_saveexec_b32 s11, s43
; %bb.272:                              ;   in Loop: Header=BB2_128 Depth=2
	v_or_b32_e32 v101, 0x7e, v40
; %bb.273:                              ;   in Loop: Header=BB2_128 Depth=2
	s_or_b32 exec_lo, exec_lo, s11
                                        ; implicit-def: $vgpr97
.LBB2_274:                              ;   in Loop: Header=BB2_128 Depth=2
	s_and_not1_saveexec_b32 s11, s42
; %bb.275:                              ;   in Loop: Header=BB2_128 Depth=2
	v_or_b32_e32 v101, 0x7f, v97
; %bb.276:                              ;   in Loop: Header=BB2_128 Depth=2
	s_or_b32 exec_lo, exec_lo, s11
	v_dual_lshrrev_b32 v96, 16, v11 :: v_dual_mov_b32 v34, 0
	s_mov_b32 s11, exec_lo
	s_delay_alu instid0(VALU_DEP_1) | instskip(NEXT) | instid1(VALU_DEP_1)
	v_and_b32_e32 v97, 0xff, v96
	v_cmpx_ne_u16_e32 0, v97
	s_cbranch_execz .LBB2_284
; %bb.277:                              ;   in Loop: Header=BB2_128 Depth=2
	v_bfrev_b32_e32 v34, 1
	s_mov_b32 s42, exec_lo
	v_cmpx_ne_u16_e32 0x80, v97
	s_cbranch_execz .LBB2_283
; %bb.278:                              ;   in Loop: Header=BB2_128 Depth=2
	v_bfe_u32 v98, v11, 16, 7
	v_mov_b32_e32 v34, 0x7f800001
	s_mov_b32 s43, exec_lo
	s_delay_alu instid0(VALU_DEP_2)
	v_cmpx_ne_u32_e32 0x7f, v98
	s_cbranch_execz .LBB2_282
; %bb.279:                              ;   in Loop: Header=BB2_128 Depth=2
	v_dual_lshrrev_b32 v97, 3, v98 :: v_dual_bitop2_b32 v34, 7, v96 bitop3:0x40
	s_mov_b32 s44, exec_lo
	v_cmpx_gt_u32_e32 8, v98
; %bb.280:                              ;   in Loop: Header=BB2_128 Depth=2
	s_delay_alu instid0(VALU_DEP_2) | instskip(NEXT) | instid1(VALU_DEP_1)
	v_clz_i32_u32_e32 v97, v34
	v_min_u32_e32 v97, 32, v97
	s_delay_alu instid0(VALU_DEP_1) | instskip(NEXT) | instid1(VALU_DEP_1)
	v_subrev_nc_u32_e32 v98, 28, v97
	v_lshlrev_b64_e32 v[98:99], v98, v[34:35]
	s_delay_alu instid0(VALU_DEP_1)
	v_dual_sub_nc_u32 v97, 29, v97 :: v_dual_bitop2_b32 v34, 7, v98 bitop3:0x40
; %bb.281:                              ;   in Loop: Header=BB2_128 Depth=2
	s_or_b32 exec_lo, exec_lo, s44
	s_delay_alu instid0(VALU_DEP_1) | instskip(NEXT) | instid1(VALU_DEP_2)
	v_dual_lshlrev_b32 v96, 24, v96 :: v_dual_lshlrev_b32 v34, 20, v34
	v_lshl_add_u32 v97, v97, 23, 0x3c000000
	s_delay_alu instid0(VALU_DEP_2) | instskip(NEXT) | instid1(VALU_DEP_1)
	v_and_b32_e32 v96, 0x80000000, v96
	v_or3_b32 v34, v34, v96, v97
.LBB2_282:                              ;   in Loop: Header=BB2_128 Depth=2
	s_or_b32 exec_lo, exec_lo, s43
.LBB2_283:                              ;   in Loop: Header=BB2_128 Depth=2
	s_delay_alu instid0(SALU_CYCLE_1)
	s_or_b32 exec_lo, exec_lo, s42
.LBB2_284:                              ;   in Loop: Header=BB2_128 Depth=2
	s_delay_alu instid0(SALU_CYCLE_1) | instskip(NEXT) | instid1(VALU_DEP_1)
	s_or_b32 exec_lo, exec_lo, s11
	v_mul_f32_e32 v96, s12, v34
                                        ; implicit-def: $vgpr59
	s_mov_b32 s11, exec_lo
	s_delay_alu instid0(VALU_DEP_1) | instskip(SKIP_1) | instid1(VALU_DEP_2)
	v_and_b32_e32 v34, 0x7f800000, v96
	v_lshrrev_b32_e32 v97, 24, v96
	v_cmpx_ne_u64_e32 0x7f800000, v[34:35]
	s_xor_b32 s42, exec_lo, s11
	s_cbranch_execz .LBB2_298
; %bb.285:                              ;   in Loop: Header=BB2_128 Depth=2
	v_and_b32_e32 v34, 0x7fffffff, v96
	v_and_b32_e32 v40, 0x80, v97
                                        ; implicit-def: $vgpr59
	s_mov_b32 s11, exec_lo
	s_delay_alu instid0(VALU_DEP_2)
	v_cmpx_gt_u64_e32 0x43e00001, v[34:35]
	s_xor_b32 s43, exec_lo, s11
	s_cbranch_execz .LBB2_295
; %bb.286:                              ;   in Loop: Header=BB2_128 Depth=2
	v_mov_b32_e32 v59, 0
	s_mov_b32 s44, exec_lo
	v_cmpx_ne_u32_e32 0, v96
	s_cbranch_execz .LBB2_294
; %bb.287:                              ;   in Loop: Header=BB2_128 Depth=2
	v_bfe_u32 v42, v96, 23, 8
	s_delay_alu instid0(VALU_DEP_1) | instskip(SKIP_1) | instid1(VALU_DEP_2)
	v_sub_nc_u32_e32 v34, 0x79, v42
	v_cmp_gt_u32_e32 vcc_lo, 0x7a, v42
	v_cndmask_b32_e32 v34, 0, v34, vcc_lo
	v_cmp_eq_u32_e32 vcc_lo, 0, v42
	s_delay_alu instid0(VALU_DEP_2) | instskip(SKIP_1) | instid1(VALU_DEP_2)
	v_cndmask_b32_e64 v43, v34, 0x78, vcc_lo
	v_and_b32_e32 v34, 0x7fffff, v96
	v_add_nc_u32_e32 v96, 20, v43
	s_delay_alu instid0(VALU_DEP_2) | instskip(SKIP_1) | instid1(VALU_DEP_3)
	v_or_b32_e32 v98, 0x800000, v34
	v_add_nc_u32_e32 v99, 19, v43
	v_lshlrev_b64_e64 v[96:97], v96, -1
	s_delay_alu instid0(VALU_DEP_3) | instskip(NEXT) | instid1(VALU_DEP_3)
	v_cndmask_b32_e32 v34, v98, v34, vcc_lo
	v_lshlrev_b64_e64 v[98:99], v99, 1
	s_delay_alu instid0(VALU_DEP_3) | instskip(NEXT) | instid1(VALU_DEP_3)
	v_bfi_b32 v47, v97, 0, 0
	v_bfi_b32 v46, v96, 0, v34
	v_lshrrev_b64 v[96:97], v43, v[34:35]
	s_delay_alu instid0(VALU_DEP_2) | instskip(NEXT) | instid1(VALU_DEP_2)
	v_cmp_eq_u64_e64 s11, v[46:47], v[98:99]
	v_mov_b64_e32 v[98:99], v[96:97]
	s_and_saveexec_b32 s45, s11
; %bb.288:                              ;   in Loop: Header=BB2_128 Depth=2
	v_bfe_u32 v34, v96, 20, 1
	s_delay_alu instid0(VALU_DEP_1) | instskip(NEXT) | instid1(VALU_DEP_1)
	v_add_nc_u64_e32 v[98:99], v[96:97], v[34:35]
	v_add_nc_u64_e32 v[98:99], -1, v[98:99]
; %bb.289:                              ;   in Loop: Header=BB2_128 Depth=2
	s_or_b32 exec_lo, exec_lo, s45
	v_add_nc_u32_e32 v34, 0xffffff81, v42
	v_lshrrev_b32_e32 v97, 23, v96
	s_mov_b32 s11, exec_lo
	s_delay_alu instid0(VALU_DEP_2) | instskip(NEXT) | instid1(VALU_DEP_1)
	v_cndmask_b32_e64 v34, v34, 0xffffff82, vcc_lo
	v_add3_u32 v99, v43, v34, v97
	v_and_b32_e32 v34, 0xfffff, v98
                                        ; implicit-def: $vgpr98
	s_delay_alu instid0(VALU_DEP_1) | instskip(NEXT) | instid1(VALU_DEP_1)
	v_dual_add_nc_u32 v42, 6, v99 :: v_dual_add_nc_u32 v34, v34, v96
                                        ; implicit-def: $vgpr96_vgpr97
	v_cmpx_ne_u32_e32 0, v42
	s_xor_b32 s11, exec_lo, s11
; %bb.290:                              ;   in Loop: Header=BB2_128 Depth=2
	s_delay_alu instid0(VALU_DEP_2) | instskip(SKIP_1) | instid1(VALU_DEP_1)
	v_cmp_lt_u64_e32 vcc_lo, 0xffffff, v[34:35]
	v_add_nc_u32_e32 v96, 7, v99
	v_cndmask_b32_e32 v98, v42, v96, vcc_lo
	v_cndmask_b32_e64 v96, 0, 1, vcc_lo
	s_delay_alu instid0(VALU_DEP_1)
	v_lshrrev_b64 v[96:97], v96, v[34:35]
; %bb.291:                              ;   in Loop: Header=BB2_128 Depth=2
	s_and_not1_saveexec_b32 s11, s11
; %bb.292:                              ;   in Loop: Header=BB2_128 Depth=2
	v_mov_b64_e32 v[96:97], v[34:35]
	v_bfe_u32 v98, v34, 23, 1
; %bb.293:                              ;   in Loop: Header=BB2_128 Depth=2
	s_or_b32 exec_lo, exec_lo, s11
	s_delay_alu instid0(VALU_DEP_2) | instskip(NEXT) | instid1(VALU_DEP_2)
	v_lshrrev_b64 v[96:97], 20, v[96:97]
	v_cmp_gt_i32_e32 vcc_lo, 16, v98
	v_min_i32_e32 v34, 15, v98
	v_cmp_eq_u32_e64 s11, 0, v98
	s_delay_alu instid0(VALU_DEP_2) | instskip(SKIP_1) | instid1(VALU_DEP_2)
	v_dual_cndmask_b32 v97, 0, v97 :: v_dual_lshlrev_b32 v34, 3, v34
	v_cndmask_b32_e32 v96, 7, v96, vcc_lo
	v_and_b32_e32 v34, 0xf8, v34
	s_delay_alu instid0(VALU_DEP_2) | instskip(NEXT) | instid1(VALU_DEP_2)
	v_cmp_eq_u64_e32 vcc_lo, 0, v[96:97]
	v_and_or_b32 v34, v96, 7, v34
	s_and_b32 s11, s11, vcc_lo
	s_delay_alu instid0(VALU_DEP_1) | instid1(SALU_CYCLE_1)
	v_cndmask_b32_e64 v34, v34, 0, s11
	s_delay_alu instid0(VALU_DEP_1)
	v_or_b32_e32 v59, v34, v40
.LBB2_294:                              ;   in Loop: Header=BB2_128 Depth=2
	s_or_b32 exec_lo, exec_lo, s44
                                        ; implicit-def: $vgpr40
.LBB2_295:                              ;   in Loop: Header=BB2_128 Depth=2
	s_and_not1_saveexec_b32 s11, s43
; %bb.296:                              ;   in Loop: Header=BB2_128 Depth=2
	v_or_b32_e32 v59, 0x7e, v40
; %bb.297:                              ;   in Loop: Header=BB2_128 Depth=2
	s_or_b32 exec_lo, exec_lo, s11
                                        ; implicit-def: $vgpr97
.LBB2_298:                              ;   in Loop: Header=BB2_128 Depth=2
	s_and_not1_saveexec_b32 s11, s42
; %bb.299:                              ;   in Loop: Header=BB2_128 Depth=2
	v_or_b32_e32 v59, 0x7f, v97
; %bb.300:                              ;   in Loop: Header=BB2_128 Depth=2
	s_or_b32 exec_lo, exec_lo, s11
	v_mov_b32_e32 v34, 0
	s_mov_b32 s11, exec_lo
	v_cmpx_lt_u64_e64 s[14:15], v[10:11]
	s_cbranch_execz .LBB2_308
; %bb.301:                              ;   in Loop: Header=BB2_128 Depth=2
	v_lshrrev_b32_e32 v10, 24, v11
	v_bfrev_b32_e32 v34, 1
	s_mov_b32 s42, exec_lo
	s_delay_alu instid0(VALU_DEP_2)
	v_cmpx_ne_u32_e32 0x80, v10
	s_cbranch_execz .LBB2_307
; %bb.302:                              ;   in Loop: Header=BB2_128 Depth=2
	v_bfe_u32 v96, v11, 24, 7
	v_mov_b32_e32 v34, 0x7f800001
	s_mov_b32 s43, exec_lo
	s_delay_alu instid0(VALU_DEP_2)
	v_cmpx_ne_u32_e32 0x7f, v96
	s_cbranch_execz .LBB2_306
; %bb.303:                              ;   in Loop: Header=BB2_128 Depth=2
	v_dual_lshrrev_b32 v11, 3, v96 :: v_dual_bitop2_b32 v34, 7, v10 bitop3:0x40
	s_mov_b32 s44, exec_lo
	v_cmpx_gt_u32_e32 8, v96
; %bb.304:                              ;   in Loop: Header=BB2_128 Depth=2
	s_delay_alu instid0(VALU_DEP_2) | instskip(NEXT) | instid1(VALU_DEP_1)
	v_clz_i32_u32_e32 v11, v34
	v_min_u32_e32 v11, 32, v11
	s_delay_alu instid0(VALU_DEP_1) | instskip(NEXT) | instid1(VALU_DEP_1)
	v_subrev_nc_u32_e32 v96, 28, v11
	v_lshlrev_b64_e32 v[96:97], v96, v[34:35]
	s_delay_alu instid0(VALU_DEP_1)
	v_dual_sub_nc_u32 v11, 29, v11 :: v_dual_bitop2_b32 v34, 7, v96 bitop3:0x40
; %bb.305:                              ;   in Loop: Header=BB2_128 Depth=2
	s_or_b32 exec_lo, exec_lo, s44
	v_lshlrev_b32_e32 v10, 24, v10
	s_delay_alu instid0(VALU_DEP_2) | instskip(NEXT) | instid1(VALU_DEP_3)
	v_lshlrev_b32_e32 v34, 20, v34
	v_lshl_add_u32 v11, v11, 23, 0x3c000000
	s_delay_alu instid0(VALU_DEP_3) | instskip(NEXT) | instid1(VALU_DEP_1)
	v_and_b32_e32 v10, 0x80000000, v10
	v_or3_b32 v34, v34, v10, v11
.LBB2_306:                              ;   in Loop: Header=BB2_128 Depth=2
	s_or_b32 exec_lo, exec_lo, s43
.LBB2_307:                              ;   in Loop: Header=BB2_128 Depth=2
	s_delay_alu instid0(SALU_CYCLE_1)
	s_or_b32 exec_lo, exec_lo, s42
.LBB2_308:                              ;   in Loop: Header=BB2_128 Depth=2
	s_delay_alu instid0(SALU_CYCLE_1) | instskip(NEXT) | instid1(VALU_DEP_1)
	s_or_b32 exec_lo, exec_lo, s11
	v_mul_f32_e32 v10, s12, v34
                                        ; implicit-def: $vgpr60
	s_mov_b32 s11, exec_lo
	s_delay_alu instid0(VALU_DEP_1) | instskip(SKIP_1) | instid1(VALU_DEP_2)
	v_and_b32_e32 v34, 0x7f800000, v10
	v_lshrrev_b32_e32 v11, 24, v10
	v_cmpx_ne_u64_e32 0x7f800000, v[34:35]
	s_xor_b32 s42, exec_lo, s11
	s_cbranch_execz .LBB2_322
; %bb.309:                              ;   in Loop: Header=BB2_128 Depth=2
	v_and_b32_e32 v34, 0x7fffffff, v10
	v_and_b32_e32 v98, 0x80, v11
                                        ; implicit-def: $vgpr60
	s_mov_b32 s11, exec_lo
	s_delay_alu instid0(VALU_DEP_2)
	v_cmpx_gt_u64_e32 0x43e00001, v[34:35]
	s_xor_b32 s43, exec_lo, s11
	s_cbranch_execz .LBB2_319
; %bb.310:                              ;   in Loop: Header=BB2_128 Depth=2
	v_mov_b32_e32 v60, 0
	s_mov_b32 s44, exec_lo
	v_cmpx_ne_u32_e32 0, v10
	s_cbranch_execz .LBB2_318
; %bb.311:                              ;   in Loop: Header=BB2_128 Depth=2
	v_bfe_u32 v99, v10, 23, 8
	v_and_b32_e32 v34, 0x7fffff, v10
	s_delay_alu instid0(VALU_DEP_2) | instskip(NEXT) | instid1(VALU_DEP_2)
	v_cmp_gt_u32_e32 vcc_lo, 0x7a, v99
	v_or_b32_e32 v96, 0x800000, v34
	v_sub_nc_u32_e32 v11, 0x79, v99
	s_delay_alu instid0(VALU_DEP_1) | instskip(SKIP_1) | instid1(VALU_DEP_2)
	v_cndmask_b32_e32 v11, 0, v11, vcc_lo
	v_cmp_eq_u32_e32 vcc_lo, 0, v99
	v_cndmask_b32_e64 v40, v11, 0x78, vcc_lo
	s_delay_alu instid0(VALU_DEP_1) | instskip(SKIP_1) | instid1(VALU_DEP_2)
	v_dual_cndmask_b32 v34, v96, v34, vcc_lo :: v_dual_add_nc_u32 v10, 20, v40
	v_add_nc_u32_e32 v97, 19, v40
	v_lshlrev_b64_e64 v[10:11], v10, -1
	s_delay_alu instid0(VALU_DEP_2) | instskip(NEXT) | instid1(VALU_DEP_2)
	v_lshlrev_b64_e64 v[96:97], v97, 1
	v_bfi_b32 v43, v11, 0, 0
	s_delay_alu instid0(VALU_DEP_3) | instskip(SKIP_1) | instid1(VALU_DEP_2)
	v_bfi_b32 v42, v10, 0, v34
	v_lshrrev_b64 v[10:11], v40, v[34:35]
	v_cmp_eq_u64_e64 s11, v[42:43], v[96:97]
	s_delay_alu instid0(VALU_DEP_2)
	v_mov_b64_e32 v[96:97], v[10:11]
	s_and_saveexec_b32 s45, s11
; %bb.312:                              ;   in Loop: Header=BB2_128 Depth=2
	v_bfe_u32 v34, v10, 20, 1
	s_delay_alu instid0(VALU_DEP_1) | instskip(NEXT) | instid1(VALU_DEP_1)
	v_add_nc_u64_e32 v[96:97], v[10:11], v[34:35]
	v_add_nc_u64_e32 v[96:97], -1, v[96:97]
; %bb.313:                              ;   in Loop: Header=BB2_128 Depth=2
	s_or_b32 exec_lo, exec_lo, s45
	v_add_nc_u32_e32 v11, 0xffffff81, v99
	v_lshrrev_b32_e32 v34, 23, v10
	s_mov_b32 s11, exec_lo
	s_delay_alu instid0(VALU_DEP_2) | instskip(NEXT) | instid1(VALU_DEP_1)
	v_cndmask_b32_e64 v11, v11, 0xffffff82, vcc_lo
	v_add3_u32 v97, v40, v11, v34
	v_and_b32_e32 v11, 0xfffff, v96
                                        ; implicit-def: $vgpr96
	s_delay_alu instid0(VALU_DEP_1) | instskip(NEXT) | instid1(VALU_DEP_1)
	v_dual_add_nc_u32 v99, 6, v97 :: v_dual_add_nc_u32 v34, v11, v10
                                        ; implicit-def: $vgpr10_vgpr11
	v_cmpx_ne_u32_e32 0, v99
	s_xor_b32 s11, exec_lo, s11
; %bb.314:                              ;   in Loop: Header=BB2_128 Depth=2
	s_delay_alu instid0(VALU_DEP_2) | instskip(SKIP_1) | instid1(VALU_DEP_1)
	v_cmp_lt_u64_e32 vcc_lo, 0xffffff, v[34:35]
	v_add_nc_u32_e32 v10, 7, v97
	v_cndmask_b32_e32 v96, v99, v10, vcc_lo
	v_cndmask_b32_e64 v10, 0, 1, vcc_lo
	s_delay_alu instid0(VALU_DEP_1)
	v_lshrrev_b64 v[10:11], v10, v[34:35]
; %bb.315:                              ;   in Loop: Header=BB2_128 Depth=2
	s_and_not1_saveexec_b32 s11, s11
; %bb.316:                              ;   in Loop: Header=BB2_128 Depth=2
	v_mov_b64_e32 v[10:11], v[34:35]
	v_bfe_u32 v96, v34, 23, 1
; %bb.317:                              ;   in Loop: Header=BB2_128 Depth=2
	s_or_b32 exec_lo, exec_lo, s11
	s_delay_alu instid0(VALU_DEP_2) | instskip(NEXT) | instid1(VALU_DEP_2)
	v_lshrrev_b64 v[10:11], 20, v[10:11]
	v_cmp_gt_i32_e32 vcc_lo, 16, v96
	v_min_i32_e32 v34, 15, v96
	v_cmp_eq_u32_e64 s11, 0, v96
	s_delay_alu instid0(VALU_DEP_2) | instskip(SKIP_1) | instid1(VALU_DEP_2)
	v_dual_cndmask_b32 v11, 0, v11 :: v_dual_lshlrev_b32 v34, 3, v34
	v_cndmask_b32_e32 v10, 7, v10, vcc_lo
	v_and_b32_e32 v34, 0xf8, v34
	s_delay_alu instid0(VALU_DEP_2) | instskip(NEXT) | instid1(VALU_DEP_2)
	v_cmp_eq_u64_e32 vcc_lo, 0, v[10:11]
	v_and_or_b32 v10, v10, 7, v34
	s_and_b32 s11, s11, vcc_lo
	s_delay_alu instid0(VALU_DEP_1) | instid1(SALU_CYCLE_1)
	v_cndmask_b32_e64 v10, v10, 0, s11
	s_delay_alu instid0(VALU_DEP_1)
	v_or_b32_e32 v60, v10, v98
.LBB2_318:                              ;   in Loop: Header=BB2_128 Depth=2
	s_or_b32 exec_lo, exec_lo, s44
                                        ; implicit-def: $vgpr98
.LBB2_319:                              ;   in Loop: Header=BB2_128 Depth=2
	s_and_not1_saveexec_b32 s11, s43
; %bb.320:                              ;   in Loop: Header=BB2_128 Depth=2
	v_or_b32_e32 v60, 0x7e, v98
; %bb.321:                              ;   in Loop: Header=BB2_128 Depth=2
	s_or_b32 exec_lo, exec_lo, s11
                                        ; implicit-def: $vgpr11
.LBB2_322:                              ;   in Loop: Header=BB2_128 Depth=2
	s_and_not1_saveexec_b32 s11, s42
; %bb.323:                              ;   in Loop: Header=BB2_128 Depth=2
	v_or_b32_e32 v60, 0x7f, v11
; %bb.324:                              ;   in Loop: Header=BB2_128 Depth=2
	s_or_b32 exec_lo, exec_lo, s11
	v_and_b32_e32 v11, 0xff, v12
	v_mov_b32_e32 v10, 0
	s_mov_b32 s11, exec_lo
	s_delay_alu instid0(VALU_DEP_2)
	v_cmpx_ne_u16_e32 0, v11
	s_cbranch_execz .LBB2_330
; %bb.325:                              ;   in Loop: Header=BB2_128 Depth=2
	v_bfrev_b32_e32 v10, 1
	s_mov_b32 s42, exec_lo
	v_cmpx_ne_u16_e32 0x80, v11
	s_cbranch_execz .LBB2_329
; %bb.326:                              ;   in Loop: Header=BB2_128 Depth=2
	v_and_b32_e32 v11, 0x7f, v12
	v_mov_b32_e32 v10, 0x7f800001
	s_mov_b32 s43, exec_lo
	s_delay_alu instid0(VALU_DEP_2)
	v_cmpx_ne_u32_e32 0x7f, v11
	s_cbranch_execz .LBB2_328
; %bb.327:                              ;   in Loop: Header=BB2_128 Depth=2
	v_dual_lshrrev_b32 v34, 3, v11 :: v_dual_bitop2_b32 v10, 7, v12 bitop3:0x40
	v_cmp_gt_u32_e32 vcc_lo, 8, v11
	s_delay_alu instid0(VALU_DEP_2) | instskip(NEXT) | instid1(VALU_DEP_1)
	v_clz_i32_u32_e32 v10, v10
	v_min_u32_e32 v10, 32, v10
	s_delay_alu instid0(VALU_DEP_1) | instskip(SKIP_1) | instid1(VALU_DEP_1)
	v_subrev_nc_u32_e32 v96, 28, v10
	v_sub_nc_u32_e32 v10, 29, v10
	v_dual_cndmask_b32 v34, v34, v10, vcc_lo :: v_dual_cndmask_b32 v10, 0, v96, vcc_lo
	s_delay_alu instid0(VALU_DEP_1) | instskip(NEXT) | instid1(VALU_DEP_2)
	v_lshl_add_u32 v34, v34, 23, 0x3c000000
	v_lshlrev_b64_e32 v[10:11], v10, v[12:13]
	v_lshlrev_b32_e32 v11, 24, v12
	s_delay_alu instid0(VALU_DEP_1) | instskip(NEXT) | instid1(VALU_DEP_3)
	v_and_b32_e32 v11, 0x80000000, v11
	v_lshlrev_b32_e32 v10, 20, v10
	s_delay_alu instid0(VALU_DEP_1) | instskip(NEXT) | instid1(VALU_DEP_1)
	v_and_b32_e32 v10, 0x700000, v10
	v_or3_b32 v10, v10, v11, v34
.LBB2_328:                              ;   in Loop: Header=BB2_128 Depth=2
	s_or_b32 exec_lo, exec_lo, s43
.LBB2_329:                              ;   in Loop: Header=BB2_128 Depth=2
	s_delay_alu instid0(SALU_CYCLE_1)
	s_or_b32 exec_lo, exec_lo, s42
.LBB2_330:                              ;   in Loop: Header=BB2_128 Depth=2
	s_delay_alu instid0(SALU_CYCLE_1) | instskip(NEXT) | instid1(VALU_DEP_1)
	s_or_b32 exec_lo, exec_lo, s11
	v_mul_f32_e32 v10, s12, v10
                                        ; implicit-def: $vgpr43
	s_mov_b32 s11, exec_lo
	s_delay_alu instid0(VALU_DEP_1) | instskip(SKIP_1) | instid1(VALU_DEP_2)
	v_and_b32_e32 v34, 0x7f800000, v10
	v_lshrrev_b32_e32 v11, 24, v10
	v_cmpx_ne_u64_e32 0x7f800000, v[34:35]
	s_xor_b32 s42, exec_lo, s11
	s_cbranch_execz .LBB2_344
; %bb.331:                              ;   in Loop: Header=BB2_128 Depth=2
	v_and_b32_e32 v34, 0x7fffffff, v10
	v_and_b32_e32 v98, 0x80, v11
                                        ; implicit-def: $vgpr43
	s_mov_b32 s11, exec_lo
	s_delay_alu instid0(VALU_DEP_2)
	v_cmpx_gt_u64_e32 0x43e00001, v[34:35]
	s_xor_b32 s43, exec_lo, s11
	s_cbranch_execz .LBB2_341
; %bb.332:                              ;   in Loop: Header=BB2_128 Depth=2
	v_mov_b32_e32 v43, 0
	s_mov_b32 s44, exec_lo
	v_cmpx_ne_u32_e32 0, v10
	s_cbranch_execz .LBB2_340
; %bb.333:                              ;   in Loop: Header=BB2_128 Depth=2
	v_bfe_u32 v99, v10, 23, 8
	v_and_b32_e32 v34, 0x7fffff, v10
	s_delay_alu instid0(VALU_DEP_2) | instskip(NEXT) | instid1(VALU_DEP_2)
	v_cmp_gt_u32_e32 vcc_lo, 0x7a, v99
	v_or_b32_e32 v96, 0x800000, v34
	v_sub_nc_u32_e32 v11, 0x79, v99
	s_delay_alu instid0(VALU_DEP_1) | instskip(SKIP_1) | instid1(VALU_DEP_2)
	v_cndmask_b32_e32 v11, 0, v11, vcc_lo
	v_cmp_eq_u32_e32 vcc_lo, 0, v99
	v_cndmask_b32_e64 v40, v11, 0x78, vcc_lo
	s_delay_alu instid0(VALU_DEP_1) | instskip(SKIP_1) | instid1(VALU_DEP_2)
	v_dual_cndmask_b32 v34, v96, v34, vcc_lo :: v_dual_add_nc_u32 v10, 20, v40
	v_add_nc_u32_e32 v97, 19, v40
	v_lshlrev_b64_e64 v[10:11], v10, -1
	s_delay_alu instid0(VALU_DEP_2) | instskip(NEXT) | instid1(VALU_DEP_2)
	v_lshlrev_b64_e64 v[96:97], v97, 1
	v_bfi_b32 v43, v11, 0, 0
	s_delay_alu instid0(VALU_DEP_3) | instskip(SKIP_1) | instid1(VALU_DEP_2)
	v_bfi_b32 v42, v10, 0, v34
	v_lshrrev_b64 v[10:11], v40, v[34:35]
	v_cmp_eq_u64_e64 s11, v[42:43], v[96:97]
	s_delay_alu instid0(VALU_DEP_2)
	v_mov_b64_e32 v[96:97], v[10:11]
	s_and_saveexec_b32 s45, s11
; %bb.334:                              ;   in Loop: Header=BB2_128 Depth=2
	v_bfe_u32 v34, v10, 20, 1
	s_delay_alu instid0(VALU_DEP_1) | instskip(NEXT) | instid1(VALU_DEP_1)
	v_add_nc_u64_e32 v[96:97], v[10:11], v[34:35]
	v_add_nc_u64_e32 v[96:97], -1, v[96:97]
; %bb.335:                              ;   in Loop: Header=BB2_128 Depth=2
	s_or_b32 exec_lo, exec_lo, s45
	v_add_nc_u32_e32 v11, 0xffffff81, v99
	v_lshrrev_b32_e32 v34, 23, v10
	s_mov_b32 s11, exec_lo
	s_delay_alu instid0(VALU_DEP_2) | instskip(NEXT) | instid1(VALU_DEP_1)
	v_cndmask_b32_e64 v11, v11, 0xffffff82, vcc_lo
	v_add3_u32 v97, v40, v11, v34
	v_and_b32_e32 v11, 0xfffff, v96
                                        ; implicit-def: $vgpr96
	s_delay_alu instid0(VALU_DEP_1) | instskip(NEXT) | instid1(VALU_DEP_1)
	v_dual_add_nc_u32 v99, 6, v97 :: v_dual_add_nc_u32 v34, v11, v10
                                        ; implicit-def: $vgpr10_vgpr11
	v_cmpx_ne_u32_e32 0, v99
	s_xor_b32 s11, exec_lo, s11
; %bb.336:                              ;   in Loop: Header=BB2_128 Depth=2
	s_delay_alu instid0(VALU_DEP_2) | instskip(SKIP_1) | instid1(VALU_DEP_1)
	v_cmp_lt_u64_e32 vcc_lo, 0xffffff, v[34:35]
	v_add_nc_u32_e32 v10, 7, v97
	v_cndmask_b32_e32 v96, v99, v10, vcc_lo
	v_cndmask_b32_e64 v10, 0, 1, vcc_lo
	s_delay_alu instid0(VALU_DEP_1)
	v_lshrrev_b64 v[10:11], v10, v[34:35]
; %bb.337:                              ;   in Loop: Header=BB2_128 Depth=2
	s_and_not1_saveexec_b32 s11, s11
; %bb.338:                              ;   in Loop: Header=BB2_128 Depth=2
	v_mov_b64_e32 v[10:11], v[34:35]
	v_bfe_u32 v96, v34, 23, 1
; %bb.339:                              ;   in Loop: Header=BB2_128 Depth=2
	s_or_b32 exec_lo, exec_lo, s11
	s_delay_alu instid0(VALU_DEP_2) | instskip(NEXT) | instid1(VALU_DEP_2)
	v_lshrrev_b64 v[10:11], 20, v[10:11]
	v_cmp_gt_i32_e32 vcc_lo, 16, v96
	v_min_i32_e32 v34, 15, v96
	v_cmp_eq_u32_e64 s11, 0, v96
	s_delay_alu instid0(VALU_DEP_2) | instskip(SKIP_1) | instid1(VALU_DEP_2)
	v_dual_cndmask_b32 v11, 0, v11 :: v_dual_lshlrev_b32 v34, 3, v34
	v_cndmask_b32_e32 v10, 7, v10, vcc_lo
	v_and_b32_e32 v34, 0xf8, v34
	s_delay_alu instid0(VALU_DEP_2) | instskip(NEXT) | instid1(VALU_DEP_2)
	v_cmp_eq_u64_e32 vcc_lo, 0, v[10:11]
	v_and_or_b32 v10, v10, 7, v34
	s_and_b32 s11, s11, vcc_lo
	s_delay_alu instid0(VALU_DEP_1) | instid1(SALU_CYCLE_1)
	v_cndmask_b32_e64 v10, v10, 0, s11
	s_delay_alu instid0(VALU_DEP_1)
	v_or_b32_e32 v43, v10, v98
.LBB2_340:                              ;   in Loop: Header=BB2_128 Depth=2
	s_or_b32 exec_lo, exec_lo, s44
                                        ; implicit-def: $vgpr98
.LBB2_341:                              ;   in Loop: Header=BB2_128 Depth=2
	s_and_not1_saveexec_b32 s11, s43
; %bb.342:                              ;   in Loop: Header=BB2_128 Depth=2
	v_or_b32_e32 v43, 0x7e, v98
; %bb.343:                              ;   in Loop: Header=BB2_128 Depth=2
	s_or_b32 exec_lo, exec_lo, s11
                                        ; implicit-def: $vgpr11
.LBB2_344:                              ;   in Loop: Header=BB2_128 Depth=2
	s_and_not1_saveexec_b32 s11, s42
; %bb.345:                              ;   in Loop: Header=BB2_128 Depth=2
	v_or_b32_e32 v43, 0x7f, v11
; %bb.346:                              ;   in Loop: Header=BB2_128 Depth=2
	s_or_b32 exec_lo, exec_lo, s11
	v_lshrrev_b16 v11, 8, v12
	v_mov_b32_e32 v10, 0
	s_mov_b32 s11, exec_lo
	s_delay_alu instid0(VALU_DEP_2)
	v_cmpx_ne_u16_e32 0, v11
	s_cbranch_execz .LBB2_354
; %bb.347:                              ;   in Loop: Header=BB2_128 Depth=2
	v_bfrev_b32_e32 v10, 1
	s_mov_b32 s42, exec_lo
	v_cmpx_ne_u16_e32 0x80, v11
	s_cbranch_execz .LBB2_353
; %bb.348:                              ;   in Loop: Header=BB2_128 Depth=2
	v_and_b32_e32 v34, 0xffff, v11
	v_mov_b32_e32 v10, 0x7f800001
	s_mov_b32 s43, exec_lo
	s_delay_alu instid0(VALU_DEP_2) | instskip(NEXT) | instid1(VALU_DEP_1)
	v_and_b32_e32 v11, 0x7f, v34
	v_cmpx_ne_u32_e32 0x7f, v11
	s_cbranch_execz .LBB2_352
; %bb.349:                              ;   in Loop: Header=BB2_128 Depth=2
	v_dual_lshrrev_b32 v10, 3, v11 :: v_dual_bitop2_b32 v34, 7, v34 bitop3:0x40
	s_mov_b32 s44, exec_lo
	v_cmpx_gt_u32_e32 8, v11
; %bb.350:                              ;   in Loop: Header=BB2_128 Depth=2
	s_delay_alu instid0(VALU_DEP_2) | instskip(NEXT) | instid1(VALU_DEP_1)
	v_clz_i32_u32_e32 v10, v34
	v_min_u32_e32 v10, 32, v10
	s_delay_alu instid0(VALU_DEP_1) | instskip(NEXT) | instid1(VALU_DEP_1)
	v_subrev_nc_u32_e32 v11, 28, v10
	v_lshlrev_b64_e32 v[96:97], v11, v[34:35]
	s_delay_alu instid0(VALU_DEP_1)
	v_dual_sub_nc_u32 v10, 29, v10 :: v_dual_bitop2_b32 v34, 7, v96 bitop3:0x40
; %bb.351:                              ;   in Loop: Header=BB2_128 Depth=2
	s_or_b32 exec_lo, exec_lo, s44
	s_delay_alu instid0(VALU_DEP_1) | instskip(NEXT) | instid1(VALU_DEP_2)
	v_dual_lshlrev_b32 v11, 16, v12 :: v_dual_lshlrev_b32 v34, 20, v34
	v_lshl_add_u32 v10, v10, 23, 0x3c000000
	s_delay_alu instid0(VALU_DEP_2) | instskip(NEXT) | instid1(VALU_DEP_1)
	v_and_b32_e32 v11, 0x80000000, v11
	v_or3_b32 v10, v34, v11, v10
.LBB2_352:                              ;   in Loop: Header=BB2_128 Depth=2
	s_or_b32 exec_lo, exec_lo, s43
.LBB2_353:                              ;   in Loop: Header=BB2_128 Depth=2
	s_delay_alu instid0(SALU_CYCLE_1)
	s_or_b32 exec_lo, exec_lo, s42
.LBB2_354:                              ;   in Loop: Header=BB2_128 Depth=2
	s_delay_alu instid0(SALU_CYCLE_1) | instskip(NEXT) | instid1(VALU_DEP_1)
	s_or_b32 exec_lo, exec_lo, s11
	v_mul_f32_e32 v10, s12, v10
                                        ; implicit-def: $vgpr46
	s_mov_b32 s11, exec_lo
	s_delay_alu instid0(VALU_DEP_1) | instskip(SKIP_1) | instid1(VALU_DEP_2)
	v_and_b32_e32 v34, 0x7f800000, v10
	v_lshrrev_b32_e32 v11, 24, v10
	v_cmpx_ne_u64_e32 0x7f800000, v[34:35]
	s_xor_b32 s42, exec_lo, s11
	s_cbranch_execz .LBB2_368
; %bb.355:                              ;   in Loop: Header=BB2_128 Depth=2
	v_and_b32_e32 v34, 0x7fffffff, v10
	v_and_b32_e32 v98, 0x80, v11
                                        ; implicit-def: $vgpr46
	s_mov_b32 s11, exec_lo
	s_delay_alu instid0(VALU_DEP_2)
	v_cmpx_gt_u64_e32 0x43e00001, v[34:35]
	s_xor_b32 s43, exec_lo, s11
	s_cbranch_execz .LBB2_365
; %bb.356:                              ;   in Loop: Header=BB2_128 Depth=2
	v_mov_b32_e32 v46, 0
	s_mov_b32 s44, exec_lo
	v_cmpx_ne_u32_e32 0, v10
	s_cbranch_execz .LBB2_364
; %bb.357:                              ;   in Loop: Header=BB2_128 Depth=2
	v_bfe_u32 v99, v10, 23, 8
	v_and_b32_e32 v34, 0x7fffff, v10
	s_delay_alu instid0(VALU_DEP_2) | instskip(NEXT) | instid1(VALU_DEP_2)
	v_cmp_gt_u32_e32 vcc_lo, 0x7a, v99
	v_or_b32_e32 v96, 0x800000, v34
	v_sub_nc_u32_e32 v11, 0x79, v99
	s_delay_alu instid0(VALU_DEP_1) | instskip(SKIP_1) | instid1(VALU_DEP_2)
	v_cndmask_b32_e32 v11, 0, v11, vcc_lo
	v_cmp_eq_u32_e32 vcc_lo, 0, v99
	v_cndmask_b32_e64 v40, v11, 0x78, vcc_lo
	s_delay_alu instid0(VALU_DEP_1) | instskip(SKIP_1) | instid1(VALU_DEP_2)
	v_dual_cndmask_b32 v34, v96, v34, vcc_lo :: v_dual_add_nc_u32 v10, 20, v40
	v_add_nc_u32_e32 v97, 19, v40
	v_lshlrev_b64_e64 v[10:11], v10, -1
	s_delay_alu instid0(VALU_DEP_2) | instskip(NEXT) | instid1(VALU_DEP_2)
	v_lshlrev_b64_e64 v[96:97], v97, 1
	v_bfi_b32 v47, v11, 0, 0
	s_delay_alu instid0(VALU_DEP_3) | instskip(SKIP_1) | instid1(VALU_DEP_2)
	v_bfi_b32 v46, v10, 0, v34
	v_lshrrev_b64 v[10:11], v40, v[34:35]
	v_cmp_eq_u64_e64 s11, v[46:47], v[96:97]
	s_delay_alu instid0(VALU_DEP_2)
	v_mov_b64_e32 v[96:97], v[10:11]
	s_and_saveexec_b32 s45, s11
; %bb.358:                              ;   in Loop: Header=BB2_128 Depth=2
	v_bfe_u32 v34, v10, 20, 1
	s_delay_alu instid0(VALU_DEP_1) | instskip(NEXT) | instid1(VALU_DEP_1)
	v_add_nc_u64_e32 v[96:97], v[10:11], v[34:35]
	v_add_nc_u64_e32 v[96:97], -1, v[96:97]
; %bb.359:                              ;   in Loop: Header=BB2_128 Depth=2
	s_or_b32 exec_lo, exec_lo, s45
	v_add_nc_u32_e32 v11, 0xffffff81, v99
	v_lshrrev_b32_e32 v34, 23, v10
	s_mov_b32 s11, exec_lo
	s_delay_alu instid0(VALU_DEP_2) | instskip(NEXT) | instid1(VALU_DEP_1)
	v_cndmask_b32_e64 v11, v11, 0xffffff82, vcc_lo
	v_add3_u32 v97, v40, v11, v34
	v_and_b32_e32 v11, 0xfffff, v96
                                        ; implicit-def: $vgpr96
	s_delay_alu instid0(VALU_DEP_1) | instskip(NEXT) | instid1(VALU_DEP_1)
	v_dual_add_nc_u32 v99, 6, v97 :: v_dual_add_nc_u32 v34, v11, v10
                                        ; implicit-def: $vgpr10_vgpr11
	v_cmpx_ne_u32_e32 0, v99
	s_xor_b32 s11, exec_lo, s11
; %bb.360:                              ;   in Loop: Header=BB2_128 Depth=2
	s_delay_alu instid0(VALU_DEP_2) | instskip(SKIP_1) | instid1(VALU_DEP_1)
	v_cmp_lt_u64_e32 vcc_lo, 0xffffff, v[34:35]
	v_add_nc_u32_e32 v10, 7, v97
	v_cndmask_b32_e32 v96, v99, v10, vcc_lo
	v_cndmask_b32_e64 v10, 0, 1, vcc_lo
	s_delay_alu instid0(VALU_DEP_1)
	v_lshrrev_b64 v[10:11], v10, v[34:35]
; %bb.361:                              ;   in Loop: Header=BB2_128 Depth=2
	s_and_not1_saveexec_b32 s11, s11
; %bb.362:                              ;   in Loop: Header=BB2_128 Depth=2
	v_mov_b64_e32 v[10:11], v[34:35]
	v_bfe_u32 v96, v34, 23, 1
; %bb.363:                              ;   in Loop: Header=BB2_128 Depth=2
	s_or_b32 exec_lo, exec_lo, s11
	s_delay_alu instid0(VALU_DEP_2) | instskip(NEXT) | instid1(VALU_DEP_2)
	v_lshrrev_b64 v[10:11], 20, v[10:11]
	v_cmp_gt_i32_e32 vcc_lo, 16, v96
	v_min_i32_e32 v34, 15, v96
	v_cmp_eq_u32_e64 s11, 0, v96
	s_delay_alu instid0(VALU_DEP_2) | instskip(SKIP_1) | instid1(VALU_DEP_2)
	v_dual_cndmask_b32 v11, 0, v11 :: v_dual_lshlrev_b32 v34, 3, v34
	v_cndmask_b32_e32 v10, 7, v10, vcc_lo
	v_and_b32_e32 v34, 0xf8, v34
	s_delay_alu instid0(VALU_DEP_2) | instskip(NEXT) | instid1(VALU_DEP_2)
	v_cmp_eq_u64_e32 vcc_lo, 0, v[10:11]
	v_and_or_b32 v10, v10, 7, v34
	s_and_b32 s11, s11, vcc_lo
	s_delay_alu instid0(VALU_DEP_1) | instid1(SALU_CYCLE_1)
	v_cndmask_b32_e64 v10, v10, 0, s11
	s_delay_alu instid0(VALU_DEP_1)
	v_or_b32_e32 v46, v10, v98
.LBB2_364:                              ;   in Loop: Header=BB2_128 Depth=2
	s_or_b32 exec_lo, exec_lo, s44
                                        ; implicit-def: $vgpr98
.LBB2_365:                              ;   in Loop: Header=BB2_128 Depth=2
	s_and_not1_saveexec_b32 s11, s43
; %bb.366:                              ;   in Loop: Header=BB2_128 Depth=2
	v_or_b32_e32 v46, 0x7e, v98
; %bb.367:                              ;   in Loop: Header=BB2_128 Depth=2
	s_or_b32 exec_lo, exec_lo, s11
                                        ; implicit-def: $vgpr11
.LBB2_368:                              ;   in Loop: Header=BB2_128 Depth=2
	s_and_not1_saveexec_b32 s11, s42
; %bb.369:                              ;   in Loop: Header=BB2_128 Depth=2
	v_or_b32_e32 v46, 0x7f, v11
; %bb.370:                              ;   in Loop: Header=BB2_128 Depth=2
	s_or_b32 exec_lo, exec_lo, s11
	v_dual_mov_b32 v11, 0 :: v_dual_lshrrev_b32 v10, 16, v12
	s_mov_b32 s11, exec_lo
	s_delay_alu instid0(VALU_DEP_1) | instskip(NEXT) | instid1(VALU_DEP_1)
	v_and_b32_e32 v34, 0xff, v10
	v_cmpx_ne_u16_e32 0, v34
	s_cbranch_execz .LBB2_378
; %bb.371:                              ;   in Loop: Header=BB2_128 Depth=2
	v_bfrev_b32_e32 v11, 1
	s_mov_b32 s42, exec_lo
	v_cmpx_ne_u16_e32 0x80, v34
	s_cbranch_execz .LBB2_377
; %bb.372:                              ;   in Loop: Header=BB2_128 Depth=2
	v_bfe_u32 v96, v12, 16, 7
	v_mov_b32_e32 v11, 0x7f800001
	s_mov_b32 s43, exec_lo
	s_delay_alu instid0(VALU_DEP_2)
	v_cmpx_ne_u32_e32 0x7f, v96
	s_cbranch_execz .LBB2_376
; %bb.373:                              ;   in Loop: Header=BB2_128 Depth=2
	v_dual_lshrrev_b32 v11, 3, v96 :: v_dual_bitop2_b32 v34, 7, v10 bitop3:0x40
	s_mov_b32 s44, exec_lo
	v_cmpx_gt_u32_e32 8, v96
; %bb.374:                              ;   in Loop: Header=BB2_128 Depth=2
	s_delay_alu instid0(VALU_DEP_2) | instskip(NEXT) | instid1(VALU_DEP_1)
	v_clz_i32_u32_e32 v11, v34
	v_min_u32_e32 v11, 32, v11
	s_delay_alu instid0(VALU_DEP_1) | instskip(NEXT) | instid1(VALU_DEP_1)
	v_subrev_nc_u32_e32 v96, 28, v11
	v_lshlrev_b64_e32 v[96:97], v96, v[34:35]
	s_delay_alu instid0(VALU_DEP_1)
	v_dual_sub_nc_u32 v11, 29, v11 :: v_dual_bitop2_b32 v34, 7, v96 bitop3:0x40
; %bb.375:                              ;   in Loop: Header=BB2_128 Depth=2
	s_or_b32 exec_lo, exec_lo, s44
	v_lshlrev_b32_e32 v10, 24, v10
	s_delay_alu instid0(VALU_DEP_2) | instskip(NEXT) | instid1(VALU_DEP_3)
	v_lshlrev_b32_e32 v34, 20, v34
	v_lshl_add_u32 v11, v11, 23, 0x3c000000
	s_delay_alu instid0(VALU_DEP_3) | instskip(NEXT) | instid1(VALU_DEP_1)
	v_and_b32_e32 v10, 0x80000000, v10
	v_or3_b32 v11, v34, v10, v11
.LBB2_376:                              ;   in Loop: Header=BB2_128 Depth=2
	s_or_b32 exec_lo, exec_lo, s43
.LBB2_377:                              ;   in Loop: Header=BB2_128 Depth=2
	s_delay_alu instid0(SALU_CYCLE_1)
	s_or_b32 exec_lo, exec_lo, s42
.LBB2_378:                              ;   in Loop: Header=BB2_128 Depth=2
	s_delay_alu instid0(SALU_CYCLE_1) | instskip(NEXT) | instid1(VALU_DEP_1)
	s_or_b32 exec_lo, exec_lo, s11
	v_mul_f32_e32 v10, s12, v11
                                        ; implicit-def: $vgpr57
	s_mov_b32 s11, exec_lo
	s_delay_alu instid0(VALU_DEP_1) | instskip(SKIP_1) | instid1(VALU_DEP_2)
	v_and_b32_e32 v34, 0x7f800000, v10
	v_lshrrev_b32_e32 v11, 24, v10
	v_cmpx_ne_u64_e32 0x7f800000, v[34:35]
	s_xor_b32 s42, exec_lo, s11
	s_cbranch_execz .LBB2_392
; %bb.379:                              ;   in Loop: Header=BB2_128 Depth=2
	v_and_b32_e32 v34, 0x7fffffff, v10
	v_and_b32_e32 v98, 0x80, v11
                                        ; implicit-def: $vgpr57
	s_mov_b32 s11, exec_lo
	s_delay_alu instid0(VALU_DEP_2)
	v_cmpx_gt_u64_e32 0x43e00001, v[34:35]
	s_xor_b32 s43, exec_lo, s11
	s_cbranch_execz .LBB2_389
; %bb.380:                              ;   in Loop: Header=BB2_128 Depth=2
	v_mov_b32_e32 v57, 0
	s_mov_b32 s44, exec_lo
	v_cmpx_ne_u32_e32 0, v10
	s_cbranch_execz .LBB2_388
; %bb.381:                              ;   in Loop: Header=BB2_128 Depth=2
	v_bfe_u32 v99, v10, 23, 8
	v_and_b32_e32 v34, 0x7fffff, v10
	s_delay_alu instid0(VALU_DEP_2) | instskip(NEXT) | instid1(VALU_DEP_2)
	v_cmp_gt_u32_e32 vcc_lo, 0x7a, v99
	v_or_b32_e32 v96, 0x800000, v34
	v_sub_nc_u32_e32 v11, 0x79, v99
	s_delay_alu instid0(VALU_DEP_1) | instskip(SKIP_1) | instid1(VALU_DEP_2)
	v_cndmask_b32_e32 v11, 0, v11, vcc_lo
	v_cmp_eq_u32_e32 vcc_lo, 0, v99
	v_cndmask_b32_e64 v40, v11, 0x78, vcc_lo
	s_delay_alu instid0(VALU_DEP_1) | instskip(SKIP_1) | instid1(VALU_DEP_2)
	v_dual_cndmask_b32 v34, v96, v34, vcc_lo :: v_dual_add_nc_u32 v10, 20, v40
	v_add_nc_u32_e32 v97, 19, v40
	v_lshlrev_b64_e64 v[10:11], v10, -1
	s_delay_alu instid0(VALU_DEP_2) | instskip(NEXT) | instid1(VALU_DEP_2)
	v_lshlrev_b64_e64 v[96:97], v97, 1
	v_bfi_b32 v57, v11, 0, 0
	s_delay_alu instid0(VALU_DEP_3) | instskip(SKIP_1) | instid1(VALU_DEP_2)
	v_bfi_b32 v56, v10, 0, v34
	v_lshrrev_b64 v[10:11], v40, v[34:35]
	v_cmp_eq_u64_e64 s11, v[56:57], v[96:97]
	s_delay_alu instid0(VALU_DEP_2)
	v_mov_b64_e32 v[96:97], v[10:11]
	s_and_saveexec_b32 s45, s11
; %bb.382:                              ;   in Loop: Header=BB2_128 Depth=2
	v_bfe_u32 v34, v10, 20, 1
	s_delay_alu instid0(VALU_DEP_1) | instskip(NEXT) | instid1(VALU_DEP_1)
	v_add_nc_u64_e32 v[96:97], v[10:11], v[34:35]
	v_add_nc_u64_e32 v[96:97], -1, v[96:97]
; %bb.383:                              ;   in Loop: Header=BB2_128 Depth=2
	s_or_b32 exec_lo, exec_lo, s45
	v_add_nc_u32_e32 v11, 0xffffff81, v99
	v_lshrrev_b32_e32 v34, 23, v10
	s_mov_b32 s11, exec_lo
	s_delay_alu instid0(VALU_DEP_2) | instskip(NEXT) | instid1(VALU_DEP_1)
	v_cndmask_b32_e64 v11, v11, 0xffffff82, vcc_lo
	v_add3_u32 v97, v40, v11, v34
	v_and_b32_e32 v11, 0xfffff, v96
                                        ; implicit-def: $vgpr96
	s_delay_alu instid0(VALU_DEP_1) | instskip(NEXT) | instid1(VALU_DEP_1)
	v_dual_add_nc_u32 v99, 6, v97 :: v_dual_add_nc_u32 v34, v11, v10
                                        ; implicit-def: $vgpr10_vgpr11
	v_cmpx_ne_u32_e32 0, v99
	s_xor_b32 s11, exec_lo, s11
; %bb.384:                              ;   in Loop: Header=BB2_128 Depth=2
	s_delay_alu instid0(VALU_DEP_2) | instskip(SKIP_1) | instid1(VALU_DEP_1)
	v_cmp_lt_u64_e32 vcc_lo, 0xffffff, v[34:35]
	v_add_nc_u32_e32 v10, 7, v97
	v_cndmask_b32_e32 v96, v99, v10, vcc_lo
	v_cndmask_b32_e64 v10, 0, 1, vcc_lo
	s_delay_alu instid0(VALU_DEP_1)
	v_lshrrev_b64 v[10:11], v10, v[34:35]
; %bb.385:                              ;   in Loop: Header=BB2_128 Depth=2
	s_and_not1_saveexec_b32 s11, s11
; %bb.386:                              ;   in Loop: Header=BB2_128 Depth=2
	v_mov_b64_e32 v[10:11], v[34:35]
	v_bfe_u32 v96, v34, 23, 1
; %bb.387:                              ;   in Loop: Header=BB2_128 Depth=2
	s_or_b32 exec_lo, exec_lo, s11
	s_delay_alu instid0(VALU_DEP_2) | instskip(NEXT) | instid1(VALU_DEP_2)
	v_lshrrev_b64 v[10:11], 20, v[10:11]
	v_cmp_gt_i32_e32 vcc_lo, 16, v96
	v_min_i32_e32 v34, 15, v96
	v_cmp_eq_u32_e64 s11, 0, v96
	s_delay_alu instid0(VALU_DEP_2) | instskip(SKIP_1) | instid1(VALU_DEP_2)
	v_dual_cndmask_b32 v11, 0, v11 :: v_dual_lshlrev_b32 v34, 3, v34
	v_cndmask_b32_e32 v10, 7, v10, vcc_lo
	v_and_b32_e32 v34, 0xf8, v34
	s_delay_alu instid0(VALU_DEP_2) | instskip(NEXT) | instid1(VALU_DEP_2)
	v_cmp_eq_u64_e32 vcc_lo, 0, v[10:11]
	v_and_or_b32 v10, v10, 7, v34
	s_and_b32 s11, s11, vcc_lo
	s_delay_alu instid0(VALU_DEP_1) | instid1(SALU_CYCLE_1)
	v_cndmask_b32_e64 v10, v10, 0, s11
	s_delay_alu instid0(VALU_DEP_1)
	v_or_b32_e32 v57, v10, v98
.LBB2_388:                              ;   in Loop: Header=BB2_128 Depth=2
	s_or_b32 exec_lo, exec_lo, s44
                                        ; implicit-def: $vgpr98
.LBB2_389:                              ;   in Loop: Header=BB2_128 Depth=2
	s_and_not1_saveexec_b32 s11, s43
; %bb.390:                              ;   in Loop: Header=BB2_128 Depth=2
	v_or_b32_e32 v57, 0x7e, v98
; %bb.391:                              ;   in Loop: Header=BB2_128 Depth=2
	s_or_b32 exec_lo, exec_lo, s11
                                        ; implicit-def: $vgpr11
.LBB2_392:                              ;   in Loop: Header=BB2_128 Depth=2
	s_and_not1_saveexec_b32 s11, s42
; %bb.393:                              ;   in Loop: Header=BB2_128 Depth=2
	v_or_b32_e32 v57, 0x7f, v11
; %bb.394:                              ;   in Loop: Header=BB2_128 Depth=2
	s_or_b32 exec_lo, exec_lo, s11
	v_mov_b32_e32 v11, 0
	s_mov_b32 s11, exec_lo
	v_cmpx_lt_u32_e32 0xffffff, v12
	s_cbranch_execz .LBB2_402
; %bb.395:                              ;   in Loop: Header=BB2_128 Depth=2
	v_lshrrev_b32_e32 v10, 24, v12
	v_bfrev_b32_e32 v11, 1
	s_mov_b32 s42, exec_lo
	s_delay_alu instid0(VALU_DEP_2)
	v_cmpx_ne_u32_e32 0x80, v10
	s_cbranch_execz .LBB2_401
; %bb.396:                              ;   in Loop: Header=BB2_128 Depth=2
	v_bfe_u32 v96, v12, 24, 7
	v_mov_b32_e32 v11, 0x7f800001
	s_mov_b32 s43, exec_lo
	s_delay_alu instid0(VALU_DEP_2)
	v_cmpx_ne_u32_e32 0x7f, v96
	s_cbranch_execz .LBB2_400
; %bb.397:                              ;   in Loop: Header=BB2_128 Depth=2
	v_dual_lshrrev_b32 v11, 3, v96 :: v_dual_bitop2_b32 v34, 7, v10 bitop3:0x40
	s_mov_b32 s44, exec_lo
	v_cmpx_gt_u32_e32 8, v96
; %bb.398:                              ;   in Loop: Header=BB2_128 Depth=2
	s_delay_alu instid0(VALU_DEP_2) | instskip(NEXT) | instid1(VALU_DEP_1)
	v_clz_i32_u32_e32 v11, v34
	v_min_u32_e32 v11, 32, v11
	s_delay_alu instid0(VALU_DEP_1) | instskip(NEXT) | instid1(VALU_DEP_1)
	v_subrev_nc_u32_e32 v96, 28, v11
	v_lshlrev_b64_e32 v[96:97], v96, v[34:35]
	s_delay_alu instid0(VALU_DEP_1)
	v_dual_sub_nc_u32 v11, 29, v11 :: v_dual_bitop2_b32 v34, 7, v96 bitop3:0x40
; %bb.399:                              ;   in Loop: Header=BB2_128 Depth=2
	s_or_b32 exec_lo, exec_lo, s44
	v_lshlrev_b32_e32 v10, 24, v10
	s_delay_alu instid0(VALU_DEP_2) | instskip(NEXT) | instid1(VALU_DEP_3)
	v_lshlrev_b32_e32 v34, 20, v34
	v_lshl_add_u32 v11, v11, 23, 0x3c000000
	s_delay_alu instid0(VALU_DEP_3) | instskip(NEXT) | instid1(VALU_DEP_1)
	v_and_b32_e32 v10, 0x80000000, v10
	v_or3_b32 v11, v34, v10, v11
.LBB2_400:                              ;   in Loop: Header=BB2_128 Depth=2
	s_or_b32 exec_lo, exec_lo, s43
.LBB2_401:                              ;   in Loop: Header=BB2_128 Depth=2
	s_delay_alu instid0(SALU_CYCLE_1)
	s_or_b32 exec_lo, exec_lo, s42
.LBB2_402:                              ;   in Loop: Header=BB2_128 Depth=2
	s_delay_alu instid0(SALU_CYCLE_1) | instskip(NEXT) | instid1(VALU_DEP_1)
	s_or_b32 exec_lo, exec_lo, s11
	v_mul_f32_e32 v10, s12, v11
                                        ; implicit-def: $vgpr58
	s_mov_b32 s11, exec_lo
	s_delay_alu instid0(VALU_DEP_1) | instskip(SKIP_1) | instid1(VALU_DEP_2)
	v_and_b32_e32 v34, 0x7f800000, v10
	v_lshrrev_b32_e32 v11, 24, v10
	v_cmpx_ne_u64_e32 0x7f800000, v[34:35]
	s_xor_b32 s42, exec_lo, s11
	s_cbranch_execz .LBB2_416
; %bb.403:                              ;   in Loop: Header=BB2_128 Depth=2
	v_and_b32_e32 v34, 0x7fffffff, v10
	v_and_b32_e32 v98, 0x80, v11
                                        ; implicit-def: $vgpr58
	s_mov_b32 s11, exec_lo
	s_delay_alu instid0(VALU_DEP_2)
	v_cmpx_gt_u64_e32 0x43e00001, v[34:35]
	s_xor_b32 s43, exec_lo, s11
	s_cbranch_execz .LBB2_413
; %bb.404:                              ;   in Loop: Header=BB2_128 Depth=2
	v_mov_b32_e32 v58, 0
	s_mov_b32 s44, exec_lo
	v_cmpx_ne_u32_e32 0, v10
	s_cbranch_execz .LBB2_412
; %bb.405:                              ;   in Loop: Header=BB2_128 Depth=2
	v_bfe_u32 v99, v10, 23, 8
	v_and_b32_e32 v34, 0x7fffff, v10
	s_delay_alu instid0(VALU_DEP_2) | instskip(NEXT) | instid1(VALU_DEP_2)
	v_cmp_gt_u32_e32 vcc_lo, 0x7a, v99
	v_or_b32_e32 v96, 0x800000, v34
	v_sub_nc_u32_e32 v11, 0x79, v99
	s_delay_alu instid0(VALU_DEP_1) | instskip(SKIP_1) | instid1(VALU_DEP_2)
	v_cndmask_b32_e32 v11, 0, v11, vcc_lo
	v_cmp_eq_u32_e32 vcc_lo, 0, v99
	v_cndmask_b32_e64 v40, v11, 0x78, vcc_lo
	s_delay_alu instid0(VALU_DEP_1) | instskip(SKIP_1) | instid1(VALU_DEP_2)
	v_dual_cndmask_b32 v34, v96, v34, vcc_lo :: v_dual_add_nc_u32 v10, 20, v40
	v_add_nc_u32_e32 v97, 19, v40
	v_lshlrev_b64_e64 v[10:11], v10, -1
	s_delay_alu instid0(VALU_DEP_2) | instskip(NEXT) | instid1(VALU_DEP_2)
	v_lshlrev_b64_e64 v[96:97], v97, 1
	v_bfi_b32 v63, v11, 0, 0
	s_delay_alu instid0(VALU_DEP_3) | instskip(SKIP_1) | instid1(VALU_DEP_2)
	v_bfi_b32 v62, v10, 0, v34
	v_lshrrev_b64 v[10:11], v40, v[34:35]
	v_cmp_eq_u64_e64 s11, v[62:63], v[96:97]
	s_delay_alu instid0(VALU_DEP_2)
	v_mov_b64_e32 v[96:97], v[10:11]
	s_and_saveexec_b32 s45, s11
; %bb.406:                              ;   in Loop: Header=BB2_128 Depth=2
	v_bfe_u32 v34, v10, 20, 1
	s_delay_alu instid0(VALU_DEP_1) | instskip(NEXT) | instid1(VALU_DEP_1)
	v_add_nc_u64_e32 v[96:97], v[10:11], v[34:35]
	v_add_nc_u64_e32 v[96:97], -1, v[96:97]
; %bb.407:                              ;   in Loop: Header=BB2_128 Depth=2
	s_or_b32 exec_lo, exec_lo, s45
	v_add_nc_u32_e32 v11, 0xffffff81, v99
	v_lshrrev_b32_e32 v34, 23, v10
	s_mov_b32 s11, exec_lo
	s_delay_alu instid0(VALU_DEP_2) | instskip(NEXT) | instid1(VALU_DEP_1)
	v_cndmask_b32_e64 v11, v11, 0xffffff82, vcc_lo
	v_add3_u32 v97, v40, v11, v34
	v_and_b32_e32 v11, 0xfffff, v96
                                        ; implicit-def: $vgpr96
	s_delay_alu instid0(VALU_DEP_1) | instskip(NEXT) | instid1(VALU_DEP_1)
	v_dual_add_nc_u32 v99, 6, v97 :: v_dual_add_nc_u32 v34, v11, v10
                                        ; implicit-def: $vgpr10_vgpr11
	v_cmpx_ne_u32_e32 0, v99
	s_xor_b32 s11, exec_lo, s11
; %bb.408:                              ;   in Loop: Header=BB2_128 Depth=2
	s_delay_alu instid0(VALU_DEP_2) | instskip(SKIP_1) | instid1(VALU_DEP_1)
	v_cmp_lt_u64_e32 vcc_lo, 0xffffff, v[34:35]
	v_add_nc_u32_e32 v10, 7, v97
	v_cndmask_b32_e32 v96, v99, v10, vcc_lo
	v_cndmask_b32_e64 v10, 0, 1, vcc_lo
	s_delay_alu instid0(VALU_DEP_1)
	v_lshrrev_b64 v[10:11], v10, v[34:35]
; %bb.409:                              ;   in Loop: Header=BB2_128 Depth=2
	s_and_not1_saveexec_b32 s11, s11
; %bb.410:                              ;   in Loop: Header=BB2_128 Depth=2
	v_mov_b64_e32 v[10:11], v[34:35]
	v_bfe_u32 v96, v34, 23, 1
; %bb.411:                              ;   in Loop: Header=BB2_128 Depth=2
	s_or_b32 exec_lo, exec_lo, s11
	s_delay_alu instid0(VALU_DEP_2) | instskip(NEXT) | instid1(VALU_DEP_2)
	v_lshrrev_b64 v[10:11], 20, v[10:11]
	v_cmp_gt_i32_e32 vcc_lo, 16, v96
	v_min_i32_e32 v34, 15, v96
	v_cmp_eq_u32_e64 s11, 0, v96
	s_delay_alu instid0(VALU_DEP_2) | instskip(SKIP_1) | instid1(VALU_DEP_2)
	v_dual_cndmask_b32 v11, 0, v11 :: v_dual_lshlrev_b32 v34, 3, v34
	v_cndmask_b32_e32 v10, 7, v10, vcc_lo
	v_and_b32_e32 v34, 0xf8, v34
	s_delay_alu instid0(VALU_DEP_2) | instskip(NEXT) | instid1(VALU_DEP_2)
	v_cmp_eq_u64_e32 vcc_lo, 0, v[10:11]
	v_and_or_b32 v10, v10, 7, v34
	s_and_b32 s11, s11, vcc_lo
	s_delay_alu instid0(VALU_DEP_1) | instid1(SALU_CYCLE_1)
	v_cndmask_b32_e64 v10, v10, 0, s11
	s_delay_alu instid0(VALU_DEP_1)
	v_or_b32_e32 v58, v10, v98
.LBB2_412:                              ;   in Loop: Header=BB2_128 Depth=2
	s_or_b32 exec_lo, exec_lo, s44
                                        ; implicit-def: $vgpr98
.LBB2_413:                              ;   in Loop: Header=BB2_128 Depth=2
	s_and_not1_saveexec_b32 s11, s43
; %bb.414:                              ;   in Loop: Header=BB2_128 Depth=2
	v_or_b32_e32 v58, 0x7e, v98
; %bb.415:                              ;   in Loop: Header=BB2_128 Depth=2
	s_or_b32 exec_lo, exec_lo, s11
                                        ; implicit-def: $vgpr11
.LBB2_416:                              ;   in Loop: Header=BB2_128 Depth=2
	s_and_not1_saveexec_b32 s11, s42
; %bb.417:                              ;   in Loop: Header=BB2_128 Depth=2
	v_or_b32_e32 v58, 0x7f, v11
; %bb.418:                              ;   in Loop: Header=BB2_128 Depth=2
	s_or_b32 exec_lo, exec_lo, s11
	v_and_b32_e32 v11, 0xff, v13
	v_dual_mov_b32 v34, v13 :: v_dual_mov_b32 v10, 0
	s_mov_b32 s11, exec_lo
	s_delay_alu instid0(VALU_DEP_2)
	v_cmpx_ne_u16_e32 0, v11
	s_cbranch_execz .LBB2_424
; %bb.419:                              ;   in Loop: Header=BB2_128 Depth=2
	v_bfrev_b32_e32 v10, 1
	s_mov_b32 s42, exec_lo
	v_cmpx_ne_u16_e32 0x80, v11
	s_cbranch_execz .LBB2_423
; %bb.420:                              ;   in Loop: Header=BB2_128 Depth=2
	v_and_b32_e32 v11, 0x7f, v13
	v_mov_b32_e32 v10, 0x7f800001
	s_mov_b32 s43, exec_lo
	s_delay_alu instid0(VALU_DEP_2)
	v_cmpx_ne_u32_e32 0x7f, v11
	s_cbranch_execz .LBB2_422
; %bb.421:                              ;   in Loop: Header=BB2_128 Depth=2
	v_dual_lshrrev_b32 v96, 3, v11 :: v_dual_bitop2_b32 v10, 7, v13 bitop3:0x40
	v_cmp_gt_u32_e32 vcc_lo, 8, v11
	s_delay_alu instid0(VALU_DEP_2) | instskip(NEXT) | instid1(VALU_DEP_1)
	v_clz_i32_u32_e32 v10, v10
	v_min_u32_e32 v10, 32, v10
	s_delay_alu instid0(VALU_DEP_1) | instskip(SKIP_1) | instid1(VALU_DEP_1)
	v_subrev_nc_u32_e32 v97, 28, v10
	v_sub_nc_u32_e32 v10, 29, v10
	v_dual_cndmask_b32 v96, v96, v10, vcc_lo :: v_dual_cndmask_b32 v10, 0, v97, vcc_lo
	s_delay_alu instid0(VALU_DEP_1) | instskip(NEXT) | instid1(VALU_DEP_2)
	v_lshl_add_u32 v96, v96, 23, 0x3c000000
	v_lshlrev_b64_e32 v[10:11], v10, v[34:35]
	v_lshlrev_b32_e32 v11, 24, v34
	s_delay_alu instid0(VALU_DEP_1) | instskip(NEXT) | instid1(VALU_DEP_3)
	v_and_b32_e32 v11, 0x80000000, v11
	v_lshlrev_b32_e32 v10, 20, v10
	s_delay_alu instid0(VALU_DEP_1) | instskip(NEXT) | instid1(VALU_DEP_1)
	v_and_b32_e32 v10, 0x700000, v10
	v_or3_b32 v10, v10, v11, v96
.LBB2_422:                              ;   in Loop: Header=BB2_128 Depth=2
	s_or_b32 exec_lo, exec_lo, s43
.LBB2_423:                              ;   in Loop: Header=BB2_128 Depth=2
	s_delay_alu instid0(SALU_CYCLE_1)
	s_or_b32 exec_lo, exec_lo, s42
.LBB2_424:                              ;   in Loop: Header=BB2_128 Depth=2
	s_delay_alu instid0(SALU_CYCLE_1) | instskip(NEXT) | instid1(VALU_DEP_1)
	s_or_b32 exec_lo, exec_lo, s11
	v_dual_mul_f32 v10, s12, v10 :: v_dual_mov_b32 v97, v35
                                        ; implicit-def: $vgpr40
	s_mov_b32 s11, exec_lo
	s_delay_alu instid0(VALU_DEP_1) | instskip(SKIP_1) | instid1(VALU_DEP_2)
	v_and_b32_e32 v96, 0x7f800000, v10
	v_lshrrev_b32_e32 v11, 24, v10
	v_cmpx_ne_u64_e32 0x7f800000, v[96:97]
	s_xor_b32 s42, exec_lo, s11
	s_cbranch_execz .LBB2_438
; %bb.425:                              ;   in Loop: Header=BB2_128 Depth=2
	v_and_b32_e32 v96, 0x7fffffff, v10
	v_mov_b32_e32 v97, v35
	v_and_b32_e32 v98, 0x80, v11
                                        ; implicit-def: $vgpr40
	s_mov_b32 s11, exec_lo
	s_delay_alu instid0(VALU_DEP_2)
	v_cmpx_gt_u64_e32 0x43e00001, v[96:97]
	s_xor_b32 s43, exec_lo, s11
	s_cbranch_execz .LBB2_435
; %bb.426:                              ;   in Loop: Header=BB2_128 Depth=2
	v_mov_b32_e32 v40, 0
	s_mov_b32 s44, exec_lo
	v_cmpx_ne_u32_e32 0, v10
	s_cbranch_execz .LBB2_434
; %bb.427:                              ;   in Loop: Header=BB2_128 Depth=2
	v_bfe_u32 v99, v10, 23, 8
	v_and_b32_e32 v96, 0x7fffff, v10
	s_mov_b32 s45, exec_lo
	s_delay_alu instid0(VALU_DEP_2) | instskip(NEXT) | instid1(VALU_DEP_2)
	v_cmp_gt_u32_e32 vcc_lo, 0x7a, v99
	v_or_b32_e32 v97, 0x800000, v96
	v_sub_nc_u32_e32 v11, 0x79, v99
	s_delay_alu instid0(VALU_DEP_1) | instskip(SKIP_1) | instid1(VALU_DEP_2)
	v_cndmask_b32_e32 v11, 0, v11, vcc_lo
	v_cmp_eq_u32_e32 vcc_lo, 0, v99
	v_cndmask_b32_e64 v40, v11, 0x78, vcc_lo
	v_dual_cndmask_b32 v96, v97, v96 :: v_dual_mov_b32 v97, v35
	s_delay_alu instid0(VALU_DEP_2) | instskip(NEXT) | instid1(VALU_DEP_1)
	v_dual_add_nc_u32 v42, 19, v40 :: v_dual_add_nc_u32 v10, 20, v40
	v_lshlrev_b64_e64 v[62:63], v42, 1
	s_delay_alu instid0(VALU_DEP_2) | instskip(NEXT) | instid1(VALU_DEP_1)
	v_lshlrev_b64_e64 v[10:11], v10, -1
	v_bfi_b32 v73, v11, 0, 0
	s_delay_alu instid0(VALU_DEP_2) | instskip(SKIP_1) | instid1(VALU_DEP_1)
	v_bfi_b32 v72, v10, 0, v96
	v_lshrrev_b64 v[10:11], v40, v[96:97]
	v_mov_b64_e32 v[96:97], v[10:11]
	s_delay_alu instid0(VALU_DEP_3)
	v_cmpx_eq_u64_e64 v[72:73], v[62:63]
; %bb.428:                              ;   in Loop: Header=BB2_128 Depth=2
	v_bfe_u32 v96, v10, 20, 1
	v_mov_b32_e32 v97, v35
	s_delay_alu instid0(VALU_DEP_1) | instskip(NEXT) | instid1(VALU_DEP_1)
	v_add_nc_u64_e32 v[96:97], v[10:11], v[96:97]
	v_add_nc_u64_e32 v[96:97], -1, v[96:97]
; %bb.429:                              ;   in Loop: Header=BB2_128 Depth=2
	s_or_b32 exec_lo, exec_lo, s45
	v_add_nc_u32_e32 v11, 0xffffff81, v99
	v_lshrrev_b32_e32 v97, 23, v10
	s_mov_b32 s11, exec_lo
	s_delay_alu instid0(VALU_DEP_2) | instskip(NEXT) | instid1(VALU_DEP_1)
	v_cndmask_b32_e64 v11, v11, 0xffffff82, vcc_lo
	v_add3_u32 v97, v40, v11, v97
	v_and_b32_e32 v11, 0xfffff, v96
                                        ; implicit-def: $vgpr96
	s_delay_alu instid0(VALU_DEP_1) | instskip(SKIP_1) | instid1(VALU_DEP_2)
	v_dual_add_nc_u32 v99, 6, v97 :: v_dual_add_nc_u32 v10, v11, v10
	v_mov_b32_e32 v11, v35
	v_cmpx_ne_u32_e32 0, v99
	s_xor_b32 s11, exec_lo, s11
; %bb.430:                              ;   in Loop: Header=BB2_128 Depth=2
	s_delay_alu instid0(VALU_DEP_2) | instskip(SKIP_2) | instid1(VALU_DEP_2)
	v_cmp_lt_u64_e32 vcc_lo, 0xffffff, v[10:11]
	v_add_nc_u32_e32 v96, 7, v97
	v_cndmask_b32_e64 v97, 0, 1, vcc_lo
	v_cndmask_b32_e32 v96, v99, v96, vcc_lo
	s_delay_alu instid0(VALU_DEP_2)
	v_lshrrev_b64 v[10:11], v97, v[10:11]
; %bb.431:                              ;   in Loop: Header=BB2_128 Depth=2
	s_and_not1_saveexec_b32 s11, s11
; %bb.432:                              ;   in Loop: Header=BB2_128 Depth=2
	s_delay_alu instid0(VALU_DEP_1)
	v_bfe_u32 v96, v10, 23, 1
; %bb.433:                              ;   in Loop: Header=BB2_128 Depth=2
	s_or_b32 exec_lo, exec_lo, s11
	s_delay_alu instid0(VALU_DEP_2) | instskip(NEXT) | instid1(VALU_DEP_2)
	v_lshrrev_b64 v[10:11], 20, v[10:11]
	v_cmp_gt_i32_e32 vcc_lo, 16, v96
	v_min_i32_e32 v97, 15, v96
	v_cmp_eq_u32_e64 s11, 0, v96
	s_delay_alu instid0(VALU_DEP_2) | instskip(SKIP_1) | instid1(VALU_DEP_2)
	v_dual_cndmask_b32 v11, 0, v11, vcc_lo :: v_dual_lshlrev_b32 v97, 3, v97
	v_cndmask_b32_e32 v10, 7, v10, vcc_lo
	v_and_b32_e32 v97, 0xf8, v97
	s_delay_alu instid0(VALU_DEP_2) | instskip(NEXT) | instid1(VALU_DEP_2)
	v_cmp_eq_u64_e32 vcc_lo, 0, v[10:11]
	v_and_or_b32 v10, v10, 7, v97
	s_and_b32 s11, s11, vcc_lo
	s_delay_alu instid0(VALU_DEP_1) | instid1(SALU_CYCLE_1)
	v_cndmask_b32_e64 v10, v10, 0, s11
	s_delay_alu instid0(VALU_DEP_1)
	v_or_b32_e32 v40, v10, v98
.LBB2_434:                              ;   in Loop: Header=BB2_128 Depth=2
	s_or_b32 exec_lo, exec_lo, s44
                                        ; implicit-def: $vgpr98
.LBB2_435:                              ;   in Loop: Header=BB2_128 Depth=2
	s_and_not1_saveexec_b32 s11, s43
; %bb.436:                              ;   in Loop: Header=BB2_128 Depth=2
	v_or_b32_e32 v40, 0x7e, v98
; %bb.437:                              ;   in Loop: Header=BB2_128 Depth=2
	s_or_b32 exec_lo, exec_lo, s11
                                        ; implicit-def: $vgpr11
.LBB2_438:                              ;   in Loop: Header=BB2_128 Depth=2
	s_and_not1_saveexec_b32 s11, s42
; %bb.439:                              ;   in Loop: Header=BB2_128 Depth=2
	v_or_b32_e32 v40, 0x7f, v11
; %bb.440:                              ;   in Loop: Header=BB2_128 Depth=2
	s_or_b32 exec_lo, exec_lo, s11
	v_lshrrev_b16 v11, 8, v34
	v_mov_b32_e32 v10, 0
	s_mov_b32 s11, exec_lo
	s_delay_alu instid0(VALU_DEP_2)
	v_cmpx_ne_u16_e32 0, v11
	s_cbranch_execz .LBB2_448
; %bb.441:                              ;   in Loop: Header=BB2_128 Depth=2
	v_bfrev_b32_e32 v10, 1
	s_mov_b32 s42, exec_lo
	v_cmpx_ne_u16_e32 0x80, v11
	s_cbranch_execz .LBB2_447
; %bb.442:                              ;   in Loop: Header=BB2_128 Depth=2
	v_and_b32_e32 v11, 0xffff, v11
	v_mov_b32_e32 v10, 0x7f800001
	s_mov_b32 s43, exec_lo
	s_delay_alu instid0(VALU_DEP_2) | instskip(NEXT) | instid1(VALU_DEP_1)
	v_and_b32_e32 v97, 0x7f, v11
	v_cmpx_ne_u32_e32 0x7f, v97
	s_cbranch_execz .LBB2_446
; %bb.443:                              ;   in Loop: Header=BB2_128 Depth=2
	v_dual_mov_b32 v11, v35 :: v_dual_bitop2_b32 v10, 7, v11 bitop3:0x40
	v_lshrrev_b32_e32 v96, 3, v97
	s_mov_b32 s44, exec_lo
	v_cmpx_gt_u32_e32 8, v97
; %bb.444:                              ;   in Loop: Header=BB2_128 Depth=2
	s_delay_alu instid0(VALU_DEP_3) | instskip(NEXT) | instid1(VALU_DEP_1)
	v_clz_i32_u32_e32 v96, v10
	v_min_u32_e32 v96, 32, v96
	s_delay_alu instid0(VALU_DEP_1) | instskip(NEXT) | instid1(VALU_DEP_1)
	v_subrev_nc_u32_e32 v97, 28, v96
	v_lshlrev_b64_e32 v[10:11], v97, v[10:11]
	s_delay_alu instid0(VALU_DEP_1)
	v_dual_sub_nc_u32 v96, 29, v96 :: v_dual_bitop2_b32 v10, 7, v10 bitop3:0x40
; %bb.445:                              ;   in Loop: Header=BB2_128 Depth=2
	s_or_b32 exec_lo, exec_lo, s44
	v_lshlrev_b32_e32 v11, 16, v34
	s_delay_alu instid0(VALU_DEP_2) | instskip(NEXT) | instid1(VALU_DEP_3)
	v_lshlrev_b32_e32 v10, 20, v10
	v_lshl_add_u32 v34, v96, 23, 0x3c000000
	s_delay_alu instid0(VALU_DEP_3) | instskip(NEXT) | instid1(VALU_DEP_1)
	v_and_b32_e32 v11, 0x80000000, v11
	v_or3_b32 v10, v10, v11, v34
.LBB2_446:                              ;   in Loop: Header=BB2_128 Depth=2
	s_or_b32 exec_lo, exec_lo, s43
.LBB2_447:                              ;   in Loop: Header=BB2_128 Depth=2
	s_delay_alu instid0(SALU_CYCLE_1)
	s_or_b32 exec_lo, exec_lo, s42
.LBB2_448:                              ;   in Loop: Header=BB2_128 Depth=2
	s_delay_alu instid0(SALU_CYCLE_1) | instskip(NEXT) | instid1(VALU_DEP_1)
	s_or_b32 exec_lo, exec_lo, s11
	v_mul_f32_e32 v10, s12, v10
                                        ; implicit-def: $vgpr42
	s_mov_b32 s11, exec_lo
	s_delay_alu instid0(VALU_DEP_1) | instskip(SKIP_1) | instid1(VALU_DEP_2)
	v_and_b32_e32 v34, 0x7f800000, v10
	v_lshrrev_b32_e32 v11, 24, v10
	v_cmpx_ne_u64_e32 0x7f800000, v[34:35]
	s_xor_b32 s42, exec_lo, s11
	s_cbranch_execz .LBB2_462
; %bb.449:                              ;   in Loop: Header=BB2_128 Depth=2
	v_and_b32_e32 v34, 0x7fffffff, v10
	v_and_b32_e32 v98, 0x80, v11
                                        ; implicit-def: $vgpr42
	s_mov_b32 s11, exec_lo
	s_delay_alu instid0(VALU_DEP_2)
	v_cmpx_gt_u64_e32 0x43e00001, v[34:35]
	s_xor_b32 s43, exec_lo, s11
	s_cbranch_execz .LBB2_459
; %bb.450:                              ;   in Loop: Header=BB2_128 Depth=2
	v_mov_b32_e32 v42, 0
	s_mov_b32 s44, exec_lo
	v_cmpx_ne_u32_e32 0, v10
	s_cbranch_execz .LBB2_458
; %bb.451:                              ;   in Loop: Header=BB2_128 Depth=2
	v_bfe_u32 v99, v10, 23, 8
	v_and_b32_e32 v34, 0x7fffff, v10
	s_delay_alu instid0(VALU_DEP_2) | instskip(NEXT) | instid1(VALU_DEP_2)
	v_cmp_gt_u32_e32 vcc_lo, 0x7a, v99
	v_or_b32_e32 v96, 0x800000, v34
	v_sub_nc_u32_e32 v11, 0x79, v99
	s_delay_alu instid0(VALU_DEP_1) | instskip(SKIP_1) | instid1(VALU_DEP_2)
	v_cndmask_b32_e32 v11, 0, v11, vcc_lo
	v_cmp_eq_u32_e32 vcc_lo, 0, v99
	v_cndmask_b32_e64 v42, v11, 0x78, vcc_lo
	v_cndmask_b32_e32 v34, v96, v34, vcc_lo
	s_delay_alu instid0(VALU_DEP_2) | instskip(NEXT) | instid1(VALU_DEP_1)
	v_dual_add_nc_u32 v10, 20, v42 :: v_dual_add_nc_u32 v97, 19, v42
	v_lshlrev_b64_e64 v[10:11], v10, -1
	s_delay_alu instid0(VALU_DEP_2) | instskip(NEXT) | instid1(VALU_DEP_2)
	v_lshlrev_b64_e64 v[96:97], v97, 1
	v_bfi_b32 v63, v11, 0, 0
	s_delay_alu instid0(VALU_DEP_3) | instskip(SKIP_1) | instid1(VALU_DEP_2)
	v_bfi_b32 v62, v10, 0, v34
	v_lshrrev_b64 v[10:11], v42, v[34:35]
	v_cmp_eq_u64_e64 s11, v[62:63], v[96:97]
	s_delay_alu instid0(VALU_DEP_2)
	v_mov_b64_e32 v[96:97], v[10:11]
	s_and_saveexec_b32 s45, s11
; %bb.452:                              ;   in Loop: Header=BB2_128 Depth=2
	v_bfe_u32 v34, v10, 20, 1
	s_delay_alu instid0(VALU_DEP_1) | instskip(NEXT) | instid1(VALU_DEP_1)
	v_add_nc_u64_e32 v[96:97], v[10:11], v[34:35]
	v_add_nc_u64_e32 v[96:97], -1, v[96:97]
; %bb.453:                              ;   in Loop: Header=BB2_128 Depth=2
	s_or_b32 exec_lo, exec_lo, s45
	v_add_nc_u32_e32 v11, 0xffffff81, v99
	v_lshrrev_b32_e32 v34, 23, v10
	s_mov_b32 s11, exec_lo
	s_delay_alu instid0(VALU_DEP_2) | instskip(NEXT) | instid1(VALU_DEP_1)
	v_cndmask_b32_e64 v11, v11, 0xffffff82, vcc_lo
	v_add3_u32 v97, v42, v11, v34
	v_and_b32_e32 v11, 0xfffff, v96
                                        ; implicit-def: $vgpr96
	s_delay_alu instid0(VALU_DEP_1) | instskip(NEXT) | instid1(VALU_DEP_1)
	v_dual_add_nc_u32 v99, 6, v97 :: v_dual_add_nc_u32 v34, v11, v10
                                        ; implicit-def: $vgpr10_vgpr11
	v_cmpx_ne_u32_e32 0, v99
	s_xor_b32 s11, exec_lo, s11
; %bb.454:                              ;   in Loop: Header=BB2_128 Depth=2
	s_delay_alu instid0(VALU_DEP_2) | instskip(SKIP_1) | instid1(VALU_DEP_1)
	v_cmp_lt_u64_e32 vcc_lo, 0xffffff, v[34:35]
	v_add_nc_u32_e32 v10, 7, v97
	v_cndmask_b32_e32 v96, v99, v10, vcc_lo
	v_cndmask_b32_e64 v10, 0, 1, vcc_lo
	s_delay_alu instid0(VALU_DEP_1)
	v_lshrrev_b64 v[10:11], v10, v[34:35]
; %bb.455:                              ;   in Loop: Header=BB2_128 Depth=2
	s_and_not1_saveexec_b32 s11, s11
; %bb.456:                              ;   in Loop: Header=BB2_128 Depth=2
	v_mov_b64_e32 v[10:11], v[34:35]
	v_bfe_u32 v96, v34, 23, 1
; %bb.457:                              ;   in Loop: Header=BB2_128 Depth=2
	s_or_b32 exec_lo, exec_lo, s11
	s_delay_alu instid0(VALU_DEP_2) | instskip(NEXT) | instid1(VALU_DEP_2)
	v_lshrrev_b64 v[10:11], 20, v[10:11]
	v_cmp_gt_i32_e32 vcc_lo, 16, v96
	v_min_i32_e32 v34, 15, v96
	v_cmp_eq_u32_e64 s11, 0, v96
	s_delay_alu instid0(VALU_DEP_2) | instskip(SKIP_1) | instid1(VALU_DEP_2)
	v_dual_cndmask_b32 v11, 0, v11 :: v_dual_lshlrev_b32 v34, 3, v34
	v_cndmask_b32_e32 v10, 7, v10, vcc_lo
	v_and_b32_e32 v34, 0xf8, v34
	s_delay_alu instid0(VALU_DEP_2) | instskip(NEXT) | instid1(VALU_DEP_2)
	v_cmp_eq_u64_e32 vcc_lo, 0, v[10:11]
	v_and_or_b32 v10, v10, 7, v34
	s_and_b32 s11, s11, vcc_lo
	s_delay_alu instid0(VALU_DEP_1) | instid1(SALU_CYCLE_1)
	v_cndmask_b32_e64 v10, v10, 0, s11
	s_delay_alu instid0(VALU_DEP_1)
	v_or_b32_e32 v42, v10, v98
.LBB2_458:                              ;   in Loop: Header=BB2_128 Depth=2
	s_or_b32 exec_lo, exec_lo, s44
                                        ; implicit-def: $vgpr98
.LBB2_459:                              ;   in Loop: Header=BB2_128 Depth=2
	s_and_not1_saveexec_b32 s11, s43
; %bb.460:                              ;   in Loop: Header=BB2_128 Depth=2
	v_or_b32_e32 v42, 0x7e, v98
; %bb.461:                              ;   in Loop: Header=BB2_128 Depth=2
	s_or_b32 exec_lo, exec_lo, s11
                                        ; implicit-def: $vgpr11
.LBB2_462:                              ;   in Loop: Header=BB2_128 Depth=2
	s_and_not1_saveexec_b32 s11, s42
; %bb.463:                              ;   in Loop: Header=BB2_128 Depth=2
	v_or_b32_e32 v42, 0x7f, v11
; %bb.464:                              ;   in Loop: Header=BB2_128 Depth=2
	s_or_b32 exec_lo, exec_lo, s11
	v_dual_mov_b32 v11, 0 :: v_dual_lshrrev_b32 v10, 16, v13
	s_mov_b32 s11, exec_lo
	s_delay_alu instid0(VALU_DEP_1) | instskip(NEXT) | instid1(VALU_DEP_1)
	v_and_b32_e32 v34, 0xff, v10
	v_cmpx_ne_u16_e32 0, v34
	s_cbranch_execz .LBB2_472
; %bb.465:                              ;   in Loop: Header=BB2_128 Depth=2
	v_bfrev_b32_e32 v11, 1
	s_mov_b32 s42, exec_lo
	v_cmpx_ne_u16_e32 0x80, v34
	s_cbranch_execz .LBB2_471
; %bb.466:                              ;   in Loop: Header=BB2_128 Depth=2
	v_bfe_u32 v96, v13, 16, 7
	v_mov_b32_e32 v11, 0x7f800001
	s_mov_b32 s43, exec_lo
	s_delay_alu instid0(VALU_DEP_2)
	v_cmpx_ne_u32_e32 0x7f, v96
	s_cbranch_execz .LBB2_470
; %bb.467:                              ;   in Loop: Header=BB2_128 Depth=2
	v_dual_lshrrev_b32 v11, 3, v96 :: v_dual_bitop2_b32 v34, 7, v10 bitop3:0x40
	s_mov_b32 s44, exec_lo
	v_cmpx_gt_u32_e32 8, v96
; %bb.468:                              ;   in Loop: Header=BB2_128 Depth=2
	s_delay_alu instid0(VALU_DEP_2) | instskip(NEXT) | instid1(VALU_DEP_1)
	v_clz_i32_u32_e32 v11, v34
	v_min_u32_e32 v11, 32, v11
	s_delay_alu instid0(VALU_DEP_1) | instskip(NEXT) | instid1(VALU_DEP_1)
	v_subrev_nc_u32_e32 v96, 28, v11
	v_lshlrev_b64_e32 v[96:97], v96, v[34:35]
	s_delay_alu instid0(VALU_DEP_1)
	v_dual_sub_nc_u32 v11, 29, v11 :: v_dual_bitop2_b32 v34, 7, v96 bitop3:0x40
; %bb.469:                              ;   in Loop: Header=BB2_128 Depth=2
	s_or_b32 exec_lo, exec_lo, s44
	v_lshlrev_b32_e32 v10, 24, v10
	s_delay_alu instid0(VALU_DEP_2) | instskip(NEXT) | instid1(VALU_DEP_3)
	v_lshlrev_b32_e32 v34, 20, v34
	v_lshl_add_u32 v11, v11, 23, 0x3c000000
	s_delay_alu instid0(VALU_DEP_3) | instskip(NEXT) | instid1(VALU_DEP_1)
	v_and_b32_e32 v10, 0x80000000, v10
	v_or3_b32 v11, v34, v10, v11
.LBB2_470:                              ;   in Loop: Header=BB2_128 Depth=2
	s_or_b32 exec_lo, exec_lo, s43
.LBB2_471:                              ;   in Loop: Header=BB2_128 Depth=2
	s_delay_alu instid0(SALU_CYCLE_1)
	s_or_b32 exec_lo, exec_lo, s42
.LBB2_472:                              ;   in Loop: Header=BB2_128 Depth=2
	s_delay_alu instid0(SALU_CYCLE_1) | instskip(NEXT) | instid1(VALU_DEP_1)
	s_or_b32 exec_lo, exec_lo, s11
	v_mul_f32_e32 v10, s12, v11
                                        ; implicit-def: $vgpr45
	s_mov_b32 s11, exec_lo
	s_delay_alu instid0(VALU_DEP_1) | instskip(SKIP_1) | instid1(VALU_DEP_2)
	v_and_b32_e32 v34, 0x7f800000, v10
	v_lshrrev_b32_e32 v11, 24, v10
	v_cmpx_ne_u64_e32 0x7f800000, v[34:35]
	s_xor_b32 s42, exec_lo, s11
	s_cbranch_execz .LBB2_486
; %bb.473:                              ;   in Loop: Header=BB2_128 Depth=2
	v_and_b32_e32 v34, 0x7fffffff, v10
	v_and_b32_e32 v98, 0x80, v11
                                        ; implicit-def: $vgpr45
	s_mov_b32 s11, exec_lo
	s_delay_alu instid0(VALU_DEP_2)
	v_cmpx_gt_u64_e32 0x43e00001, v[34:35]
	s_xor_b32 s43, exec_lo, s11
	s_cbranch_execz .LBB2_483
; %bb.474:                              ;   in Loop: Header=BB2_128 Depth=2
	v_mov_b32_e32 v45, 0
	s_mov_b32 s44, exec_lo
	v_cmpx_ne_u32_e32 0, v10
	s_cbranch_execz .LBB2_482
; %bb.475:                              ;   in Loop: Header=BB2_128 Depth=2
	v_bfe_u32 v99, v10, 23, 8
	v_and_b32_e32 v34, 0x7fffff, v10
	s_delay_alu instid0(VALU_DEP_2) | instskip(NEXT) | instid1(VALU_DEP_2)
	v_cmp_gt_u32_e32 vcc_lo, 0x7a, v99
	v_or_b32_e32 v96, 0x800000, v34
	v_sub_nc_u32_e32 v11, 0x79, v99
	s_delay_alu instid0(VALU_DEP_1) | instskip(SKIP_1) | instid1(VALU_DEP_2)
	v_cndmask_b32_e32 v11, 0, v11, vcc_lo
	v_cmp_eq_u32_e32 vcc_lo, 0, v99
	v_cndmask_b32_e64 v45, v11, 0x78, vcc_lo
	s_delay_alu instid0(VALU_DEP_1) | instskip(SKIP_1) | instid1(VALU_DEP_2)
	v_dual_cndmask_b32 v34, v96, v34, vcc_lo :: v_dual_add_nc_u32 v10, 20, v45
	v_add_nc_u32_e32 v97, 19, v45
	v_lshlrev_b64_e64 v[10:11], v10, -1
	s_delay_alu instid0(VALU_DEP_2) | instskip(NEXT) | instid1(VALU_DEP_2)
	v_lshlrev_b64_e64 v[96:97], v97, 1
	v_bfi_b32 v63, v11, 0, 0
	s_delay_alu instid0(VALU_DEP_3) | instskip(SKIP_1) | instid1(VALU_DEP_2)
	v_bfi_b32 v62, v10, 0, v34
	v_lshrrev_b64 v[10:11], v45, v[34:35]
	v_cmp_eq_u64_e64 s11, v[62:63], v[96:97]
	s_delay_alu instid0(VALU_DEP_2)
	v_mov_b64_e32 v[96:97], v[10:11]
	s_and_saveexec_b32 s45, s11
; %bb.476:                              ;   in Loop: Header=BB2_128 Depth=2
	v_bfe_u32 v34, v10, 20, 1
	s_delay_alu instid0(VALU_DEP_1) | instskip(NEXT) | instid1(VALU_DEP_1)
	v_add_nc_u64_e32 v[96:97], v[10:11], v[34:35]
	v_add_nc_u64_e32 v[96:97], -1, v[96:97]
; %bb.477:                              ;   in Loop: Header=BB2_128 Depth=2
	s_or_b32 exec_lo, exec_lo, s45
	v_add_nc_u32_e32 v11, 0xffffff81, v99
	v_lshrrev_b32_e32 v34, 23, v10
	s_mov_b32 s11, exec_lo
	s_delay_alu instid0(VALU_DEP_2) | instskip(NEXT) | instid1(VALU_DEP_1)
	v_cndmask_b32_e64 v11, v11, 0xffffff82, vcc_lo
	v_add3_u32 v97, v45, v11, v34
	v_and_b32_e32 v11, 0xfffff, v96
                                        ; implicit-def: $vgpr96
	s_delay_alu instid0(VALU_DEP_1) | instskip(NEXT) | instid1(VALU_DEP_1)
	v_dual_add_nc_u32 v99, 6, v97 :: v_dual_add_nc_u32 v34, v11, v10
                                        ; implicit-def: $vgpr10_vgpr11
	v_cmpx_ne_u32_e32 0, v99
	s_xor_b32 s11, exec_lo, s11
; %bb.478:                              ;   in Loop: Header=BB2_128 Depth=2
	s_delay_alu instid0(VALU_DEP_2) | instskip(SKIP_1) | instid1(VALU_DEP_1)
	v_cmp_lt_u64_e32 vcc_lo, 0xffffff, v[34:35]
	v_add_nc_u32_e32 v10, 7, v97
	v_cndmask_b32_e32 v96, v99, v10, vcc_lo
	v_cndmask_b32_e64 v10, 0, 1, vcc_lo
	s_delay_alu instid0(VALU_DEP_1)
	v_lshrrev_b64 v[10:11], v10, v[34:35]
; %bb.479:                              ;   in Loop: Header=BB2_128 Depth=2
	s_and_not1_saveexec_b32 s11, s11
; %bb.480:                              ;   in Loop: Header=BB2_128 Depth=2
	v_mov_b64_e32 v[10:11], v[34:35]
	v_bfe_u32 v96, v34, 23, 1
; %bb.481:                              ;   in Loop: Header=BB2_128 Depth=2
	s_or_b32 exec_lo, exec_lo, s11
	s_delay_alu instid0(VALU_DEP_2) | instskip(NEXT) | instid1(VALU_DEP_2)
	v_lshrrev_b64 v[10:11], 20, v[10:11]
	v_cmp_gt_i32_e32 vcc_lo, 16, v96
	v_min_i32_e32 v34, 15, v96
	v_cmp_eq_u32_e64 s11, 0, v96
	s_delay_alu instid0(VALU_DEP_2) | instskip(SKIP_1) | instid1(VALU_DEP_2)
	v_dual_cndmask_b32 v11, 0, v11 :: v_dual_lshlrev_b32 v34, 3, v34
	v_cndmask_b32_e32 v10, 7, v10, vcc_lo
	v_and_b32_e32 v34, 0xf8, v34
	s_delay_alu instid0(VALU_DEP_2) | instskip(NEXT) | instid1(VALU_DEP_2)
	v_cmp_eq_u64_e32 vcc_lo, 0, v[10:11]
	v_and_or_b32 v10, v10, 7, v34
	s_and_b32 s11, s11, vcc_lo
	s_delay_alu instid0(VALU_DEP_1) | instid1(SALU_CYCLE_1)
	v_cndmask_b32_e64 v10, v10, 0, s11
	s_delay_alu instid0(VALU_DEP_1)
	v_or_b32_e32 v45, v10, v98
.LBB2_482:                              ;   in Loop: Header=BB2_128 Depth=2
	s_or_b32 exec_lo, exec_lo, s44
                                        ; implicit-def: $vgpr98
.LBB2_483:                              ;   in Loop: Header=BB2_128 Depth=2
	s_and_not1_saveexec_b32 s11, s43
; %bb.484:                              ;   in Loop: Header=BB2_128 Depth=2
	v_or_b32_e32 v45, 0x7e, v98
; %bb.485:                              ;   in Loop: Header=BB2_128 Depth=2
	s_or_b32 exec_lo, exec_lo, s11
                                        ; implicit-def: $vgpr11
.LBB2_486:                              ;   in Loop: Header=BB2_128 Depth=2
	s_and_not1_saveexec_b32 s11, s42
; %bb.487:                              ;   in Loop: Header=BB2_128 Depth=2
	v_or_b32_e32 v45, 0x7f, v11
; %bb.488:                              ;   in Loop: Header=BB2_128 Depth=2
	s_or_b32 exec_lo, exec_lo, s11
	v_mov_b32_e32 v11, 0
	s_mov_b32 s11, exec_lo
	v_cmpx_lt_u64_e64 s[14:15], v[12:13]
	s_cbranch_execz .LBB2_496
; %bb.489:                              ;   in Loop: Header=BB2_128 Depth=2
	v_lshrrev_b32_e32 v10, 24, v13
	v_bfrev_b32_e32 v11, 1
	s_mov_b32 s42, exec_lo
	s_delay_alu instid0(VALU_DEP_2)
	v_cmpx_ne_u32_e32 0x80, v10
	s_cbranch_execz .LBB2_495
; %bb.490:                              ;   in Loop: Header=BB2_128 Depth=2
	v_bfe_u32 v12, v13, 24, 7
	v_mov_b32_e32 v11, 0x7f800001
	s_mov_b32 s43, exec_lo
	s_delay_alu instid0(VALU_DEP_2)
	v_cmpx_ne_u32_e32 0x7f, v12
	s_cbranch_execz .LBB2_494
; %bb.491:                              ;   in Loop: Header=BB2_128 Depth=2
	v_dual_lshrrev_b32 v11, 3, v12 :: v_dual_bitop2_b32 v34, 7, v10 bitop3:0x40
	s_mov_b32 s44, exec_lo
	v_cmpx_gt_u32_e32 8, v12
; %bb.492:                              ;   in Loop: Header=BB2_128 Depth=2
	s_delay_alu instid0(VALU_DEP_2) | instskip(NEXT) | instid1(VALU_DEP_1)
	v_clz_i32_u32_e32 v11, v34
	v_min_u32_e32 v11, 32, v11
	s_delay_alu instid0(VALU_DEP_1) | instskip(NEXT) | instid1(VALU_DEP_1)
	v_subrev_nc_u32_e32 v12, 28, v11
	v_lshlrev_b64_e32 v[12:13], v12, v[34:35]
	s_delay_alu instid0(VALU_DEP_1)
	v_dual_sub_nc_u32 v11, 29, v11 :: v_dual_bitop2_b32 v34, 7, v12 bitop3:0x40
; %bb.493:                              ;   in Loop: Header=BB2_128 Depth=2
	s_or_b32 exec_lo, exec_lo, s44
	v_lshlrev_b32_e32 v10, 24, v10
	s_delay_alu instid0(VALU_DEP_2) | instskip(NEXT) | instid1(VALU_DEP_3)
	v_lshlrev_b32_e32 v12, 20, v34
	v_lshl_add_u32 v11, v11, 23, 0x3c000000
	s_delay_alu instid0(VALU_DEP_3) | instskip(NEXT) | instid1(VALU_DEP_1)
	v_and_b32_e32 v10, 0x80000000, v10
	v_or3_b32 v11, v12, v10, v11
.LBB2_494:                              ;   in Loop: Header=BB2_128 Depth=2
	s_or_b32 exec_lo, exec_lo, s43
.LBB2_495:                              ;   in Loop: Header=BB2_128 Depth=2
	s_delay_alu instid0(SALU_CYCLE_1)
	s_or_b32 exec_lo, exec_lo, s42
.LBB2_496:                              ;   in Loop: Header=BB2_128 Depth=2
	s_delay_alu instid0(SALU_CYCLE_1) | instskip(NEXT) | instid1(VALU_DEP_1)
	s_or_b32 exec_lo, exec_lo, s11
	v_mul_f32_e32 v10, s12, v11
                                        ; implicit-def: $vgpr56
	s_mov_b32 s11, exec_lo
	s_delay_alu instid0(VALU_DEP_1) | instskip(SKIP_1) | instid1(VALU_DEP_2)
	v_and_b32_e32 v34, 0x7f800000, v10
	v_lshrrev_b32_e32 v11, 24, v10
	v_cmpx_ne_u64_e32 0x7f800000, v[34:35]
	s_xor_b32 s12, exec_lo, s11
	s_cbranch_execz .LBB2_510
; %bb.497:                              ;   in Loop: Header=BB2_128 Depth=2
	v_and_b32_e32 v34, 0x7fffffff, v10
	v_and_b32_e32 v96, 0x80, v11
                                        ; implicit-def: $vgpr56
	s_mov_b32 s11, exec_lo
	s_delay_alu instid0(VALU_DEP_2)
	v_cmpx_gt_u64_e32 0x43e00001, v[34:35]
	s_xor_b32 s42, exec_lo, s11
	s_cbranch_execz .LBB2_507
; %bb.498:                              ;   in Loop: Header=BB2_128 Depth=2
	v_mov_b32_e32 v56, 0
	s_mov_b32 s43, exec_lo
	v_cmpx_ne_u32_e32 0, v10
	s_cbranch_execz .LBB2_506
; %bb.499:                              ;   in Loop: Header=BB2_128 Depth=2
	v_bfe_u32 v97, v10, 23, 8
	v_and_b32_e32 v12, 0x7fffff, v10
	s_delay_alu instid0(VALU_DEP_2) | instskip(NEXT) | instid1(VALU_DEP_2)
	v_cmp_gt_u32_e32 vcc_lo, 0x7a, v97
	v_or_b32_e32 v13, 0x800000, v12
	v_sub_nc_u32_e32 v11, 0x79, v97
	s_delay_alu instid0(VALU_DEP_1) | instskip(SKIP_1) | instid1(VALU_DEP_2)
	v_cndmask_b32_e32 v11, 0, v11, vcc_lo
	v_cmp_eq_u32_e32 vcc_lo, 0, v97
	v_cndmask_b32_e64 v98, v11, 0x78, vcc_lo
	s_delay_alu instid0(VALU_DEP_1) | instskip(SKIP_1) | instid1(VALU_DEP_2)
	v_dual_cndmask_b32 v34, v13, v12, vcc_lo :: v_dual_add_nc_u32 v10, 20, v98
	v_add_nc_u32_e32 v99, 19, v98
	v_lshlrev_b64_e64 v[10:11], v10, -1
	s_delay_alu instid0(VALU_DEP_2) | instskip(NEXT) | instid1(VALU_DEP_2)
	v_lshlrev_b64_e64 v[12:13], v99, 1
	v_bfi_b32 v63, v11, 0, 0
	s_delay_alu instid0(VALU_DEP_3) | instskip(SKIP_1) | instid1(VALU_DEP_2)
	v_bfi_b32 v62, v10, 0, v34
	v_lshrrev_b64 v[10:11], v98, v[34:35]
	v_cmp_eq_u64_e64 s11, v[62:63], v[12:13]
	s_delay_alu instid0(VALU_DEP_2)
	v_mov_b64_e32 v[12:13], v[10:11]
	s_and_saveexec_b32 s44, s11
; %bb.500:                              ;   in Loop: Header=BB2_128 Depth=2
	v_bfe_u32 v34, v10, 20, 1
	s_delay_alu instid0(VALU_DEP_1) | instskip(NEXT) | instid1(VALU_DEP_1)
	v_add_nc_u64_e32 v[12:13], v[10:11], v[34:35]
	v_add_nc_u64_e32 v[12:13], -1, v[12:13]
; %bb.501:                              ;   in Loop: Header=BB2_128 Depth=2
	s_or_b32 exec_lo, exec_lo, s44
	v_add_nc_u32_e32 v11, 0xffffff81, v97
	v_lshrrev_b32_e32 v13, 23, v10
	s_mov_b32 s11, exec_lo
	s_delay_alu instid0(VALU_DEP_2) | instskip(NEXT) | instid1(VALU_DEP_1)
	v_cndmask_b32_e64 v11, v11, 0xffffff82, vcc_lo
	v_add3_u32 v13, v98, v11, v13
	v_and_b32_e32 v11, 0xfffff, v12
                                        ; implicit-def: $vgpr12
	s_delay_alu instid0(VALU_DEP_1) | instskip(NEXT) | instid1(VALU_DEP_1)
	v_dual_add_nc_u32 v97, 6, v13 :: v_dual_add_nc_u32 v34, v11, v10
                                        ; implicit-def: $vgpr10_vgpr11
	v_cmpx_ne_u32_e32 0, v97
	s_xor_b32 s11, exec_lo, s11
; %bb.502:                              ;   in Loop: Header=BB2_128 Depth=2
	s_delay_alu instid0(VALU_DEP_2) | instskip(SKIP_1) | instid1(VALU_DEP_1)
	v_cmp_lt_u64_e32 vcc_lo, 0xffffff, v[34:35]
	v_add_nc_u32_e32 v10, 7, v13
	v_cndmask_b32_e32 v12, v97, v10, vcc_lo
	v_cndmask_b32_e64 v10, 0, 1, vcc_lo
	s_delay_alu instid0(VALU_DEP_1)
	v_lshrrev_b64 v[10:11], v10, v[34:35]
; %bb.503:                              ;   in Loop: Header=BB2_128 Depth=2
	s_and_not1_saveexec_b32 s11, s11
; %bb.504:                              ;   in Loop: Header=BB2_128 Depth=2
	v_mov_b64_e32 v[10:11], v[34:35]
	v_bfe_u32 v12, v34, 23, 1
; %bb.505:                              ;   in Loop: Header=BB2_128 Depth=2
	s_or_b32 exec_lo, exec_lo, s11
	s_delay_alu instid0(VALU_DEP_2) | instskip(NEXT) | instid1(VALU_DEP_2)
	v_lshrrev_b64 v[10:11], 20, v[10:11]
	v_cmp_gt_i32_e32 vcc_lo, 16, v12
	v_min_i32_e32 v13, 15, v12
	v_cmp_eq_u32_e64 s11, 0, v12
	s_delay_alu instid0(VALU_DEP_2) | instskip(SKIP_1) | instid1(VALU_DEP_2)
	v_dual_cndmask_b32 v11, 0, v11, vcc_lo :: v_dual_lshlrev_b32 v13, 3, v13
	v_cndmask_b32_e32 v10, 7, v10, vcc_lo
	v_and_b32_e32 v13, 0xf8, v13
	s_delay_alu instid0(VALU_DEP_2) | instskip(NEXT) | instid1(VALU_DEP_2)
	v_cmp_eq_u64_e32 vcc_lo, 0, v[10:11]
	v_and_or_b32 v10, v10, 7, v13
	s_and_b32 s11, s11, vcc_lo
	s_delay_alu instid0(VALU_DEP_1) | instid1(SALU_CYCLE_1)
	v_cndmask_b32_e64 v10, v10, 0, s11
	s_delay_alu instid0(VALU_DEP_1)
	v_or_b32_e32 v56, v10, v96
.LBB2_506:                              ;   in Loop: Header=BB2_128 Depth=2
	s_or_b32 exec_lo, exec_lo, s43
                                        ; implicit-def: $vgpr96
.LBB2_507:                              ;   in Loop: Header=BB2_128 Depth=2
	s_and_not1_saveexec_b32 s11, s42
; %bb.508:                              ;   in Loop: Header=BB2_128 Depth=2
	v_or_b32_e32 v56, 0x7e, v96
; %bb.509:                              ;   in Loop: Header=BB2_128 Depth=2
	s_or_b32 exec_lo, exec_lo, s11
                                        ; implicit-def: $vgpr11
.LBB2_510:                              ;   in Loop: Header=BB2_128 Depth=2
	s_and_not1_saveexec_b32 s11, s12
; %bb.511:                              ;   in Loop: Header=BB2_128 Depth=2
	v_or_b32_e32 v56, 0x7f, v11
; %bb.512:                              ;   in Loop: Header=BB2_128 Depth=2
	s_or_b32 exec_lo, exec_lo, s11
	global_load_b128 v[10:13], v[86:87], off th:TH_LOAD_NT
	v_lshl_or_b32 v47, v119, 8, v30
	v_dual_lshlrev_b32 v34, 16, v41 :: v_dual_lshlrev_b32 v96, 24, v44
	s_mov_b32 s11, exec_lo
	s_delay_alu instid0(VALU_DEP_1)
	v_or3_b32 v34, v34, v96, v47
	v_mov_b32_e32 v96, 0
	s_wait_xcnt 0x0
	v_cmpx_ne_u32_e32 0, v30
	s_cbranch_execz .LBB2_518
; %bb.513:                              ;   in Loop: Header=BB2_128 Depth=2
	v_bfrev_b32_e32 v96, 1
	s_mov_b32 s12, exec_lo
	v_cmpx_ne_u32_e32 0x80, v30
	s_cbranch_execz .LBB2_517
; %bb.514:                              ;   in Loop: Header=BB2_128 Depth=2
	v_and_b32_e32 v97, 0x7f, v30
	v_mov_b32_e32 v96, 0x7f800001
	s_mov_b32 s42, exec_lo
	s_delay_alu instid0(VALU_DEP_2)
	v_cmpx_ne_u32_e32 0x7f, v97
	s_cbranch_execz .LBB2_516
; %bb.515:                              ;   in Loop: Header=BB2_128 Depth=2
	v_dual_lshrrev_b32 v96, 3, v97 :: v_dual_bitop2_b32 v30, 7, v30 bitop3:0x40
	v_cmp_gt_u32_e32 vcc_lo, 8, v97
	s_delay_alu instid0(VALU_DEP_2) | instskip(NEXT) | instid1(VALU_DEP_1)
	v_clz_i32_u32_e32 v30, v30
	v_min_u32_e32 v30, 32, v30
	s_delay_alu instid0(VALU_DEP_1) | instskip(SKIP_1) | instid1(VALU_DEP_1)
	v_subrev_nc_u32_e32 v98, 28, v30
	v_sub_nc_u32_e32 v30, 29, v30
	v_cndmask_b32_e32 v30, v96, v30, vcc_lo
	s_delay_alu instid0(VALU_DEP_3) | instskip(NEXT) | instid1(VALU_DEP_2)
	v_cndmask_b32_e32 v96, 0, v98, vcc_lo
	v_lshl_add_u32 v30, v30, 23, 0x3c000000
	s_delay_alu instid0(VALU_DEP_2) | instskip(SKIP_1) | instid1(VALU_DEP_1)
	v_lshlrev_b64_e32 v[96:97], v96, v[34:35]
	v_lshlrev_b32_e32 v97, 24, v34
	v_and_b32_e32 v97, 0x80000000, v97
	s_delay_alu instid0(VALU_DEP_3) | instskip(NEXT) | instid1(VALU_DEP_1)
	v_lshlrev_b32_e32 v96, 20, v96
	v_and_b32_e32 v96, 0x700000, v96
	s_delay_alu instid0(VALU_DEP_1)
	v_or3_b32 v96, v96, v97, v30
.LBB2_516:                              ;   in Loop: Header=BB2_128 Depth=2
	s_or_b32 exec_lo, exec_lo, s42
.LBB2_517:                              ;   in Loop: Header=BB2_128 Depth=2
	s_delay_alu instid0(SALU_CYCLE_1)
	s_or_b32 exec_lo, exec_lo, s12
.LBB2_518:                              ;   in Loop: Header=BB2_128 Depth=2
	s_delay_alu instid0(SALU_CYCLE_1) | instskip(SKIP_4) | instid1(VALU_DEP_1)
	s_or_b32 exec_lo, exec_lo, s11
	s_wait_loadcnt 0x0
	v_and_b32_e32 v97, 0xff, v10
	s_mov_b32 s11, 0
	s_mov_b32 s12, exec_lo
	v_cmpx_lt_i16_e32 0x7f, v97
	s_xor_b32 s12, exec_lo, s12
	s_cbranch_execnz .LBB2_549
; %bb.519:                              ;   in Loop: Header=BB2_128 Depth=2
	s_or_saveexec_b32 s12, s12
	v_bfrev_b32_e32 v30, 1
	s_xor_b32 exec_lo, exec_lo, s12
	s_cbranch_execnz .LBB2_552
.LBB2_520:                              ;   in Loop: Header=BB2_128 Depth=2
	s_or_b32 exec_lo, exec_lo, s12
	s_and_saveexec_b32 s12, s11
	s_cbranch_execz .LBB2_522
.LBB2_521:                              ;   in Loop: Header=BB2_128 Depth=2
	v_and_b32_e32 v97, 0x7f, v10
	v_bfe_u32 v98, v10, 3, 4
	s_delay_alu instid0(VALU_DEP_2) | instskip(SKIP_1) | instid1(VALU_DEP_1)
	v_cmp_gt_u32_e32 vcc_lo, 8, v97
	v_and_b32_e32 v30, 7, v10
	v_clz_i32_u32_e32 v30, v30
	s_delay_alu instid0(VALU_DEP_1) | instskip(NEXT) | instid1(VALU_DEP_1)
	v_min_u32_e32 v30, 32, v30
	v_subrev_nc_u32_e32 v99, 28, v30
	v_sub_nc_u32_e32 v30, 29, v30
	s_delay_alu instid0(VALU_DEP_1) | instskip(SKIP_1) | instid1(VALU_DEP_2)
	v_dual_cndmask_b32 v30, v98, v30, vcc_lo :: v_dual_cndmask_b32 v98, 0, v99, vcc_lo
	v_cmp_ne_u32_e32 vcc_lo, 0x7f, v97
	v_lshl_add_u32 v30, v30, 23, 0x3c000000
	s_delay_alu instid0(VALU_DEP_3) | instskip(SKIP_1) | instid1(VALU_DEP_1)
	v_lshlrev_b64_e32 v[98:99], v98, v[10:11]
	v_lshlrev_b32_e32 v99, 24, v10
	v_and_b32_e32 v99, 0x80000000, v99
	s_delay_alu instid0(VALU_DEP_3) | instskip(NEXT) | instid1(VALU_DEP_1)
	v_lshlrev_b32_e32 v98, 20, v98
	v_and_b32_e32 v98, 0x700000, v98
	s_delay_alu instid0(VALU_DEP_1) | instskip(NEXT) | instid1(VALU_DEP_1)
	v_or3_b32 v30, v98, v99, v30
	v_cndmask_b32_e32 v30, 0x7f800001, v30, vcc_lo
.LBB2_522:                              ;   in Loop: Header=BB2_128 Depth=2
	s_or_b32 exec_lo, exec_lo, s12
	s_delay_alu instid0(VALU_DEP_1) | instskip(SKIP_1) | instid1(VALU_DEP_1)
	v_dual_add_f32 v96, v96, v30 :: v_dual_mov_b32 v99, v35
                                        ; implicit-def: $vgpr119
	s_mov_b32 s11, exec_lo
	v_and_b32_e32 v98, 0x7f800000, v96
	v_lshrrev_b32_e32 v30, 24, v96
	s_delay_alu instid0(VALU_DEP_2)
	v_cmpx_ne_u64_e32 0x7f800000, v[98:99]
	s_xor_b32 s12, exec_lo, s11
	s_cbranch_execz .LBB2_536
; %bb.523:                              ;   in Loop: Header=BB2_128 Depth=2
	v_and_b32_e32 v98, 0x7fffffff, v96
	v_mov_b32_e32 v99, v35
	v_and_b32_e32 v30, 0x80, v30
                                        ; implicit-def: $vgpr119
	s_mov_b32 s11, exec_lo
	s_delay_alu instid0(VALU_DEP_2)
	v_cmpx_gt_u64_e32 0x43e00001, v[98:99]
	s_xor_b32 s42, exec_lo, s11
	s_cbranch_execz .LBB2_533
; %bb.524:                              ;   in Loop: Header=BB2_128 Depth=2
	v_mov_b32_e32 v119, 0
	s_mov_b32 s43, exec_lo
	v_cmpx_ne_u32_e32 0, v96
	s_cbranch_execz .LBB2_532
; %bb.525:                              ;   in Loop: Header=BB2_128 Depth=2
	v_bfe_u32 v119, v96, 23, 8
	v_and_b32_e32 v98, 0x7fffff, v96
	s_mov_b32 s44, exec_lo
	s_delay_alu instid0(VALU_DEP_2) | instskip(NEXT) | instid1(VALU_DEP_2)
	v_cmp_gt_u32_e32 vcc_lo, 0x7a, v119
	v_or_b32_e32 v99, 0x800000, v98
	v_sub_nc_u32_e32 v97, 0x79, v119
	s_delay_alu instid0(VALU_DEP_1) | instskip(SKIP_1) | instid1(VALU_DEP_4)
	v_cndmask_b32_e32 v97, 0, v97, vcc_lo
	v_cmp_eq_u32_e32 vcc_lo, 0, v119
	v_cndmask_b32_e32 v98, v99, v98, vcc_lo
	v_mov_b32_e32 v99, v35
	s_delay_alu instid0(VALU_DEP_4) | instskip(NEXT) | instid1(VALU_DEP_1)
	v_cndmask_b32_e64 v41, v97, 0x78, vcc_lo
	v_dual_add_nc_u32 v96, 20, v41 :: v_dual_add_nc_u32 v44, 19, v41
	s_delay_alu instid0(VALU_DEP_1) | instskip(NEXT) | instid1(VALU_DEP_2)
	v_lshlrev_b64_e64 v[96:97], v96, -1
	v_lshlrev_b64_e64 v[62:63], v44, 1
	s_delay_alu instid0(VALU_DEP_2) | instskip(NEXT) | instid1(VALU_DEP_3)
	v_bfi_b32 v73, v97, 0, 0
	v_bfi_b32 v72, v96, 0, v98
	v_lshrrev_b64 v[96:97], v41, v[98:99]
	s_delay_alu instid0(VALU_DEP_1) | instskip(NEXT) | instid1(VALU_DEP_3)
	v_mov_b64_e32 v[98:99], v[96:97]
	v_cmpx_eq_u64_e64 v[72:73], v[62:63]
; %bb.526:                              ;   in Loop: Header=BB2_128 Depth=2
	v_bfe_u32 v98, v96, 20, 1
	v_mov_b32_e32 v99, v35
	s_delay_alu instid0(VALU_DEP_1) | instskip(NEXT) | instid1(VALU_DEP_1)
	v_add_nc_u64_e32 v[98:99], v[96:97], v[98:99]
	v_add_nc_u64_e32 v[98:99], -1, v[98:99]
; %bb.527:                              ;   in Loop: Header=BB2_128 Depth=2
	s_or_b32 exec_lo, exec_lo, s44
	v_add_nc_u32_e32 v97, 0xffffff81, v119
	v_lshrrev_b32_e32 v99, 23, v96
	s_mov_b32 s11, exec_lo
	s_delay_alu instid0(VALU_DEP_2) | instskip(NEXT) | instid1(VALU_DEP_1)
	v_cndmask_b32_e64 v97, v97, 0xffffff82, vcc_lo
	v_add3_u32 v99, v41, v97, v99
	v_and_b32_e32 v97, 0xfffff, v98
                                        ; implicit-def: $vgpr98
	s_delay_alu instid0(VALU_DEP_1) | instskip(SKIP_1) | instid1(VALU_DEP_2)
	v_dual_add_nc_u32 v119, 6, v99 :: v_dual_add_nc_u32 v96, v97, v96
	v_mov_b32_e32 v97, v35
	v_cmpx_ne_u32_e32 0, v119
	s_xor_b32 s11, exec_lo, s11
; %bb.528:                              ;   in Loop: Header=BB2_128 Depth=2
	s_delay_alu instid0(VALU_DEP_2) | instskip(SKIP_2) | instid1(VALU_DEP_2)
	v_cmp_lt_u64_e32 vcc_lo, 0xffffff, v[96:97]
	v_add_nc_u32_e32 v98, 7, v99
	v_cndmask_b32_e64 v99, 0, 1, vcc_lo
	v_cndmask_b32_e32 v98, v119, v98, vcc_lo
	s_delay_alu instid0(VALU_DEP_2)
	v_lshrrev_b64 v[96:97], v99, v[96:97]
; %bb.529:                              ;   in Loop: Header=BB2_128 Depth=2
	s_and_not1_saveexec_b32 s11, s11
; %bb.530:                              ;   in Loop: Header=BB2_128 Depth=2
	s_delay_alu instid0(VALU_DEP_1)
	v_bfe_u32 v98, v96, 23, 1
; %bb.531:                              ;   in Loop: Header=BB2_128 Depth=2
	s_or_b32 exec_lo, exec_lo, s11
	s_delay_alu instid0(VALU_DEP_2) | instskip(NEXT) | instid1(VALU_DEP_2)
	v_lshrrev_b64 v[96:97], 20, v[96:97]
	v_cmp_gt_i32_e32 vcc_lo, 16, v98
	v_min_i32_e32 v99, 15, v98
	v_cmp_eq_u32_e64 s11, 0, v98
	s_delay_alu instid0(VALU_DEP_2) | instskip(SKIP_1) | instid1(VALU_DEP_2)
	v_dual_cndmask_b32 v97, 0, v97, vcc_lo :: v_dual_lshlrev_b32 v99, 3, v99
	v_cndmask_b32_e32 v96, 7, v96, vcc_lo
	v_and_b32_e32 v99, 0xf8, v99
	s_delay_alu instid0(VALU_DEP_2) | instskip(NEXT) | instid1(VALU_DEP_2)
	v_cmp_eq_u64_e32 vcc_lo, 0, v[96:97]
	v_and_or_b32 v96, v96, 7, v99
	s_and_b32 s11, s11, vcc_lo
	s_delay_alu instid0(VALU_DEP_1) | instid1(SALU_CYCLE_1)
	v_cndmask_b32_e64 v96, v96, 0, s11
	s_delay_alu instid0(VALU_DEP_1)
	v_or_b32_e32 v119, v96, v30
.LBB2_532:                              ;   in Loop: Header=BB2_128 Depth=2
	s_or_b32 exec_lo, exec_lo, s43
                                        ; implicit-def: $vgpr30
.LBB2_533:                              ;   in Loop: Header=BB2_128 Depth=2
	s_and_not1_saveexec_b32 s11, s42
; %bb.534:                              ;   in Loop: Header=BB2_128 Depth=2
	v_or_b32_e32 v119, 0x7e, v30
; %bb.535:                              ;   in Loop: Header=BB2_128 Depth=2
	s_or_b32 exec_lo, exec_lo, s11
                                        ; implicit-def: $vgpr30
.LBB2_536:                              ;   in Loop: Header=BB2_128 Depth=2
	s_and_not1_saveexec_b32 s11, s12
; %bb.537:                              ;   in Loop: Header=BB2_128 Depth=2
	v_or_b32_e32 v119, 0x7f, v30
; %bb.538:                              ;   in Loop: Header=BB2_128 Depth=2
	s_or_b32 exec_lo, exec_lo, s11
	v_lshrrev_b16 v30, 8, v47
	v_mov_b32_e32 v96, 0
	s_mov_b32 s11, exec_lo
	s_delay_alu instid0(VALU_DEP_2)
	v_cmpx_ne_u16_e32 0, v30
	s_cbranch_execz .LBB2_546
; %bb.539:                              ;   in Loop: Header=BB2_128 Depth=2
	v_bfrev_b32_e32 v96, 1
	s_mov_b32 s12, exec_lo
	v_cmpx_ne_u16_e32 0x80, v30
	s_cbranch_execz .LBB2_545
; %bb.540:                              ;   in Loop: Header=BB2_128 Depth=2
	v_and_b32_e32 v30, 0xffff, v30
	v_mov_b32_e32 v96, 0x7f800001
	s_mov_b32 s42, exec_lo
	s_delay_alu instid0(VALU_DEP_2) | instskip(NEXT) | instid1(VALU_DEP_1)
	v_and_b32_e32 v98, 0x7f, v30
	v_cmpx_ne_u32_e32 0x7f, v98
	s_cbranch_execz .LBB2_544
; %bb.541:                              ;   in Loop: Header=BB2_128 Depth=2
	v_dual_mov_b32 v97, v35 :: v_dual_bitop2_b32 v96, 7, v30 bitop3:0x40
	v_lshrrev_b32_e32 v30, 3, v98
	s_mov_b32 s43, exec_lo
	v_cmpx_gt_u32_e32 8, v98
; %bb.542:                              ;   in Loop: Header=BB2_128 Depth=2
	s_delay_alu instid0(VALU_DEP_3) | instskip(NEXT) | instid1(VALU_DEP_1)
	v_clz_i32_u32_e32 v30, v96
	v_min_u32_e32 v30, 32, v30
	s_delay_alu instid0(VALU_DEP_1) | instskip(NEXT) | instid1(VALU_DEP_1)
	v_subrev_nc_u32_e32 v98, 28, v30
	v_lshlrev_b64_e32 v[96:97], v98, v[96:97]
	s_delay_alu instid0(VALU_DEP_1)
	v_dual_sub_nc_u32 v30, 29, v30 :: v_dual_bitop2_b32 v96, 7, v96 bitop3:0x40
; %bb.543:                              ;   in Loop: Header=BB2_128 Depth=2
	s_or_b32 exec_lo, exec_lo, s43
	s_delay_alu instid0(VALU_DEP_1) | instskip(NEXT) | instid1(VALU_DEP_2)
	v_dual_lshlrev_b32 v97, 16, v47 :: v_dual_lshlrev_b32 v96, 20, v96
	v_lshl_add_u32 v30, v30, 23, 0x3c000000
	s_delay_alu instid0(VALU_DEP_2) | instskip(NEXT) | instid1(VALU_DEP_1)
	v_and_b32_e32 v97, 0x80000000, v97
	v_or3_b32 v96, v96, v97, v30
.LBB2_544:                              ;   in Loop: Header=BB2_128 Depth=2
	s_or_b32 exec_lo, exec_lo, s42
.LBB2_545:                              ;   in Loop: Header=BB2_128 Depth=2
	s_delay_alu instid0(SALU_CYCLE_1)
	s_or_b32 exec_lo, exec_lo, s12
.LBB2_546:                              ;   in Loop: Header=BB2_128 Depth=2
	s_delay_alu instid0(SALU_CYCLE_1) | instskip(SKIP_3) | instid1(VALU_DEP_1)
	s_or_b32 exec_lo, exec_lo, s11
	v_lshrrev_b16 v97, 8, v10
	s_mov_b32 s12, 0
	s_mov_b32 s11, exec_lo
	v_cmpx_lt_i16_e32 0x7f, v97
	s_xor_b32 s11, exec_lo, s11
	s_cbranch_execnz .LBB2_553
; %bb.547:                              ;   in Loop: Header=BB2_128 Depth=2
	s_or_saveexec_b32 s11, s11
	v_bfrev_b32_e32 v98, 1
	s_xor_b32 exec_lo, exec_lo, s11
	s_cbranch_execnz .LBB2_556
.LBB2_548:                              ;   in Loop: Header=BB2_128 Depth=2
	s_or_b32 exec_lo, exec_lo, s11
	s_and_saveexec_b32 s11, s12
	s_cbranch_execnz .LBB2_557
	s_branch .LBB2_560
.LBB2_549:                              ;   in Loop: Header=BB2_128 Depth=2
	s_mov_b32 s11, -1
	s_mov_b32 s42, exec_lo
	v_cmpx_eq_u16_e32 0x80, v97
; %bb.550:                              ;   in Loop: Header=BB2_128 Depth=2
	s_xor_b32 s11, exec_lo, -1
; %bb.551:                              ;   in Loop: Header=BB2_128 Depth=2
	s_or_b32 exec_lo, exec_lo, s42
	s_delay_alu instid0(SALU_CYCLE_1)
	s_and_b32 s11, s11, exec_lo
                                        ; implicit-def: $vgpr97
	s_or_saveexec_b32 s12, s12
	v_bfrev_b32_e32 v30, 1
	s_xor_b32 exec_lo, exec_lo, s12
	s_cbranch_execz .LBB2_520
.LBB2_552:                              ;   in Loop: Header=BB2_128 Depth=2
	v_cmp_ne_u16_e32 vcc_lo, 0, v97
	v_mov_b32_e32 v30, 0
	s_and_not1_b32 s11, s11, exec_lo
	s_and_b32 s42, vcc_lo, exec_lo
	s_delay_alu instid0(SALU_CYCLE_1)
	s_or_b32 s11, s11, s42
	s_or_b32 exec_lo, exec_lo, s12
	s_and_saveexec_b32 s12, s11
	s_cbranch_execnz .LBB2_521
	s_branch .LBB2_522
.LBB2_553:                              ;   in Loop: Header=BB2_128 Depth=2
	s_mov_b32 s12, -1
	s_mov_b32 s42, exec_lo
	v_cmpx_eq_u16_e32 0x80, v97
; %bb.554:                              ;   in Loop: Header=BB2_128 Depth=2
	s_xor_b32 s12, exec_lo, -1
; %bb.555:                              ;   in Loop: Header=BB2_128 Depth=2
	s_or_b32 exec_lo, exec_lo, s42
	s_delay_alu instid0(SALU_CYCLE_1)
	s_and_b32 s12, s12, exec_lo
	s_or_saveexec_b32 s11, s11
	v_bfrev_b32_e32 v98, 1
	s_xor_b32 exec_lo, exec_lo, s11
	s_cbranch_execz .LBB2_548
.LBB2_556:                              ;   in Loop: Header=BB2_128 Depth=2
	v_cmp_ne_u16_e32 vcc_lo, 0, v97
	v_mov_b32_e32 v98, 0
	s_and_not1_b32 s12, s12, exec_lo
	s_and_b32 s42, vcc_lo, exec_lo
	s_delay_alu instid0(SALU_CYCLE_1)
	s_or_b32 s12, s12, s42
	s_or_b32 exec_lo, exec_lo, s11
	s_and_saveexec_b32 s11, s12
	s_cbranch_execz .LBB2_560
.LBB2_557:                              ;   in Loop: Header=BB2_128 Depth=2
	v_and_b32_e32 v30, 0xffff, v97
	v_mov_b32_e32 v98, 0x7f800001
	s_mov_b32 s12, exec_lo
	s_delay_alu instid0(VALU_DEP_2) | instskip(NEXT) | instid1(VALU_DEP_1)
	v_and_b32_e32 v99, 0x7f, v30
	v_cmpx_ne_u32_e32 0x7f, v99
	s_cbranch_execz .LBB2_559
; %bb.558:                              ;   in Loop: Header=BB2_128 Depth=2
	v_and_b32_e32 v98, 7, v30
	v_cmp_gt_u32_e32 vcc_lo, 8, v99
	s_delay_alu instid0(VALU_DEP_2) | instskip(NEXT) | instid1(VALU_DEP_1)
	v_clz_i32_u32_e32 v41, v98
	v_min_u32_e32 v41, 32, v41
	s_delay_alu instid0(VALU_DEP_1) | instskip(NEXT) | instid1(VALU_DEP_1)
	v_subrev_nc_u32_e32 v44, 28, v41
	v_lshlrev_b64_e32 v[62:63], v44, v[30:31]
	v_dual_lshrrev_b32 v30, 3, v99 :: v_dual_sub_nc_u32 v41, 29, v41
	s_delay_alu instid0(VALU_DEP_2) | instskip(NEXT) | instid1(VALU_DEP_1)
	v_dual_lshlrev_b32 v97, 24, v97 :: v_dual_bitop2_b32 v99, 7, v62 bitop3:0x40
	v_cndmask_b32_e32 v98, v98, v99, vcc_lo
	s_delay_alu instid0(VALU_DEP_3) | instskip(NEXT) | instid1(VALU_DEP_3)
	v_cndmask_b32_e32 v30, v30, v41, vcc_lo
	v_and_b32_e32 v97, 0x80000000, v97
	s_delay_alu instid0(VALU_DEP_3) | instskip(NEXT) | instid1(VALU_DEP_3)
	v_lshlrev_b32_e32 v98, 20, v98
	v_lshl_add_u32 v30, v30, 23, 0x3c000000
	s_delay_alu instid0(VALU_DEP_1)
	v_or3_b32 v98, v98, v97, v30
.LBB2_559:                              ;   in Loop: Header=BB2_128 Depth=2
	s_or_b32 exec_lo, exec_lo, s12
.LBB2_560:                              ;   in Loop: Header=BB2_128 Depth=2
	s_delay_alu instid0(SALU_CYCLE_1) | instskip(NEXT) | instid1(VALU_DEP_1)
	s_or_b32 exec_lo, exec_lo, s11
	v_dual_add_f32 v96, v96, v98 :: v_dual_mov_b32 v99, v35
                                        ; implicit-def: $vgpr41
	s_mov_b32 s11, exec_lo
	s_delay_alu instid0(VALU_DEP_1) | instskip(SKIP_1) | instid1(VALU_DEP_2)
	v_and_b32_e32 v98, 0x7f800000, v96
	v_lshrrev_b32_e32 v30, 24, v96
	v_cmpx_ne_u64_e32 0x7f800000, v[98:99]
	s_xor_b32 s12, exec_lo, s11
	s_cbranch_execz .LBB2_574
; %bb.561:                              ;   in Loop: Header=BB2_128 Depth=2
	v_and_b32_e32 v98, 0x7fffffff, v96
	v_mov_b32_e32 v99, v35
	v_and_b32_e32 v30, 0x80, v30
                                        ; implicit-def: $vgpr41
	s_mov_b32 s11, exec_lo
	s_delay_alu instid0(VALU_DEP_2)
	v_cmpx_gt_u64_e32 0x43e00001, v[98:99]
	s_xor_b32 s42, exec_lo, s11
	s_cbranch_execz .LBB2_571
; %bb.562:                              ;   in Loop: Header=BB2_128 Depth=2
	v_mov_b32_e32 v41, 0
	s_mov_b32 s43, exec_lo
	v_cmpx_ne_u32_e32 0, v96
	s_cbranch_execz .LBB2_570
; %bb.563:                              ;   in Loop: Header=BB2_128 Depth=2
	v_bfe_u32 v41, v96, 23, 8
	v_and_b32_e32 v98, 0x7fffff, v96
	s_mov_b32 s44, exec_lo
	s_delay_alu instid0(VALU_DEP_2) | instskip(NEXT) | instid1(VALU_DEP_2)
	v_cmp_gt_u32_e32 vcc_lo, 0x7a, v41
	v_or_b32_e32 v99, 0x800000, v98
	v_sub_nc_u32_e32 v97, 0x79, v41
	s_delay_alu instid0(VALU_DEP_1) | instskip(SKIP_1) | instid1(VALU_DEP_2)
	v_cndmask_b32_e32 v97, 0, v97, vcc_lo
	v_cmp_eq_u32_e32 vcc_lo, 0, v41
	v_cndmask_b32_e64 v44, v97, 0x78, vcc_lo
	v_cndmask_b32_e32 v98, v99, v98, vcc_lo
	s_delay_alu instid0(VALU_DEP_2) | instskip(SKIP_1) | instid1(VALU_DEP_2)
	v_dual_mov_b32 v99, v35 :: v_dual_add_nc_u32 v47, 19, v44
	v_add_nc_u32_e32 v96, 20, v44
	v_lshlrev_b64_e64 v[62:63], v47, 1
	s_delay_alu instid0(VALU_DEP_2) | instskip(NEXT) | instid1(VALU_DEP_1)
	v_lshlrev_b64_e64 v[96:97], v96, -1
	v_bfi_b32 v73, v97, 0, 0
	s_delay_alu instid0(VALU_DEP_2) | instskip(SKIP_1) | instid1(VALU_DEP_1)
	v_bfi_b32 v72, v96, 0, v98
	v_lshrrev_b64 v[96:97], v44, v[98:99]
	v_mov_b64_e32 v[98:99], v[96:97]
	s_delay_alu instid0(VALU_DEP_3)
	v_cmpx_eq_u64_e64 v[72:73], v[62:63]
; %bb.564:                              ;   in Loop: Header=BB2_128 Depth=2
	v_bfe_u32 v98, v96, 20, 1
	v_mov_b32_e32 v99, v35
	s_delay_alu instid0(VALU_DEP_1) | instskip(NEXT) | instid1(VALU_DEP_1)
	v_add_nc_u64_e32 v[98:99], v[96:97], v[98:99]
	v_add_nc_u64_e32 v[98:99], -1, v[98:99]
; %bb.565:                              ;   in Loop: Header=BB2_128 Depth=2
	s_or_b32 exec_lo, exec_lo, s44
	v_add_nc_u32_e32 v97, 0xffffff81, v41
	v_lshrrev_b32_e32 v99, 23, v96
	s_mov_b32 s11, exec_lo
	s_delay_alu instid0(VALU_DEP_2) | instskip(NEXT) | instid1(VALU_DEP_1)
	v_cndmask_b32_e64 v97, v97, 0xffffff82, vcc_lo
	v_add3_u32 v99, v44, v97, v99
	v_and_b32_e32 v97, 0xfffff, v98
                                        ; implicit-def: $vgpr98
	s_delay_alu instid0(VALU_DEP_1) | instskip(SKIP_1) | instid1(VALU_DEP_2)
	v_dual_add_nc_u32 v41, 6, v99 :: v_dual_add_nc_u32 v96, v97, v96
	v_mov_b32_e32 v97, v35
	v_cmpx_ne_u32_e32 0, v41
	s_xor_b32 s11, exec_lo, s11
; %bb.566:                              ;   in Loop: Header=BB2_128 Depth=2
	s_delay_alu instid0(VALU_DEP_2) | instskip(SKIP_2) | instid1(VALU_DEP_2)
	v_cmp_lt_u64_e32 vcc_lo, 0xffffff, v[96:97]
	v_add_nc_u32_e32 v98, 7, v99
	v_cndmask_b32_e64 v99, 0, 1, vcc_lo
	v_cndmask_b32_e32 v98, v41, v98, vcc_lo
	s_delay_alu instid0(VALU_DEP_2)
	v_lshrrev_b64 v[96:97], v99, v[96:97]
; %bb.567:                              ;   in Loop: Header=BB2_128 Depth=2
	s_and_not1_saveexec_b32 s11, s11
; %bb.568:                              ;   in Loop: Header=BB2_128 Depth=2
	s_delay_alu instid0(VALU_DEP_1)
	v_bfe_u32 v98, v96, 23, 1
; %bb.569:                              ;   in Loop: Header=BB2_128 Depth=2
	s_or_b32 exec_lo, exec_lo, s11
	s_delay_alu instid0(VALU_DEP_2) | instskip(NEXT) | instid1(VALU_DEP_2)
	v_lshrrev_b64 v[96:97], 20, v[96:97]
	v_cmp_gt_i32_e32 vcc_lo, 16, v98
	v_min_i32_e32 v99, 15, v98
	v_cmp_eq_u32_e64 s11, 0, v98
	s_delay_alu instid0(VALU_DEP_2) | instskip(SKIP_1) | instid1(VALU_DEP_2)
	v_dual_cndmask_b32 v97, 0, v97, vcc_lo :: v_dual_lshlrev_b32 v99, 3, v99
	v_cndmask_b32_e32 v96, 7, v96, vcc_lo
	v_and_b32_e32 v99, 0xf8, v99
	s_delay_alu instid0(VALU_DEP_2) | instskip(NEXT) | instid1(VALU_DEP_2)
	v_cmp_eq_u64_e32 vcc_lo, 0, v[96:97]
	v_and_or_b32 v96, v96, 7, v99
	s_and_b32 s11, s11, vcc_lo
	s_delay_alu instid0(VALU_DEP_1) | instid1(SALU_CYCLE_1)
	v_cndmask_b32_e64 v96, v96, 0, s11
	s_delay_alu instid0(VALU_DEP_1)
	v_or_b32_e32 v41, v96, v30
.LBB2_570:                              ;   in Loop: Header=BB2_128 Depth=2
	s_or_b32 exec_lo, exec_lo, s43
                                        ; implicit-def: $vgpr30
.LBB2_571:                              ;   in Loop: Header=BB2_128 Depth=2
	s_and_not1_saveexec_b32 s11, s42
; %bb.572:                              ;   in Loop: Header=BB2_128 Depth=2
	v_or_b32_e32 v41, 0x7e, v30
; %bb.573:                              ;   in Loop: Header=BB2_128 Depth=2
	s_or_b32 exec_lo, exec_lo, s11
                                        ; implicit-def: $vgpr30
.LBB2_574:                              ;   in Loop: Header=BB2_128 Depth=2
	s_and_not1_saveexec_b32 s11, s12
; %bb.575:                              ;   in Loop: Header=BB2_128 Depth=2
	v_or_b32_e32 v41, 0x7f, v30
; %bb.576:                              ;   in Loop: Header=BB2_128 Depth=2
	s_or_b32 exec_lo, exec_lo, s11
	v_dual_lshrrev_b32 v30, 16, v34 :: v_dual_mov_b32 v96, 0
	s_mov_b32 s11, exec_lo
	s_delay_alu instid0(VALU_DEP_1) | instskip(NEXT) | instid1(VALU_DEP_1)
	v_and_b32_e32 v97, 0xff, v30
	v_cmpx_ne_u16_e32 0, v97
	s_cbranch_execz .LBB2_584
; %bb.577:                              ;   in Loop: Header=BB2_128 Depth=2
	v_bfrev_b32_e32 v96, 1
	s_mov_b32 s12, exec_lo
	v_cmpx_ne_u16_e32 0x80, v97
	s_cbranch_execz .LBB2_583
; %bb.578:                              ;   in Loop: Header=BB2_128 Depth=2
	v_bfe_u32 v99, v34, 16, 7
	v_mov_b32_e32 v96, 0x7f800001
	s_mov_b32 s42, exec_lo
	s_delay_alu instid0(VALU_DEP_2)
	v_cmpx_ne_u32_e32 0x7f, v99
	s_cbranch_execz .LBB2_582
; %bb.579:                              ;   in Loop: Header=BB2_128 Depth=2
	v_dual_mov_b32 v97, v35 :: v_dual_bitop2_b32 v96, 7, v30 bitop3:0x40
	v_lshrrev_b32_e32 v98, 3, v99
	s_mov_b32 s43, exec_lo
	v_cmpx_gt_u32_e32 8, v99
; %bb.580:                              ;   in Loop: Header=BB2_128 Depth=2
	s_delay_alu instid0(VALU_DEP_3) | instskip(NEXT) | instid1(VALU_DEP_1)
	v_clz_i32_u32_e32 v98, v96
	v_min_u32_e32 v98, 32, v98
	s_delay_alu instid0(VALU_DEP_1) | instskip(NEXT) | instid1(VALU_DEP_1)
	v_subrev_nc_u32_e32 v99, 28, v98
	v_lshlrev_b64_e32 v[96:97], v99, v[96:97]
	s_delay_alu instid0(VALU_DEP_1)
	v_dual_sub_nc_u32 v98, 29, v98 :: v_dual_bitop2_b32 v96, 7, v96 bitop3:0x40
; %bb.581:                              ;   in Loop: Header=BB2_128 Depth=2
	s_or_b32 exec_lo, exec_lo, s43
	s_delay_alu instid0(VALU_DEP_1) | instskip(NEXT) | instid1(VALU_DEP_2)
	v_dual_lshlrev_b32 v30, 24, v30 :: v_dual_lshlrev_b32 v96, 20, v96
	v_lshl_add_u32 v97, v98, 23, 0x3c000000
	s_delay_alu instid0(VALU_DEP_2) | instskip(NEXT) | instid1(VALU_DEP_1)
	v_and_b32_e32 v30, 0x80000000, v30
	v_or3_b32 v96, v96, v30, v97
.LBB2_582:                              ;   in Loop: Header=BB2_128 Depth=2
	s_or_b32 exec_lo, exec_lo, s42
.LBB2_583:                              ;   in Loop: Header=BB2_128 Depth=2
	s_delay_alu instid0(SALU_CYCLE_1)
	s_or_b32 exec_lo, exec_lo, s12
.LBB2_584:                              ;   in Loop: Header=BB2_128 Depth=2
	s_delay_alu instid0(SALU_CYCLE_1) | instskip(SKIP_3) | instid1(VALU_DEP_1)
	s_or_b32 exec_lo, exec_lo, s11
	v_lshrrev_b32_e32 v30, 16, v10
	s_mov_b32 s12, 0
	s_mov_b32 s11, exec_lo
	v_and_b32_e32 v98, 0xff, v30
	s_delay_alu instid0(VALU_DEP_1)
	v_cmpx_lt_i16_e32 0x7f, v98
	s_xor_b32 s11, exec_lo, s11
	s_cbranch_execnz .LBB2_587
; %bb.585:                              ;   in Loop: Header=BB2_128 Depth=2
	s_or_saveexec_b32 s11, s11
	v_bfrev_b32_e32 v97, 1
	s_xor_b32 exec_lo, exec_lo, s11
	s_cbranch_execnz .LBB2_590
.LBB2_586:                              ;   in Loop: Header=BB2_128 Depth=2
	s_or_b32 exec_lo, exec_lo, s11
	s_and_saveexec_b32 s11, s12
	s_cbranch_execnz .LBB2_591
	s_branch .LBB2_594
.LBB2_587:                              ;   in Loop: Header=BB2_128 Depth=2
	s_mov_b32 s12, -1
	s_mov_b32 s42, exec_lo
	v_cmpx_eq_u16_e32 0x80, v98
; %bb.588:                              ;   in Loop: Header=BB2_128 Depth=2
	s_xor_b32 s12, exec_lo, -1
; %bb.589:                              ;   in Loop: Header=BB2_128 Depth=2
	s_or_b32 exec_lo, exec_lo, s42
	s_delay_alu instid0(SALU_CYCLE_1)
	s_and_b32 s12, s12, exec_lo
                                        ; implicit-def: $vgpr98
	s_or_saveexec_b32 s11, s11
	v_bfrev_b32_e32 v97, 1
	s_xor_b32 exec_lo, exec_lo, s11
	s_cbranch_execz .LBB2_586
.LBB2_590:                              ;   in Loop: Header=BB2_128 Depth=2
	v_cmp_ne_u16_e32 vcc_lo, 0, v98
	v_mov_b32_e32 v97, 0
	s_and_not1_b32 s12, s12, exec_lo
	s_and_b32 s42, vcc_lo, exec_lo
	s_delay_alu instid0(SALU_CYCLE_1)
	s_or_b32 s12, s12, s42
	s_or_b32 exec_lo, exec_lo, s11
	s_and_saveexec_b32 s11, s12
	s_cbranch_execz .LBB2_594
.LBB2_591:                              ;   in Loop: Header=BB2_128 Depth=2
	v_and_b32_e32 v98, 0x7f, v30
	v_mov_b32_e32 v97, 0x7f800001
	s_mov_b32 s12, exec_lo
	s_delay_alu instid0(VALU_DEP_2)
	v_cmpx_ne_u32_e32 0x7f, v98
	s_cbranch_execz .LBB2_593
; %bb.592:                              ;   in Loop: Header=BB2_128 Depth=2
	v_and_b32_e32 v97, 7, v30
	v_cmp_gt_u32_e32 vcc_lo, 8, v98
	s_delay_alu instid0(VALU_DEP_2) | instskip(NEXT) | instid1(VALU_DEP_1)
	v_clz_i32_u32_e32 v99, v97
	v_min_u32_e32 v99, 32, v99
	s_delay_alu instid0(VALU_DEP_1) | instskip(SKIP_1) | instid1(VALU_DEP_2)
	v_subrev_nc_u32_e32 v44, 28, v99
	v_sub_nc_u32_e32 v99, 29, v99
	v_lshlrev_b64_e32 v[62:63], v44, v[30:31]
	v_lshrrev_b32_e32 v44, 3, v98
	s_delay_alu instid0(VALU_DEP_2) | instskip(NEXT) | instid1(VALU_DEP_1)
	v_and_b32_e32 v98, 7, v62
	v_cndmask_b32_e32 v97, v97, v98, vcc_lo
	s_delay_alu instid0(VALU_DEP_3) | instskip(NEXT) | instid1(VALU_DEP_2)
	v_dual_cndmask_b32 v99, v44, v99 :: v_dual_lshlrev_b32 v30, 24, v30
	v_lshlrev_b32_e32 v97, 20, v97
	s_delay_alu instid0(VALU_DEP_2) | instskip(NEXT) | instid1(VALU_DEP_3)
	v_and_b32_e32 v30, 0x80000000, v30
	v_lshl_add_u32 v98, v99, 23, 0x3c000000
	s_delay_alu instid0(VALU_DEP_1)
	v_or3_b32 v97, v97, v30, v98
.LBB2_593:                              ;   in Loop: Header=BB2_128 Depth=2
	s_or_b32 exec_lo, exec_lo, s12
.LBB2_594:                              ;   in Loop: Header=BB2_128 Depth=2
	s_delay_alu instid0(SALU_CYCLE_1) | instskip(NEXT) | instid1(VALU_DEP_1)
	s_or_b32 exec_lo, exec_lo, s11
	v_dual_add_f32 v96, v96, v97 :: v_dual_mov_b32 v99, v35
                                        ; implicit-def: $vgpr44
	s_mov_b32 s11, exec_lo
	s_delay_alu instid0(VALU_DEP_1) | instskip(SKIP_1) | instid1(VALU_DEP_2)
	v_and_b32_e32 v98, 0x7f800000, v96
	v_lshrrev_b32_e32 v30, 24, v96
	v_cmpx_ne_u64_e32 0x7f800000, v[98:99]
	s_xor_b32 s12, exec_lo, s11
	s_cbranch_execz .LBB2_608
; %bb.595:                              ;   in Loop: Header=BB2_128 Depth=2
	v_and_b32_e32 v98, 0x7fffffff, v96
	v_mov_b32_e32 v99, v35
	v_and_b32_e32 v30, 0x80, v30
                                        ; implicit-def: $vgpr44
	s_mov_b32 s11, exec_lo
	s_delay_alu instid0(VALU_DEP_2)
	v_cmpx_gt_u64_e32 0x43e00001, v[98:99]
	s_xor_b32 s42, exec_lo, s11
	s_cbranch_execz .LBB2_605
; %bb.596:                              ;   in Loop: Header=BB2_128 Depth=2
	v_mov_b32_e32 v44, 0
	s_mov_b32 s43, exec_lo
	v_cmpx_ne_u32_e32 0, v96
	s_cbranch_execz .LBB2_604
; %bb.597:                              ;   in Loop: Header=BB2_128 Depth=2
	v_bfe_u32 v44, v96, 23, 8
	v_and_b32_e32 v98, 0x7fffff, v96
	s_mov_b32 s44, exec_lo
	s_delay_alu instid0(VALU_DEP_2) | instskip(NEXT) | instid1(VALU_DEP_2)
	v_cmp_gt_u32_e32 vcc_lo, 0x7a, v44
	v_or_b32_e32 v99, 0x800000, v98
	v_sub_nc_u32_e32 v97, 0x79, v44
	s_delay_alu instid0(VALU_DEP_1) | instskip(SKIP_1) | instid1(VALU_DEP_2)
	v_cndmask_b32_e32 v97, 0, v97, vcc_lo
	v_cmp_eq_u32_e32 vcc_lo, 0, v44
	v_cndmask_b32_e64 v47, v97, 0x78, vcc_lo
	v_cndmask_b32_e32 v98, v99, v98, vcc_lo
	s_delay_alu instid0(VALU_DEP_2) | instskip(SKIP_1) | instid1(VALU_DEP_2)
	v_dual_mov_b32 v99, v35 :: v_dual_add_nc_u32 v61, 19, v47
	v_add_nc_u32_e32 v96, 20, v47
	v_lshlrev_b64_e64 v[62:63], v61, 1
	s_delay_alu instid0(VALU_DEP_2) | instskip(NEXT) | instid1(VALU_DEP_1)
	v_lshlrev_b64_e64 v[96:97], v96, -1
	v_bfi_b32 v73, v97, 0, 0
	s_delay_alu instid0(VALU_DEP_2) | instskip(SKIP_1) | instid1(VALU_DEP_1)
	v_bfi_b32 v72, v96, 0, v98
	v_lshrrev_b64 v[96:97], v47, v[98:99]
	v_mov_b64_e32 v[98:99], v[96:97]
	s_delay_alu instid0(VALU_DEP_3)
	v_cmpx_eq_u64_e64 v[72:73], v[62:63]
; %bb.598:                              ;   in Loop: Header=BB2_128 Depth=2
	v_bfe_u32 v98, v96, 20, 1
	v_mov_b32_e32 v99, v35
	s_delay_alu instid0(VALU_DEP_1) | instskip(NEXT) | instid1(VALU_DEP_1)
	v_add_nc_u64_e32 v[98:99], v[96:97], v[98:99]
	v_add_nc_u64_e32 v[98:99], -1, v[98:99]
; %bb.599:                              ;   in Loop: Header=BB2_128 Depth=2
	s_or_b32 exec_lo, exec_lo, s44
	v_add_nc_u32_e32 v97, 0xffffff81, v44
	v_lshrrev_b32_e32 v99, 23, v96
	s_mov_b32 s11, exec_lo
	s_delay_alu instid0(VALU_DEP_2) | instskip(NEXT) | instid1(VALU_DEP_1)
	v_cndmask_b32_e64 v97, v97, 0xffffff82, vcc_lo
	v_add3_u32 v99, v47, v97, v99
	v_and_b32_e32 v97, 0xfffff, v98
                                        ; implicit-def: $vgpr98
	s_delay_alu instid0(VALU_DEP_1) | instskip(SKIP_1) | instid1(VALU_DEP_2)
	v_dual_add_nc_u32 v44, 6, v99 :: v_dual_add_nc_u32 v96, v97, v96
	v_mov_b32_e32 v97, v35
	v_cmpx_ne_u32_e32 0, v44
	s_xor_b32 s11, exec_lo, s11
; %bb.600:                              ;   in Loop: Header=BB2_128 Depth=2
	s_delay_alu instid0(VALU_DEP_2) | instskip(SKIP_2) | instid1(VALU_DEP_2)
	v_cmp_lt_u64_e32 vcc_lo, 0xffffff, v[96:97]
	v_add_nc_u32_e32 v98, 7, v99
	v_cndmask_b32_e64 v99, 0, 1, vcc_lo
	v_cndmask_b32_e32 v98, v44, v98, vcc_lo
	s_delay_alu instid0(VALU_DEP_2)
	v_lshrrev_b64 v[96:97], v99, v[96:97]
; %bb.601:                              ;   in Loop: Header=BB2_128 Depth=2
	s_and_not1_saveexec_b32 s11, s11
; %bb.602:                              ;   in Loop: Header=BB2_128 Depth=2
	s_delay_alu instid0(VALU_DEP_1)
	v_bfe_u32 v98, v96, 23, 1
; %bb.603:                              ;   in Loop: Header=BB2_128 Depth=2
	s_or_b32 exec_lo, exec_lo, s11
	s_delay_alu instid0(VALU_DEP_2) | instskip(NEXT) | instid1(VALU_DEP_2)
	v_lshrrev_b64 v[96:97], 20, v[96:97]
	v_cmp_gt_i32_e32 vcc_lo, 16, v98
	v_min_i32_e32 v99, 15, v98
	v_cmp_eq_u32_e64 s11, 0, v98
	s_delay_alu instid0(VALU_DEP_2) | instskip(SKIP_1) | instid1(VALU_DEP_2)
	v_dual_cndmask_b32 v97, 0, v97, vcc_lo :: v_dual_lshlrev_b32 v99, 3, v99
	v_cndmask_b32_e32 v96, 7, v96, vcc_lo
	v_and_b32_e32 v99, 0xf8, v99
	s_delay_alu instid0(VALU_DEP_2) | instskip(NEXT) | instid1(VALU_DEP_2)
	v_cmp_eq_u64_e32 vcc_lo, 0, v[96:97]
	v_and_or_b32 v96, v96, 7, v99
	s_and_b32 s11, s11, vcc_lo
	s_delay_alu instid0(VALU_DEP_1) | instid1(SALU_CYCLE_1)
	v_cndmask_b32_e64 v96, v96, 0, s11
	s_delay_alu instid0(VALU_DEP_1)
	v_or_b32_e32 v44, v96, v30
.LBB2_604:                              ;   in Loop: Header=BB2_128 Depth=2
	s_or_b32 exec_lo, exec_lo, s43
                                        ; implicit-def: $vgpr30
.LBB2_605:                              ;   in Loop: Header=BB2_128 Depth=2
	s_and_not1_saveexec_b32 s11, s42
; %bb.606:                              ;   in Loop: Header=BB2_128 Depth=2
	v_or_b32_e32 v44, 0x7e, v30
; %bb.607:                              ;   in Loop: Header=BB2_128 Depth=2
	s_or_b32 exec_lo, exec_lo, s11
                                        ; implicit-def: $vgpr30
.LBB2_608:                              ;   in Loop: Header=BB2_128 Depth=2
	s_and_not1_saveexec_b32 s11, s12
; %bb.609:                              ;   in Loop: Header=BB2_128 Depth=2
	v_or_b32_e32 v44, 0x7f, v30
; %bb.610:                              ;   in Loop: Header=BB2_128 Depth=2
	s_or_b32 exec_lo, exec_lo, s11
	v_mov_b32_e32 v96, 0
	s_mov_b32 s11, exec_lo
	v_cmpx_lt_u32_e32 0xffffff, v34
	s_cbranch_execz .LBB2_618
; %bb.611:                              ;   in Loop: Header=BB2_128 Depth=2
	v_lshrrev_b32_e32 v30, 24, v34
	v_bfrev_b32_e32 v96, 1
	s_mov_b32 s12, exec_lo
	s_delay_alu instid0(VALU_DEP_2)
	v_cmpx_ne_u32_e32 0x80, v30
	s_cbranch_execz .LBB2_617
; %bb.612:                              ;   in Loop: Header=BB2_128 Depth=2
	v_bfe_u32 v97, v34, 24, 7
	v_mov_b32_e32 v96, 0x7f800001
	s_mov_b32 s42, exec_lo
	s_delay_alu instid0(VALU_DEP_2)
	v_cmpx_ne_u32_e32 0x7f, v97
	s_cbranch_execz .LBB2_616
; %bb.613:                              ;   in Loop: Header=BB2_128 Depth=2
	v_dual_lshrrev_b32 v96, 3, v97 :: v_dual_bitop2_b32 v34, 7, v30 bitop3:0x40
	s_mov_b32 s43, exec_lo
	v_cmpx_gt_u32_e32 8, v97
; %bb.614:                              ;   in Loop: Header=BB2_128 Depth=2
	s_delay_alu instid0(VALU_DEP_2) | instskip(NEXT) | instid1(VALU_DEP_1)
	v_clz_i32_u32_e32 v96, v34
	v_min_u32_e32 v96, 32, v96
	s_delay_alu instid0(VALU_DEP_1) | instskip(NEXT) | instid1(VALU_DEP_1)
	v_subrev_nc_u32_e32 v97, 28, v96
	v_lshlrev_b64_e32 v[98:99], v97, v[34:35]
	s_delay_alu instid0(VALU_DEP_1)
	v_dual_sub_nc_u32 v96, 29, v96 :: v_dual_bitop2_b32 v34, 7, v98 bitop3:0x40
; %bb.615:                              ;   in Loop: Header=BB2_128 Depth=2
	s_or_b32 exec_lo, exec_lo, s43
	v_lshlrev_b32_e32 v30, 24, v30
	s_delay_alu instid0(VALU_DEP_2) | instskip(NEXT) | instid1(VALU_DEP_3)
	v_lshlrev_b32_e32 v34, 20, v34
	v_lshl_add_u32 v96, v96, 23, 0x3c000000
	s_delay_alu instid0(VALU_DEP_3) | instskip(NEXT) | instid1(VALU_DEP_1)
	v_and_b32_e32 v30, 0x80000000, v30
	v_or3_b32 v96, v34, v30, v96
.LBB2_616:                              ;   in Loop: Header=BB2_128 Depth=2
	s_or_b32 exec_lo, exec_lo, s42
.LBB2_617:                              ;   in Loop: Header=BB2_128 Depth=2
	s_delay_alu instid0(SALU_CYCLE_1)
	s_or_b32 exec_lo, exec_lo, s12
.LBB2_618:                              ;   in Loop: Header=BB2_128 Depth=2
	s_delay_alu instid0(SALU_CYCLE_1) | instskip(SKIP_3) | instid1(VALU_DEP_3)
	s_or_b32 exec_lo, exec_lo, s11
	v_lshrrev_b32_e32 v30, 24, v10
	v_bfe_u32 v34, v10, 24, 7
	v_cmp_gt_u32_e64 s12, 0x1000000, v10
	v_cmp_eq_u32_e32 vcc_lo, 0x80, v30
	s_delay_alu instid0(VALU_DEP_3) | instskip(SKIP_2) | instid1(VALU_DEP_1)
	v_cmp_eq_u32_e64 s11, 0x7f, v34
	v_cndmask_b32_e32 v97, 0x7f800001, v116, vcc_lo
	s_or_b32 s11, vcc_lo, s11
	v_cndmask_b32_e64 v97, v97, 0, s12
	s_nor_b32 s12, s12, s11
	s_delay_alu instid0(SALU_CYCLE_1)
	s_and_saveexec_b32 s11, s12
	s_cbranch_execz .LBB2_620
; %bb.619:                              ;   in Loop: Header=BB2_128 Depth=2
	v_and_b32_e32 v97, 7, v30
	v_cmp_gt_u32_e32 vcc_lo, 8, v34
	s_delay_alu instid0(VALU_DEP_2) | instskip(NEXT) | instid1(VALU_DEP_1)
	v_clz_i32_u32_e32 v98, v97
	v_min_u32_e32 v47, 32, v98
	s_delay_alu instid0(VALU_DEP_1) | instskip(SKIP_1) | instid1(VALU_DEP_2)
	v_subrev_nc_u32_e32 v98, 28, v47
	v_sub_nc_u32_e32 v47, 29, v47
	v_lshlrev_b64_e32 v[98:99], v98, v[30:31]
	v_lshrrev_b32_e32 v99, 3, v34
	v_lshlrev_b32_e32 v30, 24, v30
	s_delay_alu instid0(VALU_DEP_1) | instskip(NEXT) | instid1(VALU_DEP_4)
	v_and_b32_e32 v30, 0x80000000, v30
	v_and_b32_e32 v34, 7, v98
	s_delay_alu instid0(VALU_DEP_1) | instskip(NEXT) | instid1(VALU_DEP_1)
	v_dual_cndmask_b32 v34, v97, v34, vcc_lo :: v_dual_cndmask_b32 v98, v99, v47, vcc_lo
	v_lshlrev_b32_e32 v34, 20, v34
	s_delay_alu instid0(VALU_DEP_2) | instskip(NEXT) | instid1(VALU_DEP_1)
	v_lshl_add_u32 v97, v98, 23, 0x3c000000
	v_or3_b32 v97, v34, v30, v97
.LBB2_620:                              ;   in Loop: Header=BB2_128 Depth=2
	s_or_b32 exec_lo, exec_lo, s11
	s_delay_alu instid0(VALU_DEP_1) | instskip(SKIP_1) | instid1(VALU_DEP_1)
	v_add_f32_e32 v96, v96, v97
                                        ; implicit-def: $vgpr47
	s_mov_b32 s11, exec_lo
	v_and_b32_e32 v34, 0x7f800000, v96
	v_lshrrev_b32_e32 v30, 24, v96
	s_delay_alu instid0(VALU_DEP_2)
	v_cmpx_ne_u64_e32 0x7f800000, v[34:35]
	s_xor_b32 s12, exec_lo, s11
	s_cbranch_execz .LBB2_634
; %bb.621:                              ;   in Loop: Header=BB2_128 Depth=2
	v_and_b32_e32 v34, 0x7fffffff, v96
	v_and_b32_e32 v30, 0x80, v30
                                        ; implicit-def: $vgpr47
	s_mov_b32 s11, exec_lo
	s_delay_alu instid0(VALU_DEP_2)
	v_cmpx_gt_u64_e32 0x43e00001, v[34:35]
	s_xor_b32 s42, exec_lo, s11
	s_cbranch_execz .LBB2_631
; %bb.622:                              ;   in Loop: Header=BB2_128 Depth=2
	v_mov_b32_e32 v47, 0
	s_mov_b32 s43, exec_lo
	v_cmpx_ne_u32_e32 0, v96
	s_cbranch_execz .LBB2_630
; %bb.623:                              ;   in Loop: Header=BB2_128 Depth=2
	v_bfe_u32 v47, v96, 23, 8
	s_delay_alu instid0(VALU_DEP_1) | instskip(SKIP_1) | instid1(VALU_DEP_2)
	v_sub_nc_u32_e32 v34, 0x79, v47
	v_cmp_gt_u32_e32 vcc_lo, 0x7a, v47
	v_cndmask_b32_e32 v34, 0, v34, vcc_lo
	v_cmp_eq_u32_e32 vcc_lo, 0, v47
	s_delay_alu instid0(VALU_DEP_2) | instskip(SKIP_1) | instid1(VALU_DEP_2)
	v_cndmask_b32_e64 v61, v34, 0x78, vcc_lo
	v_and_b32_e32 v34, 0x7fffff, v96
	v_add_nc_u32_e32 v96, 20, v61
	s_delay_alu instid0(VALU_DEP_2) | instskip(SKIP_1) | instid1(VALU_DEP_3)
	v_or_b32_e32 v98, 0x800000, v34
	v_add_nc_u32_e32 v99, 19, v61
	v_lshlrev_b64_e64 v[96:97], v96, -1
	s_delay_alu instid0(VALU_DEP_3) | instskip(NEXT) | instid1(VALU_DEP_3)
	v_cndmask_b32_e32 v34, v98, v34, vcc_lo
	v_lshlrev_b64_e64 v[98:99], v99, 1
	s_delay_alu instid0(VALU_DEP_3) | instskip(NEXT) | instid1(VALU_DEP_3)
	v_bfi_b32 v63, v97, 0, 0
	v_bfi_b32 v62, v96, 0, v34
	v_lshrrev_b64 v[96:97], v61, v[34:35]
	s_delay_alu instid0(VALU_DEP_2) | instskip(NEXT) | instid1(VALU_DEP_2)
	v_cmp_eq_u64_e64 s11, v[62:63], v[98:99]
	v_mov_b64_e32 v[98:99], v[96:97]
	s_and_saveexec_b32 s44, s11
; %bb.624:                              ;   in Loop: Header=BB2_128 Depth=2
	v_bfe_u32 v34, v96, 20, 1
	s_delay_alu instid0(VALU_DEP_1) | instskip(NEXT) | instid1(VALU_DEP_1)
	v_add_nc_u64_e32 v[98:99], v[96:97], v[34:35]
	v_add_nc_u64_e32 v[98:99], -1, v[98:99]
; %bb.625:                              ;   in Loop: Header=BB2_128 Depth=2
	s_or_b32 exec_lo, exec_lo, s44
	v_add_nc_u32_e32 v34, 0xffffff81, v47
	v_lshrrev_b32_e32 v97, 23, v96
	s_mov_b32 s11, exec_lo
	s_delay_alu instid0(VALU_DEP_2) | instskip(NEXT) | instid1(VALU_DEP_1)
	v_cndmask_b32_e64 v34, v34, 0xffffff82, vcc_lo
	v_add3_u32 v99, v61, v34, v97
	v_and_b32_e32 v34, 0xfffff, v98
                                        ; implicit-def: $vgpr98
	s_delay_alu instid0(VALU_DEP_1) | instskip(NEXT) | instid1(VALU_DEP_1)
	v_dual_add_nc_u32 v47, 6, v99 :: v_dual_add_nc_u32 v34, v34, v96
                                        ; implicit-def: $vgpr96_vgpr97
	v_cmpx_ne_u32_e32 0, v47
	s_xor_b32 s11, exec_lo, s11
; %bb.626:                              ;   in Loop: Header=BB2_128 Depth=2
	s_delay_alu instid0(VALU_DEP_2) | instskip(SKIP_1) | instid1(VALU_DEP_1)
	v_cmp_lt_u64_e32 vcc_lo, 0xffffff, v[34:35]
	v_add_nc_u32_e32 v96, 7, v99
	v_cndmask_b32_e32 v98, v47, v96, vcc_lo
	v_cndmask_b32_e64 v96, 0, 1, vcc_lo
	s_delay_alu instid0(VALU_DEP_1)
	v_lshrrev_b64 v[96:97], v96, v[34:35]
; %bb.627:                              ;   in Loop: Header=BB2_128 Depth=2
	s_and_not1_saveexec_b32 s11, s11
; %bb.628:                              ;   in Loop: Header=BB2_128 Depth=2
	v_mov_b64_e32 v[96:97], v[34:35]
	v_bfe_u32 v98, v34, 23, 1
; %bb.629:                              ;   in Loop: Header=BB2_128 Depth=2
	s_or_b32 exec_lo, exec_lo, s11
	s_delay_alu instid0(VALU_DEP_2) | instskip(NEXT) | instid1(VALU_DEP_2)
	v_lshrrev_b64 v[96:97], 20, v[96:97]
	v_cmp_gt_i32_e32 vcc_lo, 16, v98
	v_min_i32_e32 v34, 15, v98
	v_cmp_eq_u32_e64 s11, 0, v98
	s_delay_alu instid0(VALU_DEP_2) | instskip(SKIP_1) | instid1(VALU_DEP_2)
	v_dual_cndmask_b32 v97, 0, v97 :: v_dual_lshlrev_b32 v34, 3, v34
	v_cndmask_b32_e32 v96, 7, v96, vcc_lo
	v_and_b32_e32 v34, 0xf8, v34
	s_delay_alu instid0(VALU_DEP_2) | instskip(NEXT) | instid1(VALU_DEP_2)
	v_cmp_eq_u64_e32 vcc_lo, 0, v[96:97]
	v_and_or_b32 v34, v96, 7, v34
	s_and_b32 s11, s11, vcc_lo
	s_delay_alu instid0(VALU_DEP_1) | instid1(SALU_CYCLE_1)
	v_cndmask_b32_e64 v34, v34, 0, s11
	s_delay_alu instid0(VALU_DEP_1)
	v_or_b32_e32 v47, v34, v30
.LBB2_630:                              ;   in Loop: Header=BB2_128 Depth=2
	s_or_b32 exec_lo, exec_lo, s43
                                        ; implicit-def: $vgpr30
.LBB2_631:                              ;   in Loop: Header=BB2_128 Depth=2
	s_and_not1_saveexec_b32 s11, s42
; %bb.632:                              ;   in Loop: Header=BB2_128 Depth=2
	v_or_b32_e32 v47, 0x7e, v30
; %bb.633:                              ;   in Loop: Header=BB2_128 Depth=2
	s_or_b32 exec_lo, exec_lo, s11
                                        ; implicit-def: $vgpr30
.LBB2_634:                              ;   in Loop: Header=BB2_128 Depth=2
	s_and_not1_saveexec_b32 s11, s12
; %bb.635:                              ;   in Loop: Header=BB2_128 Depth=2
	v_or_b32_e32 v47, 0x7f, v30
; %bb.636:                              ;   in Loop: Header=BB2_128 Depth=2
	s_or_b32 exec_lo, exec_lo, s11
	v_lshl_or_b32 v30, v101, 8, v100
	v_dual_lshlrev_b32 v34, 16, v59 :: v_dual_lshlrev_b32 v96, 24, v60
	v_mov_b32_e32 v98, 0
	s_mov_b32 s11, exec_lo
	s_delay_alu instid0(VALU_DEP_2)
	v_or3_b32 v34, v34, v96, v30
	v_cmpx_ne_u32_e32 0, v100
	s_cbranch_execz .LBB2_642
; %bb.637:                              ;   in Loop: Header=BB2_128 Depth=2
	v_bfrev_b32_e32 v98, 1
	s_mov_b32 s12, exec_lo
	v_cmpx_ne_u32_e32 0x80, v100
	s_cbranch_execz .LBB2_641
; %bb.638:                              ;   in Loop: Header=BB2_128 Depth=2
	v_and_b32_e32 v96, 0x7f, v100
	v_mov_b32_e32 v98, 0x7f800001
	s_mov_b32 s42, exec_lo
	s_delay_alu instid0(VALU_DEP_2)
	v_cmpx_ne_u32_e32 0x7f, v96
	s_cbranch_execz .LBB2_640
; %bb.639:                              ;   in Loop: Header=BB2_128 Depth=2
	v_cmp_gt_u32_e32 vcc_lo, 8, v96
	v_and_b32_e32 v97, 7, v100
	s_delay_alu instid0(VALU_DEP_1) | instskip(NEXT) | instid1(VALU_DEP_1)
	v_clz_i32_u32_e32 v97, v97
	v_min_u32_e32 v97, 32, v97
	v_lshrrev_b32_e32 v98, 3, v96
	s_delay_alu instid0(VALU_DEP_2) | instskip(NEXT) | instid1(VALU_DEP_1)
	v_subrev_nc_u32_e32 v99, 28, v97
	v_dual_cndmask_b32 v96, 0, v99 :: v_dual_sub_nc_u32 v97, 29, v97
	s_delay_alu instid0(VALU_DEP_1) | instskip(NEXT) | instid1(VALU_DEP_2)
	v_cndmask_b32_e32 v98, v98, v97, vcc_lo
	v_lshlrev_b64_e32 v[96:97], v96, v[34:35]
	v_lshlrev_b32_e32 v97, 24, v34
	s_delay_alu instid0(VALU_DEP_3) | instskip(NEXT) | instid1(VALU_DEP_2)
	v_lshl_add_u32 v98, v98, 23, 0x3c000000
	v_and_b32_e32 v97, 0x80000000, v97
	s_delay_alu instid0(VALU_DEP_4) | instskip(NEXT) | instid1(VALU_DEP_1)
	v_lshlrev_b32_e32 v96, 20, v96
	v_and_b32_e32 v96, 0x700000, v96
	s_delay_alu instid0(VALU_DEP_1)
	v_or3_b32 v98, v96, v97, v98
.LBB2_640:                              ;   in Loop: Header=BB2_128 Depth=2
	s_or_b32 exec_lo, exec_lo, s42
.LBB2_641:                              ;   in Loop: Header=BB2_128 Depth=2
	s_delay_alu instid0(SALU_CYCLE_1)
	s_or_b32 exec_lo, exec_lo, s12
.LBB2_642:                              ;   in Loop: Header=BB2_128 Depth=2
	s_delay_alu instid0(SALU_CYCLE_1) | instskip(SKIP_4) | instid1(VALU_DEP_2)
	s_or_b32 exec_lo, exec_lo, s11
	v_and_b32_e32 v97, 0xff, v11
	v_mov_b32_e32 v96, v11
	s_mov_b32 s11, 0
	s_mov_b32 s12, exec_lo
	v_cmpx_lt_i16_e32 0x7f, v97
	s_xor_b32 s12, exec_lo, s12
	s_cbranch_execnz .LBB2_673
; %bb.643:                              ;   in Loop: Header=BB2_128 Depth=2
	s_or_saveexec_b32 s12, s12
	v_bfrev_b32_e32 v99, 1
	s_xor_b32 exec_lo, exec_lo, s12
	s_cbranch_execnz .LBB2_676
.LBB2_644:                              ;   in Loop: Header=BB2_128 Depth=2
	s_or_b32 exec_lo, exec_lo, s12
	v_mov_b32_e32 v97, v35
	s_and_saveexec_b32 s12, s11
	s_cbranch_execz .LBB2_646
.LBB2_645:                              ;   in Loop: Header=BB2_128 Depth=2
	v_and_b32_e32 v59, 0x7f, v11
	v_bfe_u32 v100, v11, 3, 4
	s_delay_alu instid0(VALU_DEP_2) | instskip(SKIP_1) | instid1(VALU_DEP_1)
	v_cmp_gt_u32_e32 vcc_lo, 8, v59
	v_and_b32_e32 v99, 7, v11
	v_clz_i32_u32_e32 v99, v99
	s_delay_alu instid0(VALU_DEP_1) | instskip(NEXT) | instid1(VALU_DEP_1)
	v_min_u32_e32 v99, 32, v99
	v_subrev_nc_u32_e32 v101, 28, v99
	v_sub_nc_u32_e32 v99, 29, v99
	s_delay_alu instid0(VALU_DEP_1) | instskip(SKIP_1) | instid1(VALU_DEP_2)
	v_dual_cndmask_b32 v99, v100, v99 :: v_dual_cndmask_b32 v100, 0, v101
	v_cmp_ne_u32_e32 vcc_lo, 0x7f, v59
	v_lshlrev_b64_e32 v[100:101], v100, v[96:97]
	v_lshlrev_b32_e32 v97, 24, v96
	s_delay_alu instid0(VALU_DEP_1) | instskip(NEXT) | instid1(VALU_DEP_3)
	v_and_b32_e32 v97, 0x80000000, v97
	v_lshlrev_b32_e32 v100, 20, v100
	v_lshl_add_u32 v99, v99, 23, 0x3c000000
	s_delay_alu instid0(VALU_DEP_2) | instskip(NEXT) | instid1(VALU_DEP_1)
	v_and_b32_e32 v100, 0x700000, v100
	v_or3_b32 v97, v100, v97, v99
	s_delay_alu instid0(VALU_DEP_1)
	v_cndmask_b32_e32 v99, 0x7f800001, v97, vcc_lo
.LBB2_646:                              ;   in Loop: Header=BB2_128 Depth=2
	s_or_b32 exec_lo, exec_lo, s12
	s_delay_alu instid0(VALU_DEP_1) | instskip(NEXT) | instid1(VALU_DEP_1)
	v_dual_add_f32 v98, v98, v99 :: v_dual_mov_b32 v101, v35
	v_and_b32_e32 v100, 0x7f800000, v98
	v_lshrrev_b32_e32 v97, 24, v98
	s_delay_alu instid0(VALU_DEP_2) | instskip(SKIP_1) | instid1(SALU_CYCLE_1)
	v_cmp_ne_u64_e32 vcc_lo, 0x7f800000, v[100:101]
                                        ; implicit-def: $vgpr100
	s_and_saveexec_b32 s11, vcc_lo
	s_xor_b32 s12, exec_lo, s11
	s_cbranch_execz .LBB2_660
; %bb.647:                              ;   in Loop: Header=BB2_128 Depth=2
	v_and_b32_e32 v100, 0x7fffffff, v98
	v_mov_b32_e32 v101, v35
	v_and_b32_e32 v97, 0x80, v97
	s_delay_alu instid0(VALU_DEP_2) | instskip(SKIP_1) | instid1(SALU_CYCLE_1)
	v_cmp_gt_u64_e32 vcc_lo, 0x43e00001, v[100:101]
                                        ; implicit-def: $vgpr100
	s_and_saveexec_b32 s11, vcc_lo
	s_xor_b32 s42, exec_lo, s11
	s_cbranch_execz .LBB2_657
; %bb.648:                              ;   in Loop: Header=BB2_128 Depth=2
	v_mov_b32_e32 v100, 0
	s_mov_b32 s43, exec_lo
	v_cmpx_ne_u32_e32 0, v98
	s_cbranch_execz .LBB2_656
; %bb.649:                              ;   in Loop: Header=BB2_128 Depth=2
	v_bfe_u32 v59, v98, 23, 8
	v_and_b32_e32 v100, 0x7fffff, v98
	s_mov_b32 s44, exec_lo
	s_delay_alu instid0(VALU_DEP_2) | instskip(NEXT) | instid1(VALU_DEP_2)
	v_cmp_gt_u32_e32 vcc_lo, 0x7a, v59
	v_or_b32_e32 v101, 0x800000, v100
	v_sub_nc_u32_e32 v99, 0x79, v59
	s_delay_alu instid0(VALU_DEP_1) | instskip(SKIP_1) | instid1(VALU_DEP_2)
	v_cndmask_b32_e32 v99, 0, v99, vcc_lo
	v_cmp_eq_u32_e32 vcc_lo, 0, v59
	v_cndmask_b32_e64 v60, v99, 0x78, vcc_lo
	v_dual_cndmask_b32 v100, v101, v100 :: v_dual_mov_b32 v101, v35
	s_delay_alu instid0(VALU_DEP_2) | instskip(NEXT) | instid1(VALU_DEP_1)
	v_dual_add_nc_u32 v61, 19, v60 :: v_dual_add_nc_u32 v98, 20, v60
	v_lshlrev_b64_e64 v[62:63], v61, 1
	s_delay_alu instid0(VALU_DEP_2) | instskip(NEXT) | instid1(VALU_DEP_1)
	v_lshlrev_b64_e64 v[98:99], v98, -1
	v_bfi_b32 v73, v99, 0, 0
	s_delay_alu instid0(VALU_DEP_2) | instskip(SKIP_1) | instid1(VALU_DEP_1)
	v_bfi_b32 v72, v98, 0, v100
	v_lshrrev_b64 v[98:99], v60, v[100:101]
	v_mov_b64_e32 v[100:101], v[98:99]
	s_delay_alu instid0(VALU_DEP_3)
	v_cmpx_eq_u64_e64 v[72:73], v[62:63]
; %bb.650:                              ;   in Loop: Header=BB2_128 Depth=2
	v_bfe_u32 v100, v98, 20, 1
	v_mov_b32_e32 v101, v35
	s_delay_alu instid0(VALU_DEP_1) | instskip(NEXT) | instid1(VALU_DEP_1)
	v_add_nc_u64_e32 v[100:101], v[98:99], v[100:101]
	v_add_nc_u64_e32 v[100:101], -1, v[100:101]
; %bb.651:                              ;   in Loop: Header=BB2_128 Depth=2
	s_or_b32 exec_lo, exec_lo, s44
	v_add_nc_u32_e32 v99, 0xffffff81, v59
	v_lshrrev_b32_e32 v101, 23, v98
	s_mov_b32 s11, exec_lo
	s_delay_alu instid0(VALU_DEP_2) | instskip(NEXT) | instid1(VALU_DEP_1)
	v_cndmask_b32_e64 v99, v99, 0xffffff82, vcc_lo
	v_add3_u32 v101, v60, v99, v101
	v_and_b32_e32 v99, 0xfffff, v100
                                        ; implicit-def: $vgpr100
	s_delay_alu instid0(VALU_DEP_1) | instskip(SKIP_1) | instid1(VALU_DEP_2)
	v_dual_add_nc_u32 v59, 6, v101 :: v_dual_add_nc_u32 v98, v99, v98
	v_mov_b32_e32 v99, v35
	v_cmpx_ne_u32_e32 0, v59
	s_xor_b32 s11, exec_lo, s11
; %bb.652:                              ;   in Loop: Header=BB2_128 Depth=2
	s_delay_alu instid0(VALU_DEP_2) | instskip(SKIP_2) | instid1(VALU_DEP_2)
	v_cmp_lt_u64_e32 vcc_lo, 0xffffff, v[98:99]
	v_add_nc_u32_e32 v100, 7, v101
	v_cndmask_b32_e64 v101, 0, 1, vcc_lo
	v_cndmask_b32_e32 v100, v59, v100, vcc_lo
	s_delay_alu instid0(VALU_DEP_2)
	v_lshrrev_b64 v[98:99], v101, v[98:99]
; %bb.653:                              ;   in Loop: Header=BB2_128 Depth=2
	s_and_not1_saveexec_b32 s11, s11
; %bb.654:                              ;   in Loop: Header=BB2_128 Depth=2
	s_delay_alu instid0(VALU_DEP_1)
	v_bfe_u32 v100, v98, 23, 1
; %bb.655:                              ;   in Loop: Header=BB2_128 Depth=2
	s_or_b32 exec_lo, exec_lo, s11
	s_delay_alu instid0(VALU_DEP_2) | instskip(NEXT) | instid1(VALU_DEP_2)
	v_lshrrev_b64 v[98:99], 20, v[98:99]
	v_cmp_gt_i32_e32 vcc_lo, 16, v100
	v_min_i32_e32 v101, 15, v100
	v_cmp_eq_u32_e64 s11, 0, v100
	s_delay_alu instid0(VALU_DEP_2) | instskip(SKIP_1) | instid1(VALU_DEP_2)
	v_dual_cndmask_b32 v99, 0, v99, vcc_lo :: v_dual_lshlrev_b32 v101, 3, v101
	v_cndmask_b32_e32 v98, 7, v98, vcc_lo
	v_and_b32_e32 v101, 0xf8, v101
	s_delay_alu instid0(VALU_DEP_2) | instskip(NEXT) | instid1(VALU_DEP_2)
	v_cmp_eq_u64_e32 vcc_lo, 0, v[98:99]
	v_and_or_b32 v98, v98, 7, v101
	s_and_b32 s11, s11, vcc_lo
	s_delay_alu instid0(VALU_DEP_1) | instid1(SALU_CYCLE_1)
	v_cndmask_b32_e64 v98, v98, 0, s11
	s_delay_alu instid0(VALU_DEP_1)
	v_or_b32_e32 v100, v98, v97
.LBB2_656:                              ;   in Loop: Header=BB2_128 Depth=2
	s_or_b32 exec_lo, exec_lo, s43
                                        ; implicit-def: $vgpr97
.LBB2_657:                              ;   in Loop: Header=BB2_128 Depth=2
	s_and_not1_saveexec_b32 s11, s42
; %bb.658:                              ;   in Loop: Header=BB2_128 Depth=2
	v_or_b32_e32 v100, 0x7e, v97
; %bb.659:                              ;   in Loop: Header=BB2_128 Depth=2
	s_or_b32 exec_lo, exec_lo, s11
                                        ; implicit-def: $vgpr97
.LBB2_660:                              ;   in Loop: Header=BB2_128 Depth=2
	s_and_not1_saveexec_b32 s11, s12
; %bb.661:                              ;   in Loop: Header=BB2_128 Depth=2
	v_or_b32_e32 v100, 0x7f, v97
; %bb.662:                              ;   in Loop: Header=BB2_128 Depth=2
	s_or_b32 exec_lo, exec_lo, s11
	v_lshrrev_b16 v98, 8, v30
	v_mov_b32_e32 v97, 0
	s_mov_b32 s11, exec_lo
	s_delay_alu instid0(VALU_DEP_2)
	v_cmpx_ne_u16_e32 0, v98
	s_cbranch_execz .LBB2_670
; %bb.663:                              ;   in Loop: Header=BB2_128 Depth=2
	v_bfrev_b32_e32 v97, 1
	s_mov_b32 s12, exec_lo
	v_cmpx_ne_u16_e32 0x80, v98
	s_cbranch_execz .LBB2_669
; %bb.664:                              ;   in Loop: Header=BB2_128 Depth=2
	v_and_b32_e32 v98, 0xffff, v98
	v_mov_b32_e32 v97, 0x7f800001
	s_mov_b32 s42, exec_lo
	s_delay_alu instid0(VALU_DEP_2) | instskip(NEXT) | instid1(VALU_DEP_1)
	v_and_b32_e32 v101, 0x7f, v98
	v_cmpx_ne_u32_e32 0x7f, v101
	s_cbranch_execz .LBB2_668
; %bb.665:                              ;   in Loop: Header=BB2_128 Depth=2
	v_dual_mov_b32 v99, v35 :: v_dual_bitop2_b32 v98, 7, v98 bitop3:0x40
	v_lshrrev_b32_e32 v97, 3, v101
	s_mov_b32 s43, exec_lo
	v_cmpx_gt_u32_e32 8, v101
; %bb.666:                              ;   in Loop: Header=BB2_128 Depth=2
	s_delay_alu instid0(VALU_DEP_3) | instskip(NEXT) | instid1(VALU_DEP_1)
	v_clz_i32_u32_e32 v97, v98
	v_min_u32_e32 v97, 32, v97
	s_delay_alu instid0(VALU_DEP_1) | instskip(NEXT) | instid1(VALU_DEP_1)
	v_subrev_nc_u32_e32 v101, 28, v97
	v_lshlrev_b64_e32 v[98:99], v101, v[98:99]
	s_delay_alu instid0(VALU_DEP_1)
	v_dual_sub_nc_u32 v97, 29, v97 :: v_dual_bitop2_b32 v98, 7, v98 bitop3:0x40
; %bb.667:                              ;   in Loop: Header=BB2_128 Depth=2
	s_or_b32 exec_lo, exec_lo, s43
	v_lshlrev_b32_e32 v30, 16, v30
	s_delay_alu instid0(VALU_DEP_2) | instskip(NEXT) | instid1(VALU_DEP_3)
	v_lshlrev_b32_e32 v98, 20, v98
	v_lshl_add_u32 v97, v97, 23, 0x3c000000
	s_delay_alu instid0(VALU_DEP_3) | instskip(NEXT) | instid1(VALU_DEP_1)
	v_and_b32_e32 v30, 0x80000000, v30
	v_or3_b32 v97, v98, v30, v97
.LBB2_668:                              ;   in Loop: Header=BB2_128 Depth=2
	s_or_b32 exec_lo, exec_lo, s42
.LBB2_669:                              ;   in Loop: Header=BB2_128 Depth=2
	s_delay_alu instid0(SALU_CYCLE_1)
	s_or_b32 exec_lo, exec_lo, s12
.LBB2_670:                              ;   in Loop: Header=BB2_128 Depth=2
	s_delay_alu instid0(SALU_CYCLE_1) | instskip(SKIP_3) | instid1(VALU_DEP_1)
	s_or_b32 exec_lo, exec_lo, s11
	v_lshrrev_b16 v96, 8, v96
	s_mov_b32 s12, 0
	s_mov_b32 s11, exec_lo
	v_cmpx_lt_i16_e32 0x7f, v96
	s_xor_b32 s11, exec_lo, s11
	s_cbranch_execnz .LBB2_677
; %bb.671:                              ;   in Loop: Header=BB2_128 Depth=2
	s_or_saveexec_b32 s11, s11
	v_bfrev_b32_e32 v98, 1
	s_xor_b32 exec_lo, exec_lo, s11
	s_cbranch_execnz .LBB2_680
.LBB2_672:                              ;   in Loop: Header=BB2_128 Depth=2
	s_or_b32 exec_lo, exec_lo, s11
	s_and_saveexec_b32 s11, s12
	s_cbranch_execnz .LBB2_681
	s_branch .LBB2_684
.LBB2_673:                              ;   in Loop: Header=BB2_128 Depth=2
	s_mov_b32 s11, -1
	s_mov_b32 s42, exec_lo
	v_cmpx_eq_u16_e32 0x80, v97
; %bb.674:                              ;   in Loop: Header=BB2_128 Depth=2
	s_xor_b32 s11, exec_lo, -1
; %bb.675:                              ;   in Loop: Header=BB2_128 Depth=2
	s_or_b32 exec_lo, exec_lo, s42
	s_delay_alu instid0(SALU_CYCLE_1)
	s_and_b32 s11, s11, exec_lo
                                        ; implicit-def: $vgpr97
	s_or_saveexec_b32 s12, s12
	v_bfrev_b32_e32 v99, 1
	s_xor_b32 exec_lo, exec_lo, s12
	s_cbranch_execz .LBB2_644
.LBB2_676:                              ;   in Loop: Header=BB2_128 Depth=2
	v_cmp_ne_u16_e32 vcc_lo, 0, v97
	v_mov_b32_e32 v99, 0
	s_and_not1_b32 s11, s11, exec_lo
	s_and_b32 s42, vcc_lo, exec_lo
	s_delay_alu instid0(SALU_CYCLE_1)
	s_or_b32 s11, s11, s42
	s_or_b32 exec_lo, exec_lo, s12
	v_mov_b32_e32 v97, v35
	s_and_saveexec_b32 s12, s11
	s_cbranch_execnz .LBB2_645
	s_branch .LBB2_646
.LBB2_677:                              ;   in Loop: Header=BB2_128 Depth=2
	s_mov_b32 s12, -1
	s_mov_b32 s42, exec_lo
	v_cmpx_eq_u16_e32 0x80, v96
; %bb.678:                              ;   in Loop: Header=BB2_128 Depth=2
	s_xor_b32 s12, exec_lo, -1
; %bb.679:                              ;   in Loop: Header=BB2_128 Depth=2
	s_or_b32 exec_lo, exec_lo, s42
	s_delay_alu instid0(SALU_CYCLE_1)
	s_and_b32 s12, s12, exec_lo
	s_or_saveexec_b32 s11, s11
	v_bfrev_b32_e32 v98, 1
	s_xor_b32 exec_lo, exec_lo, s11
	s_cbranch_execz .LBB2_672
.LBB2_680:                              ;   in Loop: Header=BB2_128 Depth=2
	v_cmp_ne_u16_e32 vcc_lo, 0, v96
	v_mov_b32_e32 v98, 0
	s_and_not1_b32 s12, s12, exec_lo
	s_and_b32 s42, vcc_lo, exec_lo
	s_delay_alu instid0(SALU_CYCLE_1)
	s_or_b32 s12, s12, s42
	s_or_b32 exec_lo, exec_lo, s11
	s_and_saveexec_b32 s11, s12
	s_cbranch_execz .LBB2_684
.LBB2_681:                              ;   in Loop: Header=BB2_128 Depth=2
	v_and_b32_e32 v30, 0xffff, v96
	v_mov_b32_e32 v98, 0x7f800001
	s_mov_b32 s12, exec_lo
	s_delay_alu instid0(VALU_DEP_2) | instskip(NEXT) | instid1(VALU_DEP_1)
	v_and_b32_e32 v99, 0x7f, v30
	v_cmpx_ne_u32_e32 0x7f, v99
	s_cbranch_execz .LBB2_683
; %bb.682:                              ;   in Loop: Header=BB2_128 Depth=2
	v_and_b32_e32 v98, 7, v30
	v_cmp_gt_u32_e32 vcc_lo, 8, v99
	s_delay_alu instid0(VALU_DEP_2) | instskip(NEXT) | instid1(VALU_DEP_1)
	v_clz_i32_u32_e32 v101, v98
	v_min_u32_e32 v101, 32, v101
	s_delay_alu instid0(VALU_DEP_1) | instskip(NEXT) | instid1(VALU_DEP_1)
	v_subrev_nc_u32_e32 v59, 28, v101
	v_lshlrev_b64_e32 v[60:61], v59, v[30:31]
	v_dual_lshrrev_b32 v30, 3, v99 :: v_dual_sub_nc_u32 v101, 29, v101
	s_delay_alu instid0(VALU_DEP_2) | instskip(NEXT) | instid1(VALU_DEP_2)
	v_and_b32_e32 v99, 7, v60
	v_dual_lshlrev_b32 v96, 24, v96 :: v_dual_cndmask_b32 v30, v30, v101, vcc_lo
	s_delay_alu instid0(VALU_DEP_2) | instskip(NEXT) | instid1(VALU_DEP_2)
	v_cndmask_b32_e32 v98, v98, v99, vcc_lo
	v_and_b32_e32 v96, 0x80000000, v96
	s_delay_alu instid0(VALU_DEP_3) | instskip(NEXT) | instid1(VALU_DEP_3)
	v_lshl_add_u32 v30, v30, 23, 0x3c000000
	v_lshlrev_b32_e32 v98, 20, v98
	s_delay_alu instid0(VALU_DEP_1)
	v_or3_b32 v98, v98, v96, v30
.LBB2_683:                              ;   in Loop: Header=BB2_128 Depth=2
	s_or_b32 exec_lo, exec_lo, s12
.LBB2_684:                              ;   in Loop: Header=BB2_128 Depth=2
	s_delay_alu instid0(SALU_CYCLE_1) | instskip(NEXT) | instid1(VALU_DEP_1)
	s_or_b32 exec_lo, exec_lo, s11
	v_dual_add_f32 v96, v97, v98 :: v_dual_mov_b32 v99, v35
                                        ; implicit-def: $vgpr101
	s_mov_b32 s11, exec_lo
	s_delay_alu instid0(VALU_DEP_1) | instskip(SKIP_1) | instid1(VALU_DEP_2)
	v_and_b32_e32 v98, 0x7f800000, v96
	v_lshrrev_b32_e32 v30, 24, v96
	v_cmpx_ne_u64_e32 0x7f800000, v[98:99]
	s_xor_b32 s12, exec_lo, s11
	s_cbranch_execz .LBB2_698
; %bb.685:                              ;   in Loop: Header=BB2_128 Depth=2
	v_and_b32_e32 v98, 0x7fffffff, v96
	v_mov_b32_e32 v99, v35
	v_and_b32_e32 v30, 0x80, v30
                                        ; implicit-def: $vgpr101
	s_mov_b32 s11, exec_lo
	s_delay_alu instid0(VALU_DEP_2)
	v_cmpx_gt_u64_e32 0x43e00001, v[98:99]
	s_xor_b32 s42, exec_lo, s11
	s_cbranch_execz .LBB2_695
; %bb.686:                              ;   in Loop: Header=BB2_128 Depth=2
	v_mov_b32_e32 v101, 0
	s_mov_b32 s43, exec_lo
	v_cmpx_ne_u32_e32 0, v96
	s_cbranch_execz .LBB2_694
; %bb.687:                              ;   in Loop: Header=BB2_128 Depth=2
	v_bfe_u32 v101, v96, 23, 8
	v_and_b32_e32 v98, 0x7fffff, v96
	s_mov_b32 s44, exec_lo
	s_delay_alu instid0(VALU_DEP_2) | instskip(NEXT) | instid1(VALU_DEP_2)
	v_cmp_gt_u32_e32 vcc_lo, 0x7a, v101
	v_or_b32_e32 v99, 0x800000, v98
	v_sub_nc_u32_e32 v97, 0x79, v101
	s_delay_alu instid0(VALU_DEP_1) | instskip(SKIP_1) | instid1(VALU_DEP_2)
	v_cndmask_b32_e32 v97, 0, v97, vcc_lo
	v_cmp_eq_u32_e32 vcc_lo, 0, v101
	v_cndmask_b32_e64 v59, v97, 0x78, vcc_lo
	v_cndmask_b32_e32 v98, v99, v98, vcc_lo
	s_delay_alu instid0(VALU_DEP_2) | instskip(SKIP_1) | instid1(VALU_DEP_2)
	v_dual_mov_b32 v99, v35 :: v_dual_add_nc_u32 v60, 19, v59
	v_add_nc_u32_e32 v96, 20, v59
	v_lshlrev_b64_e64 v[60:61], v60, 1
	s_delay_alu instid0(VALU_DEP_2) | instskip(NEXT) | instid1(VALU_DEP_1)
	v_lshlrev_b64_e64 v[96:97], v96, -1
	v_bfi_b32 v63, v97, 0, 0
	s_delay_alu instid0(VALU_DEP_2) | instskip(SKIP_1) | instid1(VALU_DEP_1)
	v_bfi_b32 v62, v96, 0, v98
	v_lshrrev_b64 v[96:97], v59, v[98:99]
	v_mov_b64_e32 v[98:99], v[96:97]
	s_delay_alu instid0(VALU_DEP_3)
	v_cmpx_eq_u64_e64 v[62:63], v[60:61]
; %bb.688:                              ;   in Loop: Header=BB2_128 Depth=2
	v_bfe_u32 v98, v96, 20, 1
	v_mov_b32_e32 v99, v35
	s_delay_alu instid0(VALU_DEP_1) | instskip(NEXT) | instid1(VALU_DEP_1)
	v_add_nc_u64_e32 v[98:99], v[96:97], v[98:99]
	v_add_nc_u64_e32 v[98:99], -1, v[98:99]
; %bb.689:                              ;   in Loop: Header=BB2_128 Depth=2
	s_or_b32 exec_lo, exec_lo, s44
	v_add_nc_u32_e32 v97, 0xffffff81, v101
	v_lshrrev_b32_e32 v99, 23, v96
	s_mov_b32 s11, exec_lo
	s_delay_alu instid0(VALU_DEP_2) | instskip(NEXT) | instid1(VALU_DEP_1)
	v_cndmask_b32_e64 v97, v97, 0xffffff82, vcc_lo
	v_add3_u32 v99, v59, v97, v99
	v_and_b32_e32 v97, 0xfffff, v98
                                        ; implicit-def: $vgpr98
	s_delay_alu instid0(VALU_DEP_1) | instskip(SKIP_1) | instid1(VALU_DEP_2)
	v_dual_add_nc_u32 v101, 6, v99 :: v_dual_add_nc_u32 v96, v97, v96
	v_mov_b32_e32 v97, v35
	v_cmpx_ne_u32_e32 0, v101
	s_xor_b32 s11, exec_lo, s11
; %bb.690:                              ;   in Loop: Header=BB2_128 Depth=2
	s_delay_alu instid0(VALU_DEP_2) | instskip(SKIP_2) | instid1(VALU_DEP_2)
	v_cmp_lt_u64_e32 vcc_lo, 0xffffff, v[96:97]
	v_add_nc_u32_e32 v98, 7, v99
	v_cndmask_b32_e64 v99, 0, 1, vcc_lo
	v_cndmask_b32_e32 v98, v101, v98, vcc_lo
	s_delay_alu instid0(VALU_DEP_2)
	v_lshrrev_b64 v[96:97], v99, v[96:97]
; %bb.691:                              ;   in Loop: Header=BB2_128 Depth=2
	s_and_not1_saveexec_b32 s11, s11
; %bb.692:                              ;   in Loop: Header=BB2_128 Depth=2
	s_delay_alu instid0(VALU_DEP_1)
	v_bfe_u32 v98, v96, 23, 1
; %bb.693:                              ;   in Loop: Header=BB2_128 Depth=2
	s_or_b32 exec_lo, exec_lo, s11
	s_delay_alu instid0(VALU_DEP_2) | instskip(NEXT) | instid1(VALU_DEP_2)
	v_lshrrev_b64 v[96:97], 20, v[96:97]
	v_cmp_gt_i32_e32 vcc_lo, 16, v98
	v_min_i32_e32 v99, 15, v98
	v_cmp_eq_u32_e64 s11, 0, v98
	s_delay_alu instid0(VALU_DEP_2) | instskip(SKIP_1) | instid1(VALU_DEP_2)
	v_dual_cndmask_b32 v97, 0, v97, vcc_lo :: v_dual_lshlrev_b32 v99, 3, v99
	v_cndmask_b32_e32 v96, 7, v96, vcc_lo
	v_and_b32_e32 v99, 0xf8, v99
	s_delay_alu instid0(VALU_DEP_2) | instskip(NEXT) | instid1(VALU_DEP_2)
	v_cmp_eq_u64_e32 vcc_lo, 0, v[96:97]
	v_and_or_b32 v96, v96, 7, v99
	s_and_b32 s11, s11, vcc_lo
	s_delay_alu instid0(VALU_DEP_1) | instid1(SALU_CYCLE_1)
	v_cndmask_b32_e64 v96, v96, 0, s11
	s_delay_alu instid0(VALU_DEP_1)
	v_or_b32_e32 v101, v96, v30
.LBB2_694:                              ;   in Loop: Header=BB2_128 Depth=2
	s_or_b32 exec_lo, exec_lo, s43
                                        ; implicit-def: $vgpr30
.LBB2_695:                              ;   in Loop: Header=BB2_128 Depth=2
	s_and_not1_saveexec_b32 s11, s42
; %bb.696:                              ;   in Loop: Header=BB2_128 Depth=2
	v_or_b32_e32 v101, 0x7e, v30
; %bb.697:                              ;   in Loop: Header=BB2_128 Depth=2
	s_or_b32 exec_lo, exec_lo, s11
                                        ; implicit-def: $vgpr30
.LBB2_698:                              ;   in Loop: Header=BB2_128 Depth=2
	s_and_not1_saveexec_b32 s11, s12
; %bb.699:                              ;   in Loop: Header=BB2_128 Depth=2
	v_or_b32_e32 v101, 0x7f, v30
; %bb.700:                              ;   in Loop: Header=BB2_128 Depth=2
	s_or_b32 exec_lo, exec_lo, s11
	v_dual_lshrrev_b32 v30, 16, v34 :: v_dual_mov_b32 v96, 0
	s_mov_b32 s11, exec_lo
	s_delay_alu instid0(VALU_DEP_1) | instskip(NEXT) | instid1(VALU_DEP_1)
	v_and_b32_e32 v97, 0xff, v30
	v_cmpx_ne_u16_e32 0, v97
	s_cbranch_execz .LBB2_708
; %bb.701:                              ;   in Loop: Header=BB2_128 Depth=2
	v_bfrev_b32_e32 v96, 1
	s_mov_b32 s12, exec_lo
	v_cmpx_ne_u16_e32 0x80, v97
	s_cbranch_execz .LBB2_707
; %bb.702:                              ;   in Loop: Header=BB2_128 Depth=2
	v_bfe_u32 v99, v34, 16, 7
	v_mov_b32_e32 v96, 0x7f800001
	s_mov_b32 s42, exec_lo
	s_delay_alu instid0(VALU_DEP_2)
	v_cmpx_ne_u32_e32 0x7f, v99
	s_cbranch_execz .LBB2_706
; %bb.703:                              ;   in Loop: Header=BB2_128 Depth=2
	v_dual_mov_b32 v97, v35 :: v_dual_bitop2_b32 v96, 7, v30 bitop3:0x40
	v_lshrrev_b32_e32 v98, 3, v99
	s_mov_b32 s43, exec_lo
	v_cmpx_gt_u32_e32 8, v99
; %bb.704:                              ;   in Loop: Header=BB2_128 Depth=2
	s_delay_alu instid0(VALU_DEP_3) | instskip(NEXT) | instid1(VALU_DEP_1)
	v_clz_i32_u32_e32 v98, v96
	v_min_u32_e32 v98, 32, v98
	s_delay_alu instid0(VALU_DEP_1) | instskip(NEXT) | instid1(VALU_DEP_1)
	v_subrev_nc_u32_e32 v99, 28, v98
	v_lshlrev_b64_e32 v[96:97], v99, v[96:97]
	s_delay_alu instid0(VALU_DEP_1)
	v_dual_sub_nc_u32 v98, 29, v98 :: v_dual_bitop2_b32 v96, 7, v96 bitop3:0x40
; %bb.705:                              ;   in Loop: Header=BB2_128 Depth=2
	s_or_b32 exec_lo, exec_lo, s43
	s_delay_alu instid0(VALU_DEP_1) | instskip(NEXT) | instid1(VALU_DEP_2)
	v_dual_lshlrev_b32 v30, 24, v30 :: v_dual_lshlrev_b32 v96, 20, v96
	v_lshl_add_u32 v97, v98, 23, 0x3c000000
	s_delay_alu instid0(VALU_DEP_2) | instskip(NEXT) | instid1(VALU_DEP_1)
	v_and_b32_e32 v30, 0x80000000, v30
	v_or3_b32 v96, v96, v30, v97
.LBB2_706:                              ;   in Loop: Header=BB2_128 Depth=2
	s_or_b32 exec_lo, exec_lo, s42
.LBB2_707:                              ;   in Loop: Header=BB2_128 Depth=2
	s_delay_alu instid0(SALU_CYCLE_1)
	s_or_b32 exec_lo, exec_lo, s12
.LBB2_708:                              ;   in Loop: Header=BB2_128 Depth=2
	s_delay_alu instid0(SALU_CYCLE_1) | instskip(SKIP_3) | instid1(VALU_DEP_1)
	s_or_b32 exec_lo, exec_lo, s11
	v_lshrrev_b32_e32 v30, 16, v11
	s_mov_b32 s12, 0
	s_mov_b32 s11, exec_lo
	v_and_b32_e32 v98, 0xff, v30
	s_delay_alu instid0(VALU_DEP_1)
	v_cmpx_lt_i16_e32 0x7f, v98
	s_xor_b32 s11, exec_lo, s11
	s_cbranch_execnz .LBB2_711
; %bb.709:                              ;   in Loop: Header=BB2_128 Depth=2
	s_or_saveexec_b32 s11, s11
	v_bfrev_b32_e32 v97, 1
	s_xor_b32 exec_lo, exec_lo, s11
	s_cbranch_execnz .LBB2_714
.LBB2_710:                              ;   in Loop: Header=BB2_128 Depth=2
	s_or_b32 exec_lo, exec_lo, s11
	s_and_saveexec_b32 s11, s12
	s_cbranch_execnz .LBB2_715
	s_branch .LBB2_718
.LBB2_711:                              ;   in Loop: Header=BB2_128 Depth=2
	s_mov_b32 s12, -1
	s_mov_b32 s42, exec_lo
	v_cmpx_eq_u16_e32 0x80, v98
; %bb.712:                              ;   in Loop: Header=BB2_128 Depth=2
	s_xor_b32 s12, exec_lo, -1
; %bb.713:                              ;   in Loop: Header=BB2_128 Depth=2
	s_or_b32 exec_lo, exec_lo, s42
	s_delay_alu instid0(SALU_CYCLE_1)
	s_and_b32 s12, s12, exec_lo
                                        ; implicit-def: $vgpr98
	s_or_saveexec_b32 s11, s11
	v_bfrev_b32_e32 v97, 1
	s_xor_b32 exec_lo, exec_lo, s11
	s_cbranch_execz .LBB2_710
.LBB2_714:                              ;   in Loop: Header=BB2_128 Depth=2
	v_cmp_ne_u16_e32 vcc_lo, 0, v98
	v_mov_b32_e32 v97, 0
	s_and_not1_b32 s12, s12, exec_lo
	s_and_b32 s42, vcc_lo, exec_lo
	s_delay_alu instid0(SALU_CYCLE_1)
	s_or_b32 s12, s12, s42
	s_or_b32 exec_lo, exec_lo, s11
	s_and_saveexec_b32 s11, s12
	s_cbranch_execz .LBB2_718
.LBB2_715:                              ;   in Loop: Header=BB2_128 Depth=2
	v_and_b32_e32 v98, 0x7f, v30
	v_mov_b32_e32 v97, 0x7f800001
	s_mov_b32 s12, exec_lo
	s_delay_alu instid0(VALU_DEP_2)
	v_cmpx_ne_u32_e32 0x7f, v98
	s_cbranch_execz .LBB2_717
; %bb.716:                              ;   in Loop: Header=BB2_128 Depth=2
	v_and_b32_e32 v97, 7, v30
	v_cmp_gt_u32_e32 vcc_lo, 8, v98
	s_delay_alu instid0(VALU_DEP_2) | instskip(NEXT) | instid1(VALU_DEP_1)
	v_clz_i32_u32_e32 v99, v97
	v_min_u32_e32 v99, 32, v99
	s_delay_alu instid0(VALU_DEP_1) | instskip(SKIP_1) | instid1(VALU_DEP_2)
	v_subrev_nc_u32_e32 v59, 28, v99
	v_sub_nc_u32_e32 v99, 29, v99
	v_lshlrev_b64_e32 v[60:61], v59, v[30:31]
	s_delay_alu instid0(VALU_DEP_1) | instskip(NEXT) | instid1(VALU_DEP_1)
	v_dual_lshrrev_b32 v59, 3, v98 :: v_dual_bitop2_b32 v98, 7, v60 bitop3:0x40
	v_dual_cndmask_b32 v99, v59, v99 :: v_dual_lshlrev_b32 v30, 24, v30
	s_delay_alu instid0(VALU_DEP_2) | instskip(NEXT) | instid1(VALU_DEP_2)
	v_cndmask_b32_e32 v97, v97, v98, vcc_lo
	v_and_b32_e32 v30, 0x80000000, v30
	s_delay_alu instid0(VALU_DEP_3) | instskip(NEXT) | instid1(VALU_DEP_3)
	v_lshl_add_u32 v98, v99, 23, 0x3c000000
	v_lshlrev_b32_e32 v97, 20, v97
	s_delay_alu instid0(VALU_DEP_1)
	v_or3_b32 v97, v97, v30, v98
.LBB2_717:                              ;   in Loop: Header=BB2_128 Depth=2
	s_or_b32 exec_lo, exec_lo, s12
.LBB2_718:                              ;   in Loop: Header=BB2_128 Depth=2
	s_delay_alu instid0(SALU_CYCLE_1) | instskip(NEXT) | instid1(VALU_DEP_1)
	s_or_b32 exec_lo, exec_lo, s11
	v_dual_add_f32 v96, v96, v97 :: v_dual_mov_b32 v99, v35
                                        ; implicit-def: $vgpr59
	s_mov_b32 s11, exec_lo
	s_delay_alu instid0(VALU_DEP_1) | instskip(SKIP_1) | instid1(VALU_DEP_2)
	v_and_b32_e32 v98, 0x7f800000, v96
	v_lshrrev_b32_e32 v30, 24, v96
	v_cmpx_ne_u64_e32 0x7f800000, v[98:99]
	s_xor_b32 s12, exec_lo, s11
	s_cbranch_execz .LBB2_732
; %bb.719:                              ;   in Loop: Header=BB2_128 Depth=2
	v_and_b32_e32 v98, 0x7fffffff, v96
	v_mov_b32_e32 v99, v35
	v_and_b32_e32 v30, 0x80, v30
                                        ; implicit-def: $vgpr59
	s_mov_b32 s11, exec_lo
	s_delay_alu instid0(VALU_DEP_2)
	v_cmpx_gt_u64_e32 0x43e00001, v[98:99]
	s_xor_b32 s42, exec_lo, s11
	s_cbranch_execz .LBB2_729
; %bb.720:                              ;   in Loop: Header=BB2_128 Depth=2
	v_mov_b32_e32 v59, 0
	s_mov_b32 s43, exec_lo
	v_cmpx_ne_u32_e32 0, v96
	s_cbranch_execz .LBB2_728
; %bb.721:                              ;   in Loop: Header=BB2_128 Depth=2
	v_bfe_u32 v59, v96, 23, 8
	v_and_b32_e32 v98, 0x7fffff, v96
	s_mov_b32 s44, exec_lo
	s_delay_alu instid0(VALU_DEP_2) | instskip(NEXT) | instid1(VALU_DEP_2)
	v_cmp_gt_u32_e32 vcc_lo, 0x7a, v59
	v_or_b32_e32 v99, 0x800000, v98
	v_sub_nc_u32_e32 v97, 0x79, v59
	s_delay_alu instid0(VALU_DEP_1) | instskip(SKIP_1) | instid1(VALU_DEP_2)
	v_cndmask_b32_e32 v97, 0, v97, vcc_lo
	v_cmp_eq_u32_e32 vcc_lo, 0, v59
	v_cndmask_b32_e64 v60, v97, 0x78, vcc_lo
	v_cndmask_b32_e32 v98, v99, v98, vcc_lo
	s_delay_alu instid0(VALU_DEP_2) | instskip(SKIP_1) | instid1(VALU_DEP_2)
	v_dual_mov_b32 v99, v35 :: v_dual_add_nc_u32 v61, 19, v60
	v_add_nc_u32_e32 v96, 20, v60
	v_lshlrev_b64_e64 v[62:63], v61, 1
	s_delay_alu instid0(VALU_DEP_2) | instskip(NEXT) | instid1(VALU_DEP_1)
	v_lshlrev_b64_e64 v[96:97], v96, -1
	v_bfi_b32 v73, v97, 0, 0
	s_delay_alu instid0(VALU_DEP_2) | instskip(SKIP_1) | instid1(VALU_DEP_1)
	v_bfi_b32 v72, v96, 0, v98
	v_lshrrev_b64 v[96:97], v60, v[98:99]
	v_mov_b64_e32 v[98:99], v[96:97]
	s_delay_alu instid0(VALU_DEP_3)
	v_cmpx_eq_u64_e64 v[72:73], v[62:63]
; %bb.722:                              ;   in Loop: Header=BB2_128 Depth=2
	v_bfe_u32 v98, v96, 20, 1
	v_mov_b32_e32 v99, v35
	s_delay_alu instid0(VALU_DEP_1) | instskip(NEXT) | instid1(VALU_DEP_1)
	v_add_nc_u64_e32 v[98:99], v[96:97], v[98:99]
	v_add_nc_u64_e32 v[98:99], -1, v[98:99]
; %bb.723:                              ;   in Loop: Header=BB2_128 Depth=2
	s_or_b32 exec_lo, exec_lo, s44
	v_add_nc_u32_e32 v97, 0xffffff81, v59
	v_lshrrev_b32_e32 v99, 23, v96
	s_mov_b32 s11, exec_lo
	s_delay_alu instid0(VALU_DEP_2) | instskip(NEXT) | instid1(VALU_DEP_1)
	v_cndmask_b32_e64 v97, v97, 0xffffff82, vcc_lo
	v_add3_u32 v99, v60, v97, v99
	v_and_b32_e32 v97, 0xfffff, v98
                                        ; implicit-def: $vgpr98
	s_delay_alu instid0(VALU_DEP_1) | instskip(SKIP_1) | instid1(VALU_DEP_2)
	v_dual_add_nc_u32 v59, 6, v99 :: v_dual_add_nc_u32 v96, v97, v96
	v_mov_b32_e32 v97, v35
	v_cmpx_ne_u32_e32 0, v59
	s_xor_b32 s11, exec_lo, s11
; %bb.724:                              ;   in Loop: Header=BB2_128 Depth=2
	s_delay_alu instid0(VALU_DEP_2) | instskip(SKIP_2) | instid1(VALU_DEP_2)
	v_cmp_lt_u64_e32 vcc_lo, 0xffffff, v[96:97]
	v_add_nc_u32_e32 v98, 7, v99
	v_cndmask_b32_e64 v99, 0, 1, vcc_lo
	v_cndmask_b32_e32 v98, v59, v98, vcc_lo
	s_delay_alu instid0(VALU_DEP_2)
	v_lshrrev_b64 v[96:97], v99, v[96:97]
; %bb.725:                              ;   in Loop: Header=BB2_128 Depth=2
	s_and_not1_saveexec_b32 s11, s11
; %bb.726:                              ;   in Loop: Header=BB2_128 Depth=2
	s_delay_alu instid0(VALU_DEP_1)
	v_bfe_u32 v98, v96, 23, 1
; %bb.727:                              ;   in Loop: Header=BB2_128 Depth=2
	s_or_b32 exec_lo, exec_lo, s11
	s_delay_alu instid0(VALU_DEP_2) | instskip(NEXT) | instid1(VALU_DEP_2)
	v_lshrrev_b64 v[96:97], 20, v[96:97]
	v_cmp_gt_i32_e32 vcc_lo, 16, v98
	v_min_i32_e32 v99, 15, v98
	v_cmp_eq_u32_e64 s11, 0, v98
	s_delay_alu instid0(VALU_DEP_2) | instskip(SKIP_1) | instid1(VALU_DEP_2)
	v_dual_cndmask_b32 v97, 0, v97, vcc_lo :: v_dual_lshlrev_b32 v99, 3, v99
	v_cndmask_b32_e32 v96, 7, v96, vcc_lo
	v_and_b32_e32 v99, 0xf8, v99
	s_delay_alu instid0(VALU_DEP_2) | instskip(NEXT) | instid1(VALU_DEP_2)
	v_cmp_eq_u64_e32 vcc_lo, 0, v[96:97]
	v_and_or_b32 v96, v96, 7, v99
	s_and_b32 s11, s11, vcc_lo
	s_delay_alu instid0(VALU_DEP_1) | instid1(SALU_CYCLE_1)
	v_cndmask_b32_e64 v96, v96, 0, s11
	s_delay_alu instid0(VALU_DEP_1)
	v_or_b32_e32 v59, v96, v30
.LBB2_728:                              ;   in Loop: Header=BB2_128 Depth=2
	s_or_b32 exec_lo, exec_lo, s43
                                        ; implicit-def: $vgpr30
.LBB2_729:                              ;   in Loop: Header=BB2_128 Depth=2
	s_and_not1_saveexec_b32 s11, s42
; %bb.730:                              ;   in Loop: Header=BB2_128 Depth=2
	v_or_b32_e32 v59, 0x7e, v30
; %bb.731:                              ;   in Loop: Header=BB2_128 Depth=2
	s_or_b32 exec_lo, exec_lo, s11
                                        ; implicit-def: $vgpr30
.LBB2_732:                              ;   in Loop: Header=BB2_128 Depth=2
	s_and_not1_saveexec_b32 s11, s12
; %bb.733:                              ;   in Loop: Header=BB2_128 Depth=2
	v_or_b32_e32 v59, 0x7f, v30
; %bb.734:                              ;   in Loop: Header=BB2_128 Depth=2
	s_or_b32 exec_lo, exec_lo, s11
	v_mov_b32_e32 v96, 0
	s_mov_b32 s11, exec_lo
	v_cmpx_lt_u32_e32 0xffffff, v34
	s_cbranch_execz .LBB2_742
; %bb.735:                              ;   in Loop: Header=BB2_128 Depth=2
	v_lshrrev_b32_e32 v30, 24, v34
	v_bfrev_b32_e32 v96, 1
	s_mov_b32 s12, exec_lo
	s_delay_alu instid0(VALU_DEP_2)
	v_cmpx_ne_u32_e32 0x80, v30
	s_cbranch_execz .LBB2_741
; %bb.736:                              ;   in Loop: Header=BB2_128 Depth=2
	v_bfe_u32 v97, v34, 24, 7
	v_mov_b32_e32 v96, 0x7f800001
	s_mov_b32 s42, exec_lo
	s_delay_alu instid0(VALU_DEP_2)
	v_cmpx_ne_u32_e32 0x7f, v97
	s_cbranch_execz .LBB2_740
; %bb.737:                              ;   in Loop: Header=BB2_128 Depth=2
	v_dual_lshrrev_b32 v96, 3, v97 :: v_dual_bitop2_b32 v34, 7, v30 bitop3:0x40
	s_mov_b32 s43, exec_lo
	v_cmpx_gt_u32_e32 8, v97
; %bb.738:                              ;   in Loop: Header=BB2_128 Depth=2
	s_delay_alu instid0(VALU_DEP_2) | instskip(NEXT) | instid1(VALU_DEP_1)
	v_clz_i32_u32_e32 v96, v34
	v_min_u32_e32 v96, 32, v96
	s_delay_alu instid0(VALU_DEP_1) | instskip(NEXT) | instid1(VALU_DEP_1)
	v_subrev_nc_u32_e32 v97, 28, v96
	v_lshlrev_b64_e32 v[98:99], v97, v[34:35]
	s_delay_alu instid0(VALU_DEP_1)
	v_dual_sub_nc_u32 v96, 29, v96 :: v_dual_bitop2_b32 v34, 7, v98 bitop3:0x40
; %bb.739:                              ;   in Loop: Header=BB2_128 Depth=2
	s_or_b32 exec_lo, exec_lo, s43
	v_lshlrev_b32_e32 v30, 24, v30
	s_delay_alu instid0(VALU_DEP_2) | instskip(NEXT) | instid1(VALU_DEP_3)
	v_lshlrev_b32_e32 v34, 20, v34
	v_lshl_add_u32 v96, v96, 23, 0x3c000000
	s_delay_alu instid0(VALU_DEP_3) | instskip(NEXT) | instid1(VALU_DEP_1)
	v_and_b32_e32 v30, 0x80000000, v30
	v_or3_b32 v96, v34, v30, v96
.LBB2_740:                              ;   in Loop: Header=BB2_128 Depth=2
	s_or_b32 exec_lo, exec_lo, s42
.LBB2_741:                              ;   in Loop: Header=BB2_128 Depth=2
	s_delay_alu instid0(SALU_CYCLE_1)
	s_or_b32 exec_lo, exec_lo, s12
.LBB2_742:                              ;   in Loop: Header=BB2_128 Depth=2
	s_delay_alu instid0(SALU_CYCLE_1) | instskip(SKIP_3) | instid1(VALU_DEP_3)
	s_or_b32 exec_lo, exec_lo, s11
	v_lshrrev_b32_e32 v30, 24, v11
	v_bfe_u32 v34, v11, 24, 7
	v_cmp_gt_u64_e64 s12, s[16:17], v[10:11]
	v_cmp_eq_u32_e64 s11, 0x80, v30
	s_delay_alu instid0(VALU_DEP_3) | instskip(NEXT) | instid1(VALU_DEP_2)
	v_cmp_eq_u32_e32 vcc_lo, 0x7f, v34
	v_cndmask_b32_e64 v97, 0x7f800001, v116, s11
	s_or_b32 s11, s11, vcc_lo
	s_delay_alu instid0(VALU_DEP_1) | instskip(SKIP_1) | instid1(SALU_CYCLE_1)
	v_cndmask_b32_e64 v10, v97, 0, s12
	s_nor_b32 s12, s12, s11
	s_and_saveexec_b32 s11, s12
	s_cbranch_execz .LBB2_744
; %bb.743:                              ;   in Loop: Header=BB2_128 Depth=2
	v_and_b32_e32 v97, 7, v30
	v_cmp_gt_u32_e32 vcc_lo, 8, v34
	s_delay_alu instid0(VALU_DEP_2) | instskip(NEXT) | instid1(VALU_DEP_1)
	v_clz_i32_u32_e32 v10, v97
	v_min_u32_e32 v98, 32, v10
	s_delay_alu instid0(VALU_DEP_1) | instskip(SKIP_1) | instid1(VALU_DEP_2)
	v_subrev_nc_u32_e32 v10, 28, v98
	v_sub_nc_u32_e32 v98, 29, v98
	v_lshlrev_b64_e32 v[10:11], v10, v[30:31]
	v_lshrrev_b32_e32 v11, 3, v34
	v_lshlrev_b32_e32 v30, 24, v30
	s_delay_alu instid0(VALU_DEP_2) | instskip(NEXT) | instid1(VALU_DEP_4)
	v_cndmask_b32_e32 v11, v11, v98, vcc_lo
	v_and_b32_e32 v10, 7, v10
	s_delay_alu instid0(VALU_DEP_3) | instskip(NEXT) | instid1(VALU_DEP_3)
	v_and_b32_e32 v30, 0x80000000, v30
	v_lshl_add_u32 v11, v11, 23, 0x3c000000
	s_delay_alu instid0(VALU_DEP_3) | instskip(NEXT) | instid1(VALU_DEP_1)
	v_cndmask_b32_e32 v10, v97, v10, vcc_lo
	v_lshlrev_b32_e32 v10, 20, v10
	s_delay_alu instid0(VALU_DEP_1)
	v_or3_b32 v10, v10, v30, v11
.LBB2_744:                              ;   in Loop: Header=BB2_128 Depth=2
	s_or_b32 exec_lo, exec_lo, s11
	s_delay_alu instid0(VALU_DEP_1) | instskip(SKIP_1) | instid1(VALU_DEP_1)
	v_add_f32_e32 v10, v96, v10
                                        ; implicit-def: $vgpr30
	s_mov_b32 s11, exec_lo
	v_and_b32_e32 v34, 0x7f800000, v10
	v_lshrrev_b32_e32 v11, 24, v10
	s_delay_alu instid0(VALU_DEP_2)
	v_cmpx_ne_u64_e32 0x7f800000, v[34:35]
	s_xor_b32 s12, exec_lo, s11
	s_cbranch_execz .LBB2_758
; %bb.745:                              ;   in Loop: Header=BB2_128 Depth=2
	v_and_b32_e32 v34, 0x7fffffff, v10
	v_and_b32_e32 v98, 0x80, v11
                                        ; implicit-def: $vgpr30
	s_mov_b32 s11, exec_lo
	s_delay_alu instid0(VALU_DEP_2)
	v_cmpx_gt_u64_e32 0x43e00001, v[34:35]
	s_xor_b32 s42, exec_lo, s11
	s_cbranch_execz .LBB2_755
; %bb.746:                              ;   in Loop: Header=BB2_128 Depth=2
	v_mov_b32_e32 v30, 0
	s_mov_b32 s43, exec_lo
	v_cmpx_ne_u32_e32 0, v10
	s_cbranch_execz .LBB2_754
; %bb.747:                              ;   in Loop: Header=BB2_128 Depth=2
	v_bfe_u32 v30, v10, 23, 8
	v_and_b32_e32 v34, 0x7fffff, v10
	s_delay_alu instid0(VALU_DEP_2) | instskip(SKIP_1) | instid1(VALU_DEP_3)
	v_sub_nc_u32_e32 v11, 0x79, v30
	v_cmp_gt_u32_e32 vcc_lo, 0x7a, v30
	v_or_b32_e32 v96, 0x800000, v34
	s_delay_alu instid0(VALU_DEP_3) | instskip(SKIP_1) | instid1(VALU_DEP_3)
	v_cndmask_b32_e32 v11, 0, v11, vcc_lo
	v_cmp_eq_u32_e32 vcc_lo, 0, v30
	v_cndmask_b32_e32 v34, v96, v34, vcc_lo
	s_delay_alu instid0(VALU_DEP_3) | instskip(NEXT) | instid1(VALU_DEP_1)
	v_cndmask_b32_e64 v99, v11, 0x78, vcc_lo
	v_dual_add_nc_u32 v10, 20, v99 :: v_dual_add_nc_u32 v97, 19, v99
	s_delay_alu instid0(VALU_DEP_1) | instskip(NEXT) | instid1(VALU_DEP_2)
	v_lshlrev_b64_e64 v[10:11], v10, -1
	v_lshlrev_b64_e64 v[96:97], v97, 1
	s_delay_alu instid0(VALU_DEP_2) | instskip(NEXT) | instid1(VALU_DEP_3)
	v_bfi_b32 v61, v11, 0, 0
	v_bfi_b32 v60, v10, 0, v34
	v_lshrrev_b64 v[10:11], v99, v[34:35]
	s_delay_alu instid0(VALU_DEP_2) | instskip(NEXT) | instid1(VALU_DEP_2)
	v_cmp_eq_u64_e64 s11, v[60:61], v[96:97]
	v_mov_b64_e32 v[96:97], v[10:11]
	s_and_saveexec_b32 s44, s11
; %bb.748:                              ;   in Loop: Header=BB2_128 Depth=2
	v_bfe_u32 v34, v10, 20, 1
	s_delay_alu instid0(VALU_DEP_1) | instskip(NEXT) | instid1(VALU_DEP_1)
	v_add_nc_u64_e32 v[96:97], v[10:11], v[34:35]
	v_add_nc_u64_e32 v[96:97], -1, v[96:97]
; %bb.749:                              ;   in Loop: Header=BB2_128 Depth=2
	s_or_b32 exec_lo, exec_lo, s44
	v_add_nc_u32_e32 v11, 0xffffff81, v30
	v_lshrrev_b32_e32 v30, 23, v10
	s_mov_b32 s11, exec_lo
	s_delay_alu instid0(VALU_DEP_2) | instskip(NEXT) | instid1(VALU_DEP_1)
	v_cndmask_b32_e64 v11, v11, 0xffffff82, vcc_lo
	v_add3_u32 v97, v99, v11, v30
	v_and_b32_e32 v11, 0xfffff, v96
                                        ; implicit-def: $vgpr30
	s_delay_alu instid0(VALU_DEP_1) | instskip(NEXT) | instid1(VALU_DEP_1)
	v_dual_add_nc_u32 v96, 6, v97 :: v_dual_add_nc_u32 v34, v11, v10
                                        ; implicit-def: $vgpr10_vgpr11
	v_cmpx_ne_u32_e32 0, v96
	s_xor_b32 s11, exec_lo, s11
; %bb.750:                              ;   in Loop: Header=BB2_128 Depth=2
	s_delay_alu instid0(VALU_DEP_2) | instskip(SKIP_1) | instid1(VALU_DEP_1)
	v_cmp_lt_u64_e32 vcc_lo, 0xffffff, v[34:35]
	v_add_nc_u32_e32 v10, 7, v97
	v_cndmask_b32_e32 v30, v96, v10, vcc_lo
	v_cndmask_b32_e64 v10, 0, 1, vcc_lo
	s_delay_alu instid0(VALU_DEP_1)
	v_lshrrev_b64 v[10:11], v10, v[34:35]
; %bb.751:                              ;   in Loop: Header=BB2_128 Depth=2
	s_and_not1_saveexec_b32 s11, s11
; %bb.752:                              ;   in Loop: Header=BB2_128 Depth=2
	v_mov_b64_e32 v[10:11], v[34:35]
	v_bfe_u32 v30, v34, 23, 1
; %bb.753:                              ;   in Loop: Header=BB2_128 Depth=2
	s_or_b32 exec_lo, exec_lo, s11
	s_delay_alu instid0(VALU_DEP_2) | instskip(NEXT) | instid1(VALU_DEP_2)
	v_lshrrev_b64 v[10:11], 20, v[10:11]
	v_cmp_gt_i32_e32 vcc_lo, 16, v30
	v_min_i32_e32 v34, 15, v30
	v_cmp_eq_u32_e64 s11, 0, v30
	s_delay_alu instid0(VALU_DEP_2) | instskip(SKIP_1) | instid1(VALU_DEP_2)
	v_dual_cndmask_b32 v11, 0, v11 :: v_dual_lshlrev_b32 v34, 3, v34
	v_cndmask_b32_e32 v10, 7, v10, vcc_lo
	v_and_b32_e32 v34, 0xf8, v34
	s_delay_alu instid0(VALU_DEP_2) | instskip(NEXT) | instid1(VALU_DEP_2)
	v_cmp_eq_u64_e32 vcc_lo, 0, v[10:11]
	v_and_or_b32 v10, v10, 7, v34
	s_and_b32 s11, s11, vcc_lo
	s_delay_alu instid0(VALU_DEP_1) | instid1(SALU_CYCLE_1)
	v_cndmask_b32_e64 v10, v10, 0, s11
	s_delay_alu instid0(VALU_DEP_1)
	v_or_b32_e32 v30, v10, v98
.LBB2_754:                              ;   in Loop: Header=BB2_128 Depth=2
	s_or_b32 exec_lo, exec_lo, s43
                                        ; implicit-def: $vgpr98
.LBB2_755:                              ;   in Loop: Header=BB2_128 Depth=2
	s_and_not1_saveexec_b32 s11, s42
; %bb.756:                              ;   in Loop: Header=BB2_128 Depth=2
	v_or_b32_e32 v30, 0x7e, v98
; %bb.757:                              ;   in Loop: Header=BB2_128 Depth=2
	s_or_b32 exec_lo, exec_lo, s11
                                        ; implicit-def: $vgpr11
.LBB2_758:                              ;   in Loop: Header=BB2_128 Depth=2
	s_and_not1_saveexec_b32 s11, s12
; %bb.759:                              ;   in Loop: Header=BB2_128 Depth=2
	v_or_b32_e32 v30, 0x7f, v11
; %bb.760:                              ;   in Loop: Header=BB2_128 Depth=2
	s_or_b32 exec_lo, exec_lo, s11
	v_lshl_or_b32 v98, v46, 8, v43
	v_dual_lshlrev_b32 v10, 16, v57 :: v_dual_lshlrev_b32 v11, 24, v58
	s_mov_b32 s11, exec_lo
	s_delay_alu instid0(VALU_DEP_1)
	v_or3_b32 v34, v10, v11, v98
	v_mov_b32_e32 v10, 0
	v_cmpx_ne_u32_e32 0, v43
	s_cbranch_execz .LBB2_766
; %bb.761:                              ;   in Loop: Header=BB2_128 Depth=2
	v_bfrev_b32_e32 v10, 1
	s_mov_b32 s12, exec_lo
	v_cmpx_ne_u32_e32 0x80, v43
	s_cbranch_execz .LBB2_765
; %bb.762:                              ;   in Loop: Header=BB2_128 Depth=2
	v_and_b32_e32 v11, 0x7f, v43
	v_mov_b32_e32 v10, 0x7f800001
	s_mov_b32 s42, exec_lo
	s_delay_alu instid0(VALU_DEP_2)
	v_cmpx_ne_u32_e32 0x7f, v11
	s_cbranch_execz .LBB2_764
; %bb.763:                              ;   in Loop: Header=BB2_128 Depth=2
	v_and_b32_e32 v10, 7, v43
	v_cmp_gt_u32_e32 vcc_lo, 8, v11
	s_delay_alu instid0(VALU_DEP_2) | instskip(NEXT) | instid1(VALU_DEP_1)
	v_clz_i32_u32_e32 v10, v10
	v_min_u32_e32 v10, 32, v10
	v_lshrrev_b32_e32 v96, 3, v11
	s_delay_alu instid0(VALU_DEP_2) | instskip(SKIP_1) | instid1(VALU_DEP_1)
	v_subrev_nc_u32_e32 v97, 28, v10
	v_sub_nc_u32_e32 v10, 29, v10
	v_dual_cndmask_b32 v96, v96, v10, vcc_lo :: v_dual_cndmask_b32 v10, 0, v97, vcc_lo
	s_delay_alu instid0(VALU_DEP_1) | instskip(NEXT) | instid1(VALU_DEP_2)
	v_lshl_add_u32 v96, v96, 23, 0x3c000000
	v_lshlrev_b64_e32 v[10:11], v10, v[34:35]
	v_lshlrev_b32_e32 v11, 24, v34
	s_delay_alu instid0(VALU_DEP_1) | instskip(NEXT) | instid1(VALU_DEP_3)
	v_and_b32_e32 v11, 0x80000000, v11
	v_lshlrev_b32_e32 v10, 20, v10
	s_delay_alu instid0(VALU_DEP_1) | instskip(NEXT) | instid1(VALU_DEP_1)
	v_and_b32_e32 v10, 0x700000, v10
	v_or3_b32 v10, v10, v11, v96
.LBB2_764:                              ;   in Loop: Header=BB2_128 Depth=2
	s_or_b32 exec_lo, exec_lo, s42
.LBB2_765:                              ;   in Loop: Header=BB2_128 Depth=2
	s_delay_alu instid0(SALU_CYCLE_1)
	s_or_b32 exec_lo, exec_lo, s12
.LBB2_766:                              ;   in Loop: Header=BB2_128 Depth=2
	s_delay_alu instid0(SALU_CYCLE_1) | instskip(SKIP_3) | instid1(VALU_DEP_1)
	s_or_b32 exec_lo, exec_lo, s11
	v_and_b32_e32 v96, 0xff, v12
	s_mov_b32 s11, 0
	s_mov_b32 s12, exec_lo
	v_cmpx_lt_i16_e32 0x7f, v96
	s_xor_b32 s12, exec_lo, s12
	s_cbranch_execnz .LBB2_797
; %bb.767:                              ;   in Loop: Header=BB2_128 Depth=2
	s_or_saveexec_b32 s12, s12
	v_bfrev_b32_e32 v11, 1
	s_xor_b32 exec_lo, exec_lo, s12
	s_cbranch_execnz .LBB2_800
.LBB2_768:                              ;   in Loop: Header=BB2_128 Depth=2
	s_or_b32 exec_lo, exec_lo, s12
	s_and_saveexec_b32 s12, s11
	s_cbranch_execz .LBB2_770
.LBB2_769:                              ;   in Loop: Header=BB2_128 Depth=2
	v_and_b32_e32 v99, 0x7f, v12
	v_bfe_u32 v96, v12, 3, 4
	s_delay_alu instid0(VALU_DEP_2) | instskip(SKIP_1) | instid1(VALU_DEP_1)
	v_cmp_gt_u32_e32 vcc_lo, 8, v99
	v_and_b32_e32 v11, 7, v12
	v_clz_i32_u32_e32 v11, v11
	s_delay_alu instid0(VALU_DEP_1) | instskip(NEXT) | instid1(VALU_DEP_1)
	v_min_u32_e32 v11, 32, v11
	v_subrev_nc_u32_e32 v97, 28, v11
	v_sub_nc_u32_e32 v11, 29, v11
	s_delay_alu instid0(VALU_DEP_1) | instskip(SKIP_1) | instid1(VALU_DEP_2)
	v_dual_cndmask_b32 v11, v96, v11 :: v_dual_cndmask_b32 v96, 0, v97
	v_cmp_ne_u32_e32 vcc_lo, 0x7f, v99
	v_lshlrev_b64_e32 v[96:97], v96, v[12:13]
	v_lshlrev_b32_e32 v97, 24, v12
	s_delay_alu instid0(VALU_DEP_1) | instskip(NEXT) | instid1(VALU_DEP_3)
	v_and_b32_e32 v97, 0x80000000, v97
	v_lshlrev_b32_e32 v96, 20, v96
	v_lshl_add_u32 v11, v11, 23, 0x3c000000
	s_delay_alu instid0(VALU_DEP_2) | instskip(NEXT) | instid1(VALU_DEP_1)
	v_and_b32_e32 v96, 0x700000, v96
	v_or3_b32 v11, v96, v97, v11
	s_delay_alu instid0(VALU_DEP_1)
	v_cndmask_b32_e32 v11, 0x7f800001, v11, vcc_lo
.LBB2_770:                              ;   in Loop: Header=BB2_128 Depth=2
	s_or_b32 exec_lo, exec_lo, s12
	s_delay_alu instid0(VALU_DEP_1) | instskip(SKIP_1) | instid1(VALU_DEP_1)
	v_dual_add_f32 v10, v10, v11 :: v_dual_mov_b32 v97, v35
                                        ; implicit-def: $vgpr43
	s_mov_b32 s11, exec_lo
	v_and_b32_e32 v96, 0x7f800000, v10
	v_lshrrev_b32_e32 v11, 24, v10
	s_delay_alu instid0(VALU_DEP_2)
	v_cmpx_ne_u64_e32 0x7f800000, v[96:97]
	s_xor_b32 s12, exec_lo, s11
	s_cbranch_execz .LBB2_784
; %bb.771:                              ;   in Loop: Header=BB2_128 Depth=2
	v_and_b32_e32 v96, 0x7fffffff, v10
	v_mov_b32_e32 v97, v35
	v_and_b32_e32 v99, 0x80, v11
                                        ; implicit-def: $vgpr43
	s_mov_b32 s11, exec_lo
	s_delay_alu instid0(VALU_DEP_2)
	v_cmpx_gt_u64_e32 0x43e00001, v[96:97]
	s_xor_b32 s42, exec_lo, s11
	s_cbranch_execz .LBB2_781
; %bb.772:                              ;   in Loop: Header=BB2_128 Depth=2
	v_mov_b32_e32 v43, 0
	s_mov_b32 s43, exec_lo
	v_cmpx_ne_u32_e32 0, v10
	s_cbranch_execz .LBB2_780
; %bb.773:                              ;   in Loop: Header=BB2_128 Depth=2
	v_bfe_u32 v43, v10, 23, 8
	v_and_b32_e32 v96, 0x7fffff, v10
	s_mov_b32 s44, exec_lo
	s_delay_alu instid0(VALU_DEP_2) | instskip(NEXT) | instid1(VALU_DEP_2)
	v_cmp_gt_u32_e32 vcc_lo, 0x7a, v43
	v_or_b32_e32 v97, 0x800000, v96
	v_sub_nc_u32_e32 v11, 0x79, v43
	s_delay_alu instid0(VALU_DEP_1) | instskip(SKIP_1) | instid1(VALU_DEP_2)
	v_cndmask_b32_e32 v11, 0, v11, vcc_lo
	v_cmp_eq_u32_e32 vcc_lo, 0, v43
	v_cndmask_b32_e64 v46, v11, 0x78, vcc_lo
	v_dual_cndmask_b32 v96, v97, v96 :: v_dual_mov_b32 v97, v35
	s_delay_alu instid0(VALU_DEP_2) | instskip(NEXT) | instid1(VALU_DEP_1)
	v_dual_add_nc_u32 v57, 19, v46 :: v_dual_add_nc_u32 v10, 20, v46
	v_lshlrev_b64_e64 v[60:61], v57, 1
	s_delay_alu instid0(VALU_DEP_2) | instskip(NEXT) | instid1(VALU_DEP_1)
	v_lshlrev_b64_e64 v[10:11], v10, -1
	v_bfi_b32 v63, v11, 0, 0
	s_delay_alu instid0(VALU_DEP_2) | instskip(SKIP_1) | instid1(VALU_DEP_1)
	v_bfi_b32 v62, v10, 0, v96
	v_lshrrev_b64 v[10:11], v46, v[96:97]
	v_mov_b64_e32 v[96:97], v[10:11]
	s_delay_alu instid0(VALU_DEP_3)
	v_cmpx_eq_u64_e64 v[62:63], v[60:61]
; %bb.774:                              ;   in Loop: Header=BB2_128 Depth=2
	v_bfe_u32 v96, v10, 20, 1
	v_mov_b32_e32 v97, v35
	s_delay_alu instid0(VALU_DEP_1) | instskip(NEXT) | instid1(VALU_DEP_1)
	v_add_nc_u64_e32 v[96:97], v[10:11], v[96:97]
	v_add_nc_u64_e32 v[96:97], -1, v[96:97]
; %bb.775:                              ;   in Loop: Header=BB2_128 Depth=2
	s_or_b32 exec_lo, exec_lo, s44
	v_add_nc_u32_e32 v11, 0xffffff81, v43
	v_lshrrev_b32_e32 v97, 23, v10
	s_mov_b32 s11, exec_lo
	s_delay_alu instid0(VALU_DEP_2) | instskip(NEXT) | instid1(VALU_DEP_1)
	v_cndmask_b32_e64 v11, v11, 0xffffff82, vcc_lo
	v_add3_u32 v97, v46, v11, v97
	v_and_b32_e32 v11, 0xfffff, v96
                                        ; implicit-def: $vgpr96
	s_delay_alu instid0(VALU_DEP_1) | instskip(SKIP_1) | instid1(VALU_DEP_2)
	v_dual_add_nc_u32 v43, 6, v97 :: v_dual_add_nc_u32 v10, v11, v10
	v_mov_b32_e32 v11, v35
	v_cmpx_ne_u32_e32 0, v43
	s_xor_b32 s11, exec_lo, s11
; %bb.776:                              ;   in Loop: Header=BB2_128 Depth=2
	s_delay_alu instid0(VALU_DEP_2) | instskip(SKIP_2) | instid1(VALU_DEP_2)
	v_cmp_lt_u64_e32 vcc_lo, 0xffffff, v[10:11]
	v_add_nc_u32_e32 v96, 7, v97
	v_cndmask_b32_e64 v97, 0, 1, vcc_lo
	v_cndmask_b32_e32 v96, v43, v96, vcc_lo
	s_delay_alu instid0(VALU_DEP_2)
	v_lshrrev_b64 v[10:11], v97, v[10:11]
; %bb.777:                              ;   in Loop: Header=BB2_128 Depth=2
	s_and_not1_saveexec_b32 s11, s11
; %bb.778:                              ;   in Loop: Header=BB2_128 Depth=2
	s_delay_alu instid0(VALU_DEP_1)
	v_bfe_u32 v96, v10, 23, 1
; %bb.779:                              ;   in Loop: Header=BB2_128 Depth=2
	s_or_b32 exec_lo, exec_lo, s11
	s_delay_alu instid0(VALU_DEP_2) | instskip(NEXT) | instid1(VALU_DEP_2)
	v_lshrrev_b64 v[10:11], 20, v[10:11]
	v_cmp_gt_i32_e32 vcc_lo, 16, v96
	v_min_i32_e32 v97, 15, v96
	v_cmp_eq_u32_e64 s11, 0, v96
	s_delay_alu instid0(VALU_DEP_2) | instskip(SKIP_1) | instid1(VALU_DEP_2)
	v_dual_cndmask_b32 v11, 0, v11, vcc_lo :: v_dual_lshlrev_b32 v97, 3, v97
	v_cndmask_b32_e32 v10, 7, v10, vcc_lo
	v_and_b32_e32 v97, 0xf8, v97
	s_delay_alu instid0(VALU_DEP_2) | instskip(NEXT) | instid1(VALU_DEP_2)
	v_cmp_eq_u64_e32 vcc_lo, 0, v[10:11]
	v_and_or_b32 v10, v10, 7, v97
	s_and_b32 s11, s11, vcc_lo
	s_delay_alu instid0(VALU_DEP_1) | instid1(SALU_CYCLE_1)
	v_cndmask_b32_e64 v10, v10, 0, s11
	s_delay_alu instid0(VALU_DEP_1)
	v_or_b32_e32 v43, v10, v99
.LBB2_780:                              ;   in Loop: Header=BB2_128 Depth=2
	s_or_b32 exec_lo, exec_lo, s43
                                        ; implicit-def: $vgpr99
.LBB2_781:                              ;   in Loop: Header=BB2_128 Depth=2
	s_and_not1_saveexec_b32 s11, s42
; %bb.782:                              ;   in Loop: Header=BB2_128 Depth=2
	v_or_b32_e32 v43, 0x7e, v99
; %bb.783:                              ;   in Loop: Header=BB2_128 Depth=2
	s_or_b32 exec_lo, exec_lo, s11
                                        ; implicit-def: $vgpr11
.LBB2_784:                              ;   in Loop: Header=BB2_128 Depth=2
	s_and_not1_saveexec_b32 s11, s12
; %bb.785:                              ;   in Loop: Header=BB2_128 Depth=2
	v_or_b32_e32 v43, 0x7f, v11
; %bb.786:                              ;   in Loop: Header=BB2_128 Depth=2
	s_or_b32 exec_lo, exec_lo, s11
	v_lshrrev_b16 v10, 8, v98
	v_mov_b32_e32 v11, 0
	s_mov_b32 s11, exec_lo
	s_delay_alu instid0(VALU_DEP_2)
	v_cmpx_ne_u16_e32 0, v10
	s_cbranch_execz .LBB2_794
; %bb.787:                              ;   in Loop: Header=BB2_128 Depth=2
	v_bfrev_b32_e32 v11, 1
	s_mov_b32 s12, exec_lo
	v_cmpx_ne_u16_e32 0x80, v10
	s_cbranch_execz .LBB2_793
; %bb.788:                              ;   in Loop: Header=BB2_128 Depth=2
	v_and_b32_e32 v10, 0xffff, v10
	v_mov_b32_e32 v11, 0x7f800001
	s_mov_b32 s42, exec_lo
	s_delay_alu instid0(VALU_DEP_2) | instskip(NEXT) | instid1(VALU_DEP_1)
	v_and_b32_e32 v97, 0x7f, v10
	v_cmpx_ne_u32_e32 0x7f, v97
	s_cbranch_execz .LBB2_792
; %bb.789:                              ;   in Loop: Header=BB2_128 Depth=2
	v_dual_mov_b32 v11, v35 :: v_dual_bitop2_b32 v10, 7, v10 bitop3:0x40
	v_lshrrev_b32_e32 v96, 3, v97
	s_mov_b32 s43, exec_lo
	v_cmpx_gt_u32_e32 8, v97
; %bb.790:                              ;   in Loop: Header=BB2_128 Depth=2
	s_delay_alu instid0(VALU_DEP_3) | instskip(NEXT) | instid1(VALU_DEP_1)
	v_clz_i32_u32_e32 v96, v10
	v_min_u32_e32 v96, 32, v96
	s_delay_alu instid0(VALU_DEP_1) | instskip(NEXT) | instid1(VALU_DEP_1)
	v_subrev_nc_u32_e32 v97, 28, v96
	v_lshlrev_b64_e32 v[10:11], v97, v[10:11]
	s_delay_alu instid0(VALU_DEP_1)
	v_dual_sub_nc_u32 v96, 29, v96 :: v_dual_bitop2_b32 v10, 7, v10 bitop3:0x40
; %bb.791:                              ;   in Loop: Header=BB2_128 Depth=2
	s_or_b32 exec_lo, exec_lo, s43
	v_lshlrev_b32_e32 v11, 16, v98
	s_delay_alu instid0(VALU_DEP_2) | instskip(NEXT) | instid1(VALU_DEP_3)
	v_lshlrev_b32_e32 v10, 20, v10
	v_lshl_add_u32 v96, v96, 23, 0x3c000000
	s_delay_alu instid0(VALU_DEP_3) | instskip(NEXT) | instid1(VALU_DEP_1)
	v_and_b32_e32 v11, 0x80000000, v11
	v_or3_b32 v11, v10, v11, v96
.LBB2_792:                              ;   in Loop: Header=BB2_128 Depth=2
	s_or_b32 exec_lo, exec_lo, s42
.LBB2_793:                              ;   in Loop: Header=BB2_128 Depth=2
	s_delay_alu instid0(SALU_CYCLE_1)
	s_or_b32 exec_lo, exec_lo, s12
.LBB2_794:                              ;   in Loop: Header=BB2_128 Depth=2
	s_delay_alu instid0(SALU_CYCLE_1) | instskip(SKIP_3) | instid1(VALU_DEP_1)
	s_or_b32 exec_lo, exec_lo, s11
	v_lshrrev_b16 v96, 8, v12
	s_mov_b32 s12, 0
	s_mov_b32 s11, exec_lo
	v_cmpx_lt_i16_e32 0x7f, v96
	s_xor_b32 s11, exec_lo, s11
	s_cbranch_execnz .LBB2_801
; %bb.795:                              ;   in Loop: Header=BB2_128 Depth=2
	s_or_saveexec_b32 s11, s11
	v_bfrev_b32_e32 v97, 1
	s_xor_b32 exec_lo, exec_lo, s11
	s_cbranch_execnz .LBB2_804
.LBB2_796:                              ;   in Loop: Header=BB2_128 Depth=2
	s_or_b32 exec_lo, exec_lo, s11
	s_and_saveexec_b32 s11, s12
	s_cbranch_execnz .LBB2_805
	s_branch .LBB2_808
.LBB2_797:                              ;   in Loop: Header=BB2_128 Depth=2
	s_mov_b32 s11, -1
	s_mov_b32 s42, exec_lo
	v_cmpx_eq_u16_e32 0x80, v96
; %bb.798:                              ;   in Loop: Header=BB2_128 Depth=2
	s_xor_b32 s11, exec_lo, -1
; %bb.799:                              ;   in Loop: Header=BB2_128 Depth=2
	s_or_b32 exec_lo, exec_lo, s42
	s_delay_alu instid0(SALU_CYCLE_1)
	s_and_b32 s11, s11, exec_lo
                                        ; implicit-def: $vgpr96
	s_or_saveexec_b32 s12, s12
	v_bfrev_b32_e32 v11, 1
	s_xor_b32 exec_lo, exec_lo, s12
	s_cbranch_execz .LBB2_768
.LBB2_800:                              ;   in Loop: Header=BB2_128 Depth=2
	v_cmp_ne_u16_e32 vcc_lo, 0, v96
	v_mov_b32_e32 v11, 0
	s_and_not1_b32 s11, s11, exec_lo
	s_and_b32 s42, vcc_lo, exec_lo
	s_delay_alu instid0(SALU_CYCLE_1)
	s_or_b32 s11, s11, s42
	s_or_b32 exec_lo, exec_lo, s12
	s_and_saveexec_b32 s12, s11
	s_cbranch_execnz .LBB2_769
	s_branch .LBB2_770
.LBB2_801:                              ;   in Loop: Header=BB2_128 Depth=2
	s_mov_b32 s12, -1
	s_mov_b32 s42, exec_lo
	v_cmpx_eq_u16_e32 0x80, v96
; %bb.802:                              ;   in Loop: Header=BB2_128 Depth=2
	s_xor_b32 s12, exec_lo, -1
; %bb.803:                              ;   in Loop: Header=BB2_128 Depth=2
	s_or_b32 exec_lo, exec_lo, s42
	s_delay_alu instid0(SALU_CYCLE_1)
	s_and_b32 s12, s12, exec_lo
	s_or_saveexec_b32 s11, s11
	v_bfrev_b32_e32 v97, 1
	s_xor_b32 exec_lo, exec_lo, s11
	s_cbranch_execz .LBB2_796
.LBB2_804:                              ;   in Loop: Header=BB2_128 Depth=2
	v_cmp_ne_u16_e32 vcc_lo, 0, v96
	v_mov_b32_e32 v97, 0
	s_and_not1_b32 s12, s12, exec_lo
	s_and_b32 s42, vcc_lo, exec_lo
	s_delay_alu instid0(SALU_CYCLE_1)
	s_or_b32 s12, s12, s42
	s_or_b32 exec_lo, exec_lo, s11
	s_and_saveexec_b32 s11, s12
	s_cbranch_execz .LBB2_808
.LBB2_805:                              ;   in Loop: Header=BB2_128 Depth=2
	v_and_b32_e32 v10, 0xffff, v96
	v_mov_b32_e32 v97, 0x7f800001
	s_mov_b32 s12, exec_lo
	s_delay_alu instid0(VALU_DEP_2) | instskip(NEXT) | instid1(VALU_DEP_1)
	v_and_b32_e32 v98, 0x7f, v10
	v_cmpx_ne_u32_e32 0x7f, v98
	s_cbranch_execz .LBB2_807
; %bb.806:                              ;   in Loop: Header=BB2_128 Depth=2
	v_and_b32_e32 v97, 7, v10
	v_cmp_gt_u32_e32 vcc_lo, 8, v98
	s_delay_alu instid0(VALU_DEP_2) | instskip(NEXT) | instid1(VALU_DEP_1)
	v_clz_i32_u32_e32 v99, v97
	v_min_u32_e32 v99, 32, v99
	s_delay_alu instid0(VALU_DEP_1) | instskip(SKIP_1) | instid1(VALU_DEP_2)
	v_subrev_nc_u32_e32 v46, 28, v99
	v_sub_nc_u32_e32 v99, 29, v99
	v_lshlrev_b64_e32 v[60:61], v46, v[10:11]
	s_delay_alu instid0(VALU_DEP_1) | instskip(NEXT) | instid1(VALU_DEP_1)
	v_dual_lshrrev_b32 v10, 3, v98 :: v_dual_bitop2_b32 v98, 7, v60 bitop3:0x40
	v_dual_lshlrev_b32 v96, 24, v96 :: v_dual_cndmask_b32 v10, v10, v99, vcc_lo
	s_delay_alu instid0(VALU_DEP_2) | instskip(NEXT) | instid1(VALU_DEP_2)
	v_cndmask_b32_e32 v97, v97, v98, vcc_lo
	v_and_b32_e32 v96, 0x80000000, v96
	s_delay_alu instid0(VALU_DEP_3) | instskip(NEXT) | instid1(VALU_DEP_3)
	v_lshl_add_u32 v10, v10, 23, 0x3c000000
	v_lshlrev_b32_e32 v97, 20, v97
	s_delay_alu instid0(VALU_DEP_1)
	v_or3_b32 v97, v97, v96, v10
.LBB2_807:                              ;   in Loop: Header=BB2_128 Depth=2
	s_or_b32 exec_lo, exec_lo, s12
.LBB2_808:                              ;   in Loop: Header=BB2_128 Depth=2
	s_delay_alu instid0(SALU_CYCLE_1) | instskip(NEXT) | instid1(VALU_DEP_1)
	s_or_b32 exec_lo, exec_lo, s11
	v_add_f32_e32 v10, v11, v97
	v_mov_b32_e32 v97, v35
                                        ; implicit-def: $vgpr46
	s_mov_b32 s11, exec_lo
	s_delay_alu instid0(VALU_DEP_2) | instskip(SKIP_1) | instid1(VALU_DEP_2)
	v_and_b32_e32 v96, 0x7f800000, v10
	v_lshrrev_b32_e32 v11, 24, v10
	v_cmpx_ne_u64_e32 0x7f800000, v[96:97]
	s_xor_b32 s12, exec_lo, s11
	s_cbranch_execz .LBB2_822
; %bb.809:                              ;   in Loop: Header=BB2_128 Depth=2
	v_and_b32_e32 v96, 0x7fffffff, v10
	v_mov_b32_e32 v97, v35
	v_and_b32_e32 v98, 0x80, v11
                                        ; implicit-def: $vgpr46
	s_mov_b32 s11, exec_lo
	s_delay_alu instid0(VALU_DEP_2)
	v_cmpx_gt_u64_e32 0x43e00001, v[96:97]
	s_xor_b32 s42, exec_lo, s11
	s_cbranch_execz .LBB2_819
; %bb.810:                              ;   in Loop: Header=BB2_128 Depth=2
	v_mov_b32_e32 v46, 0
	s_mov_b32 s43, exec_lo
	v_cmpx_ne_u32_e32 0, v10
	s_cbranch_execz .LBB2_818
; %bb.811:                              ;   in Loop: Header=BB2_128 Depth=2
	v_bfe_u32 v99, v10, 23, 8
	v_and_b32_e32 v96, 0x7fffff, v10
	s_mov_b32 s44, exec_lo
	s_delay_alu instid0(VALU_DEP_2) | instskip(NEXT) | instid1(VALU_DEP_2)
	v_cmp_gt_u32_e32 vcc_lo, 0x7a, v99
	v_or_b32_e32 v97, 0x800000, v96
	v_sub_nc_u32_e32 v11, 0x79, v99
	s_delay_alu instid0(VALU_DEP_1) | instskip(SKIP_1) | instid1(VALU_DEP_2)
	v_cndmask_b32_e32 v11, 0, v11, vcc_lo
	v_cmp_eq_u32_e32 vcc_lo, 0, v99
	v_cndmask_b32_e64 v46, v11, 0x78, vcc_lo
	v_dual_cndmask_b32 v96, v97, v96 :: v_dual_mov_b32 v97, v35
	s_delay_alu instid0(VALU_DEP_2) | instskip(NEXT) | instid1(VALU_DEP_1)
	v_dual_add_nc_u32 v57, 19, v46 :: v_dual_add_nc_u32 v10, 20, v46
	v_lshlrev_b64_e64 v[60:61], v57, 1
	s_delay_alu instid0(VALU_DEP_2) | instskip(NEXT) | instid1(VALU_DEP_1)
	v_lshlrev_b64_e64 v[10:11], v10, -1
	v_bfi_b32 v63, v11, 0, 0
	s_delay_alu instid0(VALU_DEP_2) | instskip(SKIP_1) | instid1(VALU_DEP_1)
	v_bfi_b32 v62, v10, 0, v96
	v_lshrrev_b64 v[10:11], v46, v[96:97]
	v_mov_b64_e32 v[96:97], v[10:11]
	s_delay_alu instid0(VALU_DEP_3)
	v_cmpx_eq_u64_e64 v[62:63], v[60:61]
; %bb.812:                              ;   in Loop: Header=BB2_128 Depth=2
	v_bfe_u32 v96, v10, 20, 1
	v_mov_b32_e32 v97, v35
	s_delay_alu instid0(VALU_DEP_1) | instskip(NEXT) | instid1(VALU_DEP_1)
	v_add_nc_u64_e32 v[96:97], v[10:11], v[96:97]
	v_add_nc_u64_e32 v[96:97], -1, v[96:97]
; %bb.813:                              ;   in Loop: Header=BB2_128 Depth=2
	s_or_b32 exec_lo, exec_lo, s44
	v_add_nc_u32_e32 v11, 0xffffff81, v99
	v_lshrrev_b32_e32 v97, 23, v10
	s_mov_b32 s11, exec_lo
	s_delay_alu instid0(VALU_DEP_2) | instskip(NEXT) | instid1(VALU_DEP_1)
	v_cndmask_b32_e64 v11, v11, 0xffffff82, vcc_lo
	v_add3_u32 v97, v46, v11, v97
	v_and_b32_e32 v11, 0xfffff, v96
                                        ; implicit-def: $vgpr96
	s_delay_alu instid0(VALU_DEP_1) | instskip(SKIP_1) | instid1(VALU_DEP_2)
	v_dual_add_nc_u32 v99, 6, v97 :: v_dual_add_nc_u32 v10, v11, v10
	v_mov_b32_e32 v11, v35
	v_cmpx_ne_u32_e32 0, v99
	s_xor_b32 s11, exec_lo, s11
; %bb.814:                              ;   in Loop: Header=BB2_128 Depth=2
	s_delay_alu instid0(VALU_DEP_2) | instskip(SKIP_2) | instid1(VALU_DEP_2)
	v_cmp_lt_u64_e32 vcc_lo, 0xffffff, v[10:11]
	v_add_nc_u32_e32 v96, 7, v97
	v_cndmask_b32_e64 v97, 0, 1, vcc_lo
	v_cndmask_b32_e32 v96, v99, v96, vcc_lo
	s_delay_alu instid0(VALU_DEP_2)
	v_lshrrev_b64 v[10:11], v97, v[10:11]
; %bb.815:                              ;   in Loop: Header=BB2_128 Depth=2
	s_and_not1_saveexec_b32 s11, s11
; %bb.816:                              ;   in Loop: Header=BB2_128 Depth=2
	s_delay_alu instid0(VALU_DEP_1)
	v_bfe_u32 v96, v10, 23, 1
; %bb.817:                              ;   in Loop: Header=BB2_128 Depth=2
	s_or_b32 exec_lo, exec_lo, s11
	s_delay_alu instid0(VALU_DEP_2) | instskip(NEXT) | instid1(VALU_DEP_2)
	v_lshrrev_b64 v[10:11], 20, v[10:11]
	v_cmp_gt_i32_e32 vcc_lo, 16, v96
	v_min_i32_e32 v97, 15, v96
	v_cmp_eq_u32_e64 s11, 0, v96
	s_delay_alu instid0(VALU_DEP_2) | instskip(SKIP_1) | instid1(VALU_DEP_2)
	v_dual_cndmask_b32 v11, 0, v11, vcc_lo :: v_dual_lshlrev_b32 v97, 3, v97
	v_cndmask_b32_e32 v10, 7, v10, vcc_lo
	v_and_b32_e32 v97, 0xf8, v97
	s_delay_alu instid0(VALU_DEP_2) | instskip(NEXT) | instid1(VALU_DEP_2)
	v_cmp_eq_u64_e32 vcc_lo, 0, v[10:11]
	v_and_or_b32 v10, v10, 7, v97
	s_and_b32 s11, s11, vcc_lo
	s_delay_alu instid0(VALU_DEP_1) | instid1(SALU_CYCLE_1)
	v_cndmask_b32_e64 v10, v10, 0, s11
	s_delay_alu instid0(VALU_DEP_1)
	v_or_b32_e32 v46, v10, v98
.LBB2_818:                              ;   in Loop: Header=BB2_128 Depth=2
	s_or_b32 exec_lo, exec_lo, s43
                                        ; implicit-def: $vgpr98
.LBB2_819:                              ;   in Loop: Header=BB2_128 Depth=2
	s_and_not1_saveexec_b32 s11, s42
; %bb.820:                              ;   in Loop: Header=BB2_128 Depth=2
	v_or_b32_e32 v46, 0x7e, v98
; %bb.821:                              ;   in Loop: Header=BB2_128 Depth=2
	s_or_b32 exec_lo, exec_lo, s11
                                        ; implicit-def: $vgpr11
.LBB2_822:                              ;   in Loop: Header=BB2_128 Depth=2
	s_and_not1_saveexec_b32 s11, s12
; %bb.823:                              ;   in Loop: Header=BB2_128 Depth=2
	v_or_b32_e32 v46, 0x7f, v11
; %bb.824:                              ;   in Loop: Header=BB2_128 Depth=2
	s_or_b32 exec_lo, exec_lo, s11
	v_dual_mov_b32 v11, 0 :: v_dual_lshrrev_b32 v96, 16, v34
	s_mov_b32 s11, exec_lo
	s_delay_alu instid0(VALU_DEP_1) | instskip(NEXT) | instid1(VALU_DEP_1)
	v_and_b32_e32 v10, 0xff, v96
	v_cmpx_ne_u16_e32 0, v10
	s_cbranch_execz .LBB2_832
; %bb.825:                              ;   in Loop: Header=BB2_128 Depth=2
	v_bfrev_b32_e32 v11, 1
	s_mov_b32 s12, exec_lo
	v_cmpx_ne_u16_e32 0x80, v10
	s_cbranch_execz .LBB2_831
; %bb.826:                              ;   in Loop: Header=BB2_128 Depth=2
	v_bfe_u32 v98, v34, 16, 7
	v_mov_b32_e32 v11, 0x7f800001
	s_mov_b32 s42, exec_lo
	s_delay_alu instid0(VALU_DEP_2)
	v_cmpx_ne_u32_e32 0x7f, v98
	s_cbranch_execz .LBB2_830
; %bb.827:                              ;   in Loop: Header=BB2_128 Depth=2
	v_dual_mov_b32 v11, v35 :: v_dual_bitop2_b32 v10, 7, v96 bitop3:0x40
	v_lshrrev_b32_e32 v97, 3, v98
	s_mov_b32 s43, exec_lo
	v_cmpx_gt_u32_e32 8, v98
; %bb.828:                              ;   in Loop: Header=BB2_128 Depth=2
	s_delay_alu instid0(VALU_DEP_3) | instskip(NEXT) | instid1(VALU_DEP_1)
	v_clz_i32_u32_e32 v97, v10
	v_min_u32_e32 v97, 32, v97
	s_delay_alu instid0(VALU_DEP_1) | instskip(NEXT) | instid1(VALU_DEP_1)
	v_subrev_nc_u32_e32 v98, 28, v97
	v_lshlrev_b64_e32 v[10:11], v98, v[10:11]
	s_delay_alu instid0(VALU_DEP_1)
	v_dual_sub_nc_u32 v97, 29, v97 :: v_dual_bitop2_b32 v10, 7, v10 bitop3:0x40
; %bb.829:                              ;   in Loop: Header=BB2_128 Depth=2
	s_or_b32 exec_lo, exec_lo, s43
	s_delay_alu instid0(VALU_DEP_1) | instskip(NEXT) | instid1(VALU_DEP_2)
	v_dual_lshlrev_b32 v11, 24, v96 :: v_dual_lshlrev_b32 v10, 20, v10
	v_lshl_add_u32 v96, v97, 23, 0x3c000000
	s_delay_alu instid0(VALU_DEP_2) | instskip(NEXT) | instid1(VALU_DEP_1)
	v_and_b32_e32 v11, 0x80000000, v11
	v_or3_b32 v11, v10, v11, v96
.LBB2_830:                              ;   in Loop: Header=BB2_128 Depth=2
	s_or_b32 exec_lo, exec_lo, s42
.LBB2_831:                              ;   in Loop: Header=BB2_128 Depth=2
	s_delay_alu instid0(SALU_CYCLE_1)
	s_or_b32 exec_lo, exec_lo, s12
.LBB2_832:                              ;   in Loop: Header=BB2_128 Depth=2
	s_delay_alu instid0(SALU_CYCLE_1) | instskip(SKIP_3) | instid1(VALU_DEP_1)
	s_or_b32 exec_lo, exec_lo, s11
	v_lshrrev_b32_e32 v10, 16, v12
	s_mov_b32 s12, 0
	s_mov_b32 s11, exec_lo
	v_and_b32_e32 v97, 0xff, v10
	s_delay_alu instid0(VALU_DEP_1)
	v_cmpx_lt_i16_e32 0x7f, v97
	s_xor_b32 s11, exec_lo, s11
	s_cbranch_execnz .LBB2_835
; %bb.833:                              ;   in Loop: Header=BB2_128 Depth=2
	s_or_saveexec_b32 s11, s11
	v_bfrev_b32_e32 v96, 1
	s_xor_b32 exec_lo, exec_lo, s11
	s_cbranch_execnz .LBB2_838
.LBB2_834:                              ;   in Loop: Header=BB2_128 Depth=2
	s_or_b32 exec_lo, exec_lo, s11
	s_and_saveexec_b32 s11, s12
	s_cbranch_execnz .LBB2_839
	s_branch .LBB2_842
.LBB2_835:                              ;   in Loop: Header=BB2_128 Depth=2
	s_mov_b32 s12, -1
	s_mov_b32 s42, exec_lo
	v_cmpx_eq_u16_e32 0x80, v97
; %bb.836:                              ;   in Loop: Header=BB2_128 Depth=2
	s_xor_b32 s12, exec_lo, -1
; %bb.837:                              ;   in Loop: Header=BB2_128 Depth=2
	s_or_b32 exec_lo, exec_lo, s42
	s_delay_alu instid0(SALU_CYCLE_1)
	s_and_b32 s12, s12, exec_lo
                                        ; implicit-def: $vgpr97
	s_or_saveexec_b32 s11, s11
	v_bfrev_b32_e32 v96, 1
	s_xor_b32 exec_lo, exec_lo, s11
	s_cbranch_execz .LBB2_834
.LBB2_838:                              ;   in Loop: Header=BB2_128 Depth=2
	v_cmp_ne_u16_e32 vcc_lo, 0, v97
	v_mov_b32_e32 v96, 0
	s_and_not1_b32 s12, s12, exec_lo
	s_and_b32 s42, vcc_lo, exec_lo
	s_delay_alu instid0(SALU_CYCLE_1)
	s_or_b32 s12, s12, s42
	s_or_b32 exec_lo, exec_lo, s11
	s_and_saveexec_b32 s11, s12
	s_cbranch_execz .LBB2_842
.LBB2_839:                              ;   in Loop: Header=BB2_128 Depth=2
	v_and_b32_e32 v97, 0x7f, v10
	v_mov_b32_e32 v96, 0x7f800001
	s_mov_b32 s12, exec_lo
	s_delay_alu instid0(VALU_DEP_2)
	v_cmpx_ne_u32_e32 0x7f, v97
	s_cbranch_execz .LBB2_841
; %bb.840:                              ;   in Loop: Header=BB2_128 Depth=2
	v_and_b32_e32 v96, 7, v10
	v_cmp_gt_u32_e32 vcc_lo, 8, v97
	s_delay_alu instid0(VALU_DEP_2) | instskip(NEXT) | instid1(VALU_DEP_1)
	v_clz_i32_u32_e32 v98, v96
	v_min_u32_e32 v57, 32, v98
	s_delay_alu instid0(VALU_DEP_1) | instskip(NEXT) | instid1(VALU_DEP_1)
	v_subrev_nc_u32_e32 v98, 28, v57
	v_lshlrev_b64_e32 v[98:99], v98, v[10:11]
	v_lshrrev_b32_e32 v99, 3, v97
	v_dual_sub_nc_u32 v57, 29, v57 :: v_dual_lshlrev_b32 v10, 24, v10
	s_delay_alu instid0(VALU_DEP_1) | instskip(NEXT) | instid1(VALU_DEP_2)
	v_dual_cndmask_b32 v98, v99, v57, vcc_lo :: v_dual_bitop2_b32 v97, 7, v98 bitop3:0x40
	v_and_b32_e32 v10, 0x80000000, v10
	s_delay_alu instid0(VALU_DEP_2) | instskip(NEXT) | instid1(VALU_DEP_3)
	v_cndmask_b32_e32 v96, v96, v97, vcc_lo
	v_lshl_add_u32 v97, v98, 23, 0x3c000000
	s_delay_alu instid0(VALU_DEP_2) | instskip(NEXT) | instid1(VALU_DEP_1)
	v_lshlrev_b32_e32 v96, 20, v96
	v_or3_b32 v96, v96, v10, v97
.LBB2_841:                              ;   in Loop: Header=BB2_128 Depth=2
	s_or_b32 exec_lo, exec_lo, s12
.LBB2_842:                              ;   in Loop: Header=BB2_128 Depth=2
	s_delay_alu instid0(SALU_CYCLE_1) | instskip(NEXT) | instid1(VALU_DEP_1)
	s_or_b32 exec_lo, exec_lo, s11
	v_add_f32_e32 v10, v11, v96
	v_mov_b32_e32 v97, v35
                                        ; implicit-def: $vgpr57
	s_mov_b32 s11, exec_lo
	s_delay_alu instid0(VALU_DEP_2) | instskip(SKIP_1) | instid1(VALU_DEP_2)
	v_and_b32_e32 v96, 0x7f800000, v10
	v_lshrrev_b32_e32 v11, 24, v10
	v_cmpx_ne_u64_e32 0x7f800000, v[96:97]
	s_xor_b32 s12, exec_lo, s11
	s_cbranch_execz .LBB2_856
; %bb.843:                              ;   in Loop: Header=BB2_128 Depth=2
	v_and_b32_e32 v96, 0x7fffffff, v10
	v_mov_b32_e32 v97, v35
	v_and_b32_e32 v98, 0x80, v11
                                        ; implicit-def: $vgpr57
	s_mov_b32 s11, exec_lo
	s_delay_alu instid0(VALU_DEP_2)
	v_cmpx_gt_u64_e32 0x43e00001, v[96:97]
	s_xor_b32 s42, exec_lo, s11
	s_cbranch_execz .LBB2_853
; %bb.844:                              ;   in Loop: Header=BB2_128 Depth=2
	v_mov_b32_e32 v57, 0
	s_mov_b32 s43, exec_lo
	v_cmpx_ne_u32_e32 0, v10
	s_cbranch_execz .LBB2_852
; %bb.845:                              ;   in Loop: Header=BB2_128 Depth=2
	v_bfe_u32 v99, v10, 23, 8
	v_and_b32_e32 v96, 0x7fffff, v10
	s_mov_b32 s44, exec_lo
	s_delay_alu instid0(VALU_DEP_2) | instskip(NEXT) | instid1(VALU_DEP_2)
	v_cmp_gt_u32_e32 vcc_lo, 0x7a, v99
	v_or_b32_e32 v97, 0x800000, v96
	v_sub_nc_u32_e32 v11, 0x79, v99
	s_delay_alu instid0(VALU_DEP_1) | instskip(SKIP_1) | instid1(VALU_DEP_2)
	v_cndmask_b32_e32 v11, 0, v11, vcc_lo
	v_cmp_eq_u32_e32 vcc_lo, 0, v99
	v_cndmask_b32_e64 v57, v11, 0x78, vcc_lo
	v_dual_cndmask_b32 v96, v97, v96 :: v_dual_mov_b32 v97, v35
	s_delay_alu instid0(VALU_DEP_2) | instskip(NEXT) | instid1(VALU_DEP_1)
	v_dual_add_nc_u32 v58, 19, v57 :: v_dual_add_nc_u32 v10, 20, v57
	v_lshlrev_b64_e64 v[60:61], v58, 1
	s_delay_alu instid0(VALU_DEP_2) | instskip(NEXT) | instid1(VALU_DEP_1)
	v_lshlrev_b64_e64 v[10:11], v10, -1
	v_bfi_b32 v63, v11, 0, 0
	s_delay_alu instid0(VALU_DEP_2) | instskip(SKIP_1) | instid1(VALU_DEP_1)
	v_bfi_b32 v62, v10, 0, v96
	v_lshrrev_b64 v[10:11], v57, v[96:97]
	v_mov_b64_e32 v[96:97], v[10:11]
	s_delay_alu instid0(VALU_DEP_3)
	v_cmpx_eq_u64_e64 v[62:63], v[60:61]
; %bb.846:                              ;   in Loop: Header=BB2_128 Depth=2
	v_bfe_u32 v96, v10, 20, 1
	v_mov_b32_e32 v97, v35
	s_delay_alu instid0(VALU_DEP_1) | instskip(NEXT) | instid1(VALU_DEP_1)
	v_add_nc_u64_e32 v[96:97], v[10:11], v[96:97]
	v_add_nc_u64_e32 v[96:97], -1, v[96:97]
; %bb.847:                              ;   in Loop: Header=BB2_128 Depth=2
	s_or_b32 exec_lo, exec_lo, s44
	v_add_nc_u32_e32 v11, 0xffffff81, v99
	v_lshrrev_b32_e32 v97, 23, v10
	s_mov_b32 s11, exec_lo
	s_delay_alu instid0(VALU_DEP_2) | instskip(NEXT) | instid1(VALU_DEP_1)
	v_cndmask_b32_e64 v11, v11, 0xffffff82, vcc_lo
	v_add3_u32 v97, v57, v11, v97
	v_and_b32_e32 v11, 0xfffff, v96
                                        ; implicit-def: $vgpr96
	s_delay_alu instid0(VALU_DEP_1) | instskip(SKIP_1) | instid1(VALU_DEP_2)
	v_dual_add_nc_u32 v99, 6, v97 :: v_dual_add_nc_u32 v10, v11, v10
	v_mov_b32_e32 v11, v35
	v_cmpx_ne_u32_e32 0, v99
	s_xor_b32 s11, exec_lo, s11
; %bb.848:                              ;   in Loop: Header=BB2_128 Depth=2
	s_delay_alu instid0(VALU_DEP_2) | instskip(SKIP_2) | instid1(VALU_DEP_2)
	v_cmp_lt_u64_e32 vcc_lo, 0xffffff, v[10:11]
	v_add_nc_u32_e32 v96, 7, v97
	v_cndmask_b32_e64 v97, 0, 1, vcc_lo
	v_cndmask_b32_e32 v96, v99, v96, vcc_lo
	s_delay_alu instid0(VALU_DEP_2)
	v_lshrrev_b64 v[10:11], v97, v[10:11]
; %bb.849:                              ;   in Loop: Header=BB2_128 Depth=2
	s_and_not1_saveexec_b32 s11, s11
; %bb.850:                              ;   in Loop: Header=BB2_128 Depth=2
	s_delay_alu instid0(VALU_DEP_1)
	v_bfe_u32 v96, v10, 23, 1
; %bb.851:                              ;   in Loop: Header=BB2_128 Depth=2
	s_or_b32 exec_lo, exec_lo, s11
	s_delay_alu instid0(VALU_DEP_2) | instskip(NEXT) | instid1(VALU_DEP_2)
	v_lshrrev_b64 v[10:11], 20, v[10:11]
	v_cmp_gt_i32_e32 vcc_lo, 16, v96
	v_min_i32_e32 v97, 15, v96
	v_cmp_eq_u32_e64 s11, 0, v96
	s_delay_alu instid0(VALU_DEP_2) | instskip(SKIP_1) | instid1(VALU_DEP_2)
	v_dual_cndmask_b32 v11, 0, v11, vcc_lo :: v_dual_lshlrev_b32 v97, 3, v97
	v_cndmask_b32_e32 v10, 7, v10, vcc_lo
	v_and_b32_e32 v97, 0xf8, v97
	s_delay_alu instid0(VALU_DEP_2) | instskip(NEXT) | instid1(VALU_DEP_2)
	v_cmp_eq_u64_e32 vcc_lo, 0, v[10:11]
	v_and_or_b32 v10, v10, 7, v97
	s_and_b32 s11, s11, vcc_lo
	s_delay_alu instid0(VALU_DEP_1) | instid1(SALU_CYCLE_1)
	v_cndmask_b32_e64 v10, v10, 0, s11
	s_delay_alu instid0(VALU_DEP_1)
	v_or_b32_e32 v57, v10, v98
.LBB2_852:                              ;   in Loop: Header=BB2_128 Depth=2
	s_or_b32 exec_lo, exec_lo, s43
                                        ; implicit-def: $vgpr98
.LBB2_853:                              ;   in Loop: Header=BB2_128 Depth=2
	s_and_not1_saveexec_b32 s11, s42
; %bb.854:                              ;   in Loop: Header=BB2_128 Depth=2
	v_or_b32_e32 v57, 0x7e, v98
; %bb.855:                              ;   in Loop: Header=BB2_128 Depth=2
	s_or_b32 exec_lo, exec_lo, s11
                                        ; implicit-def: $vgpr11
.LBB2_856:                              ;   in Loop: Header=BB2_128 Depth=2
	s_and_not1_saveexec_b32 s11, s12
; %bb.857:                              ;   in Loop: Header=BB2_128 Depth=2
	v_or_b32_e32 v57, 0x7f, v11
; %bb.858:                              ;   in Loop: Header=BB2_128 Depth=2
	s_or_b32 exec_lo, exec_lo, s11
	v_mov_b32_e32 v11, 0
	s_mov_b32 s11, exec_lo
	v_cmpx_lt_u32_e32 0xffffff, v34
	s_cbranch_execz .LBB2_866
; %bb.859:                              ;   in Loop: Header=BB2_128 Depth=2
	v_lshrrev_b32_e32 v10, 24, v34
	v_bfrev_b32_e32 v11, 1
	s_mov_b32 s12, exec_lo
	s_delay_alu instid0(VALU_DEP_2)
	v_cmpx_ne_u32_e32 0x80, v10
	s_cbranch_execz .LBB2_865
; %bb.860:                              ;   in Loop: Header=BB2_128 Depth=2
	v_bfe_u32 v96, v34, 24, 7
	v_mov_b32_e32 v11, 0x7f800001
	s_mov_b32 s42, exec_lo
	s_delay_alu instid0(VALU_DEP_2)
	v_cmpx_ne_u32_e32 0x7f, v96
	s_cbranch_execz .LBB2_864
; %bb.861:                              ;   in Loop: Header=BB2_128 Depth=2
	v_dual_lshrrev_b32 v11, 3, v96 :: v_dual_bitop2_b32 v34, 7, v10 bitop3:0x40
	s_mov_b32 s43, exec_lo
	v_cmpx_gt_u32_e32 8, v96
; %bb.862:                              ;   in Loop: Header=BB2_128 Depth=2
	s_delay_alu instid0(VALU_DEP_2) | instskip(NEXT) | instid1(VALU_DEP_1)
	v_clz_i32_u32_e32 v11, v34
	v_min_u32_e32 v11, 32, v11
	s_delay_alu instid0(VALU_DEP_1) | instskip(NEXT) | instid1(VALU_DEP_1)
	v_subrev_nc_u32_e32 v96, 28, v11
	v_lshlrev_b64_e32 v[96:97], v96, v[34:35]
	s_delay_alu instid0(VALU_DEP_1)
	v_dual_sub_nc_u32 v11, 29, v11 :: v_dual_bitop2_b32 v34, 7, v96 bitop3:0x40
; %bb.863:                              ;   in Loop: Header=BB2_128 Depth=2
	s_or_b32 exec_lo, exec_lo, s43
	v_lshlrev_b32_e32 v10, 24, v10
	s_delay_alu instid0(VALU_DEP_2) | instskip(NEXT) | instid1(VALU_DEP_3)
	v_lshlrev_b32_e32 v34, 20, v34
	v_lshl_add_u32 v11, v11, 23, 0x3c000000
	s_delay_alu instid0(VALU_DEP_3) | instskip(NEXT) | instid1(VALU_DEP_1)
	v_and_b32_e32 v10, 0x80000000, v10
	v_or3_b32 v11, v34, v10, v11
.LBB2_864:                              ;   in Loop: Header=BB2_128 Depth=2
	s_or_b32 exec_lo, exec_lo, s42
.LBB2_865:                              ;   in Loop: Header=BB2_128 Depth=2
	s_delay_alu instid0(SALU_CYCLE_1)
	s_or_b32 exec_lo, exec_lo, s12
.LBB2_866:                              ;   in Loop: Header=BB2_128 Depth=2
	s_delay_alu instid0(SALU_CYCLE_1) | instskip(SKIP_3) | instid1(VALU_DEP_3)
	s_or_b32 exec_lo, exec_lo, s11
	v_lshrrev_b32_e32 v10, 24, v12
	v_bfe_u32 v34, v12, 24, 7
	v_cmp_gt_u32_e64 s12, 0x1000000, v12
	v_cmp_eq_u32_e32 vcc_lo, 0x80, v10
	s_delay_alu instid0(VALU_DEP_3) | instskip(SKIP_2) | instid1(VALU_DEP_1)
	v_cmp_eq_u32_e64 s11, 0x7f, v34
	v_cndmask_b32_e32 v96, 0x7f800001, v116, vcc_lo
	s_or_b32 s11, vcc_lo, s11
	v_cndmask_b32_e64 v96, v96, 0, s12
	s_nor_b32 s12, s12, s11
	s_delay_alu instid0(SALU_CYCLE_1)
	s_and_saveexec_b32 s11, s12
	s_cbranch_execz .LBB2_868
; %bb.867:                              ;   in Loop: Header=BB2_128 Depth=2
	v_and_b32_e32 v98, 7, v10
	v_cmp_gt_u32_e32 vcc_lo, 8, v34
	s_delay_alu instid0(VALU_DEP_2) | instskip(NEXT) | instid1(VALU_DEP_1)
	v_clz_i32_u32_e32 v96, v98
	v_min_u32_e32 v99, 32, v96
	s_delay_alu instid0(VALU_DEP_1) | instskip(SKIP_1) | instid1(VALU_DEP_2)
	v_subrev_nc_u32_e32 v96, 28, v99
	v_sub_nc_u32_e32 v99, 29, v99
	v_lshlrev_b64_e32 v[96:97], v96, v[10:11]
	v_lshrrev_b32_e32 v97, 3, v34
	s_delay_alu instid0(VALU_DEP_2) | instskip(NEXT) | instid1(VALU_DEP_2)
	v_dual_lshlrev_b32 v10, 24, v10 :: v_dual_bitop2_b32 v34, 7, v96 bitop3:0x40
	v_cndmask_b32_e32 v96, v97, v99, vcc_lo
	s_delay_alu instid0(VALU_DEP_2) | instskip(NEXT) | instid1(VALU_DEP_3)
	v_and_b32_e32 v10, 0x80000000, v10
	v_cndmask_b32_e32 v34, v98, v34, vcc_lo
	s_delay_alu instid0(VALU_DEP_3) | instskip(NEXT) | instid1(VALU_DEP_2)
	v_lshl_add_u32 v96, v96, 23, 0x3c000000
	v_lshlrev_b32_e32 v34, 20, v34
	s_delay_alu instid0(VALU_DEP_1)
	v_or3_b32 v96, v34, v10, v96
.LBB2_868:                              ;   in Loop: Header=BB2_128 Depth=2
	s_or_b32 exec_lo, exec_lo, s11
	s_delay_alu instid0(VALU_DEP_1) | instskip(SKIP_1) | instid1(VALU_DEP_1)
	v_add_f32_e32 v10, v11, v96
                                        ; implicit-def: $vgpr58
	s_mov_b32 s11, exec_lo
	v_and_b32_e32 v34, 0x7f800000, v10
	v_lshrrev_b32_e32 v11, 24, v10
	s_delay_alu instid0(VALU_DEP_2)
	v_cmpx_ne_u64_e32 0x7f800000, v[34:35]
	s_xor_b32 s12, exec_lo, s11
	s_cbranch_execz .LBB2_882
; %bb.869:                              ;   in Loop: Header=BB2_128 Depth=2
	v_and_b32_e32 v34, 0x7fffffff, v10
	v_and_b32_e32 v98, 0x80, v11
                                        ; implicit-def: $vgpr58
	s_mov_b32 s11, exec_lo
	s_delay_alu instid0(VALU_DEP_2)
	v_cmpx_gt_u64_e32 0x43e00001, v[34:35]
	s_xor_b32 s42, exec_lo, s11
	s_cbranch_execz .LBB2_879
; %bb.870:                              ;   in Loop: Header=BB2_128 Depth=2
	v_mov_b32_e32 v58, 0
	s_mov_b32 s43, exec_lo
	v_cmpx_ne_u32_e32 0, v10
	s_cbranch_execz .LBB2_878
; %bb.871:                              ;   in Loop: Header=BB2_128 Depth=2
	v_bfe_u32 v99, v10, 23, 8
	v_and_b32_e32 v34, 0x7fffff, v10
	s_delay_alu instid0(VALU_DEP_2) | instskip(NEXT) | instid1(VALU_DEP_2)
	v_cmp_gt_u32_e32 vcc_lo, 0x7a, v99
	v_or_b32_e32 v96, 0x800000, v34
	v_sub_nc_u32_e32 v11, 0x79, v99
	s_delay_alu instid0(VALU_DEP_1) | instskip(SKIP_1) | instid1(VALU_DEP_2)
	v_cndmask_b32_e32 v11, 0, v11, vcc_lo
	v_cmp_eq_u32_e32 vcc_lo, 0, v99
	v_cndmask_b32_e64 v58, v11, 0x78, vcc_lo
	v_cndmask_b32_e32 v34, v96, v34, vcc_lo
	s_delay_alu instid0(VALU_DEP_2) | instskip(NEXT) | instid1(VALU_DEP_1)
	v_dual_add_nc_u32 v10, 20, v58 :: v_dual_add_nc_u32 v97, 19, v58
	v_lshlrev_b64_e64 v[10:11], v10, -1
	s_delay_alu instid0(VALU_DEP_2) | instskip(NEXT) | instid1(VALU_DEP_2)
	v_lshlrev_b64_e64 v[96:97], v97, 1
	v_bfi_b32 v61, v11, 0, 0
	s_delay_alu instid0(VALU_DEP_3) | instskip(SKIP_1) | instid1(VALU_DEP_2)
	v_bfi_b32 v60, v10, 0, v34
	v_lshrrev_b64 v[10:11], v58, v[34:35]
	v_cmp_eq_u64_e64 s11, v[60:61], v[96:97]
	s_delay_alu instid0(VALU_DEP_2)
	v_mov_b64_e32 v[96:97], v[10:11]
	s_and_saveexec_b32 s44, s11
; %bb.872:                              ;   in Loop: Header=BB2_128 Depth=2
	v_bfe_u32 v34, v10, 20, 1
	s_delay_alu instid0(VALU_DEP_1) | instskip(NEXT) | instid1(VALU_DEP_1)
	v_add_nc_u64_e32 v[96:97], v[10:11], v[34:35]
	v_add_nc_u64_e32 v[96:97], -1, v[96:97]
; %bb.873:                              ;   in Loop: Header=BB2_128 Depth=2
	s_or_b32 exec_lo, exec_lo, s44
	v_add_nc_u32_e32 v11, 0xffffff81, v99
	v_lshrrev_b32_e32 v34, 23, v10
	s_mov_b32 s11, exec_lo
	s_delay_alu instid0(VALU_DEP_2) | instskip(NEXT) | instid1(VALU_DEP_1)
	v_cndmask_b32_e64 v11, v11, 0xffffff82, vcc_lo
	v_add3_u32 v97, v58, v11, v34
	v_and_b32_e32 v11, 0xfffff, v96
                                        ; implicit-def: $vgpr96
	s_delay_alu instid0(VALU_DEP_1) | instskip(NEXT) | instid1(VALU_DEP_1)
	v_dual_add_nc_u32 v99, 6, v97 :: v_dual_add_nc_u32 v34, v11, v10
                                        ; implicit-def: $vgpr10_vgpr11
	v_cmpx_ne_u32_e32 0, v99
	s_xor_b32 s11, exec_lo, s11
; %bb.874:                              ;   in Loop: Header=BB2_128 Depth=2
	s_delay_alu instid0(VALU_DEP_2) | instskip(SKIP_1) | instid1(VALU_DEP_1)
	v_cmp_lt_u64_e32 vcc_lo, 0xffffff, v[34:35]
	v_add_nc_u32_e32 v10, 7, v97
	v_cndmask_b32_e32 v96, v99, v10, vcc_lo
	v_cndmask_b32_e64 v10, 0, 1, vcc_lo
	s_delay_alu instid0(VALU_DEP_1)
	v_lshrrev_b64 v[10:11], v10, v[34:35]
; %bb.875:                              ;   in Loop: Header=BB2_128 Depth=2
	s_and_not1_saveexec_b32 s11, s11
; %bb.876:                              ;   in Loop: Header=BB2_128 Depth=2
	v_mov_b64_e32 v[10:11], v[34:35]
	v_bfe_u32 v96, v34, 23, 1
; %bb.877:                              ;   in Loop: Header=BB2_128 Depth=2
	s_or_b32 exec_lo, exec_lo, s11
	s_delay_alu instid0(VALU_DEP_2) | instskip(NEXT) | instid1(VALU_DEP_2)
	v_lshrrev_b64 v[10:11], 20, v[10:11]
	v_cmp_gt_i32_e32 vcc_lo, 16, v96
	v_min_i32_e32 v34, 15, v96
	v_cmp_eq_u32_e64 s11, 0, v96
	s_delay_alu instid0(VALU_DEP_2) | instskip(SKIP_1) | instid1(VALU_DEP_2)
	v_dual_cndmask_b32 v11, 0, v11 :: v_dual_lshlrev_b32 v34, 3, v34
	v_cndmask_b32_e32 v10, 7, v10, vcc_lo
	v_and_b32_e32 v34, 0xf8, v34
	s_delay_alu instid0(VALU_DEP_2) | instskip(NEXT) | instid1(VALU_DEP_2)
	v_cmp_eq_u64_e32 vcc_lo, 0, v[10:11]
	v_and_or_b32 v10, v10, 7, v34
	s_and_b32 s11, s11, vcc_lo
	s_delay_alu instid0(VALU_DEP_1) | instid1(SALU_CYCLE_1)
	v_cndmask_b32_e64 v10, v10, 0, s11
	s_delay_alu instid0(VALU_DEP_1)
	v_or_b32_e32 v58, v10, v98
.LBB2_878:                              ;   in Loop: Header=BB2_128 Depth=2
	s_or_b32 exec_lo, exec_lo, s43
                                        ; implicit-def: $vgpr98
.LBB2_879:                              ;   in Loop: Header=BB2_128 Depth=2
	s_and_not1_saveexec_b32 s11, s42
; %bb.880:                              ;   in Loop: Header=BB2_128 Depth=2
	v_or_b32_e32 v58, 0x7e, v98
; %bb.881:                              ;   in Loop: Header=BB2_128 Depth=2
	s_or_b32 exec_lo, exec_lo, s11
                                        ; implicit-def: $vgpr11
.LBB2_882:                              ;   in Loop: Header=BB2_128 Depth=2
	s_and_not1_saveexec_b32 s11, s12
; %bb.883:                              ;   in Loop: Header=BB2_128 Depth=2
	v_or_b32_e32 v58, 0x7f, v11
; %bb.884:                              ;   in Loop: Header=BB2_128 Depth=2
	s_or_b32 exec_lo, exec_lo, s11
	v_dual_lshlrev_b32 v10, 24, v56 :: v_dual_lshlrev_b32 v11, 16, v45
	v_lshl_or_b32 v42, v42, 8, v40
	v_mov_b32_e32 v96, 0
	s_mov_b32 s11, exec_lo
	s_delay_alu instid0(VALU_DEP_2)
	v_or3_b32 v34, v11, v10, v42
	v_cmpx_ne_u32_e32 0, v40
	s_cbranch_execz .LBB2_890
; %bb.885:                              ;   in Loop: Header=BB2_128 Depth=2
	v_bfrev_b32_e32 v96, 1
	s_mov_b32 s12, exec_lo
	v_cmpx_ne_u32_e32 0x80, v40
	s_cbranch_execz .LBB2_889
; %bb.886:                              ;   in Loop: Header=BB2_128 Depth=2
	v_and_b32_e32 v10, 0x7f, v40
	v_mov_b32_e32 v96, 0x7f800001
	s_mov_b32 s42, exec_lo
	s_delay_alu instid0(VALU_DEP_2)
	v_cmpx_ne_u32_e32 0x7f, v10
	s_cbranch_execz .LBB2_888
; %bb.887:                              ;   in Loop: Header=BB2_128 Depth=2
	v_dual_lshrrev_b32 v96, 3, v10 :: v_dual_bitop2_b32 v11, 7, v40 bitop3:0x40
	v_cmp_gt_u32_e32 vcc_lo, 8, v10
	s_delay_alu instid0(VALU_DEP_2) | instskip(NEXT) | instid1(VALU_DEP_1)
	v_clz_i32_u32_e32 v11, v11
	v_min_u32_e32 v11, 32, v11
	s_delay_alu instid0(VALU_DEP_1) | instskip(NEXT) | instid1(VALU_DEP_1)
	v_subrev_nc_u32_e32 v97, 28, v11
	v_dual_cndmask_b32 v10, 0, v97 :: v_dual_sub_nc_u32 v11, 29, v11
	s_delay_alu instid0(VALU_DEP_1) | instskip(NEXT) | instid1(VALU_DEP_2)
	v_cndmask_b32_e32 v96, v96, v11, vcc_lo
	v_lshlrev_b64_e32 v[10:11], v10, v[34:35]
	v_lshlrev_b32_e32 v11, 24, v34
	s_delay_alu instid0(VALU_DEP_3) | instskip(NEXT) | instid1(VALU_DEP_2)
	v_lshl_add_u32 v96, v96, 23, 0x3c000000
	v_and_b32_e32 v11, 0x80000000, v11
	s_delay_alu instid0(VALU_DEP_4) | instskip(NEXT) | instid1(VALU_DEP_1)
	v_lshlrev_b32_e32 v10, 20, v10
	v_and_b32_e32 v10, 0x700000, v10
	s_delay_alu instid0(VALU_DEP_1)
	v_or3_b32 v96, v10, v11, v96
.LBB2_888:                              ;   in Loop: Header=BB2_128 Depth=2
	s_or_b32 exec_lo, exec_lo, s42
.LBB2_889:                              ;   in Loop: Header=BB2_128 Depth=2
	s_delay_alu instid0(SALU_CYCLE_1)
	s_or_b32 exec_lo, exec_lo, s12
.LBB2_890:                              ;   in Loop: Header=BB2_128 Depth=2
	s_delay_alu instid0(SALU_CYCLE_1) | instskip(SKIP_4) | instid1(VALU_DEP_2)
	s_or_b32 exec_lo, exec_lo, s11
	v_and_b32_e32 v11, 0xff, v13
	v_mov_b32_e32 v10, v13
	s_mov_b32 s11, 0
	s_mov_b32 s12, exec_lo
	v_cmpx_lt_i16_e32 0x7f, v11
	s_xor_b32 s12, exec_lo, s12
	s_cbranch_execnz .LBB2_921
; %bb.891:                              ;   in Loop: Header=BB2_128 Depth=2
	s_or_saveexec_b32 s12, s12
	v_bfrev_b32_e32 v97, 1
	s_xor_b32 exec_lo, exec_lo, s12
	s_cbranch_execnz .LBB2_924
.LBB2_892:                              ;   in Loop: Header=BB2_128 Depth=2
	s_or_b32 exec_lo, exec_lo, s12
	v_mov_b32_e32 v11, v35
	s_and_saveexec_b32 s12, s11
	s_cbranch_execz .LBB2_894
.LBB2_893:                              ;   in Loop: Header=BB2_128 Depth=2
	v_and_b32_e32 v40, 0x7f, v13
	v_bfe_u32 v98, v13, 3, 4
	s_delay_alu instid0(VALU_DEP_2) | instskip(SKIP_1) | instid1(VALU_DEP_1)
	v_cmp_gt_u32_e32 vcc_lo, 8, v40
	v_and_b32_e32 v97, 7, v13
	v_clz_i32_u32_e32 v97, v97
	s_delay_alu instid0(VALU_DEP_1) | instskip(NEXT) | instid1(VALU_DEP_1)
	v_min_u32_e32 v97, 32, v97
	v_subrev_nc_u32_e32 v99, 28, v97
	v_sub_nc_u32_e32 v97, 29, v97
	s_delay_alu instid0(VALU_DEP_1) | instskip(SKIP_1) | instid1(VALU_DEP_2)
	v_dual_cndmask_b32 v97, v98, v97 :: v_dual_cndmask_b32 v98, 0, v99
	v_cmp_ne_u32_e32 vcc_lo, 0x7f, v40
	v_lshlrev_b64_e32 v[98:99], v98, v[10:11]
	v_lshlrev_b32_e32 v11, 24, v10
	s_delay_alu instid0(VALU_DEP_1) | instskip(NEXT) | instid1(VALU_DEP_3)
	v_and_b32_e32 v11, 0x80000000, v11
	v_lshlrev_b32_e32 v98, 20, v98
	v_lshl_add_u32 v97, v97, 23, 0x3c000000
	s_delay_alu instid0(VALU_DEP_2) | instskip(NEXT) | instid1(VALU_DEP_1)
	v_and_b32_e32 v98, 0x700000, v98
	v_or3_b32 v11, v98, v11, v97
	s_delay_alu instid0(VALU_DEP_1)
	v_cndmask_b32_e32 v97, 0x7f800001, v11, vcc_lo
.LBB2_894:                              ;   in Loop: Header=BB2_128 Depth=2
	s_or_b32 exec_lo, exec_lo, s12
	s_delay_alu instid0(VALU_DEP_1) | instskip(NEXT) | instid1(VALU_DEP_1)
	v_dual_add_f32 v96, v96, v97 :: v_dual_mov_b32 v99, v35
	v_and_b32_e32 v98, 0x7f800000, v96
	v_lshrrev_b32_e32 v11, 24, v96
	s_delay_alu instid0(VALU_DEP_2) | instskip(SKIP_1) | instid1(SALU_CYCLE_1)
	v_cmp_ne_u64_e32 vcc_lo, 0x7f800000, v[98:99]
                                        ; implicit-def: $vgpr98
	s_and_saveexec_b32 s11, vcc_lo
	s_xor_b32 s12, exec_lo, s11
	s_cbranch_execz .LBB2_908
; %bb.895:                              ;   in Loop: Header=BB2_128 Depth=2
	v_and_b32_e32 v98, 0x7fffffff, v96
	v_mov_b32_e32 v99, v35
	v_and_b32_e32 v11, 0x80, v11
	s_delay_alu instid0(VALU_DEP_2) | instskip(SKIP_1) | instid1(SALU_CYCLE_1)
	v_cmp_gt_u64_e32 vcc_lo, 0x43e00001, v[98:99]
                                        ; implicit-def: $vgpr98
	s_and_saveexec_b32 s11, vcc_lo
	s_xor_b32 s42, exec_lo, s11
	s_cbranch_execz .LBB2_905
; %bb.896:                              ;   in Loop: Header=BB2_128 Depth=2
	v_mov_b32_e32 v98, 0
	s_mov_b32 s43, exec_lo
	v_cmpx_ne_u32_e32 0, v96
	s_cbranch_execz .LBB2_904
; %bb.897:                              ;   in Loop: Header=BB2_128 Depth=2
	v_bfe_u32 v40, v96, 23, 8
	v_and_b32_e32 v98, 0x7fffff, v96
	s_mov_b32 s44, exec_lo
	s_delay_alu instid0(VALU_DEP_2) | instskip(NEXT) | instid1(VALU_DEP_2)
	v_cmp_gt_u32_e32 vcc_lo, 0x7a, v40
	v_or_b32_e32 v99, 0x800000, v98
	v_sub_nc_u32_e32 v97, 0x79, v40
	s_delay_alu instid0(VALU_DEP_1) | instskip(SKIP_1) | instid1(VALU_DEP_4)
	v_cndmask_b32_e32 v97, 0, v97, vcc_lo
	v_cmp_eq_u32_e32 vcc_lo, 0, v40
	v_cndmask_b32_e32 v98, v99, v98, vcc_lo
	v_mov_b32_e32 v99, v35
	s_delay_alu instid0(VALU_DEP_4) | instskip(NEXT) | instid1(VALU_DEP_1)
	v_cndmask_b32_e64 v45, v97, 0x78, vcc_lo
	v_dual_add_nc_u32 v96, 20, v45 :: v_dual_add_nc_u32 v56, 19, v45
	s_delay_alu instid0(VALU_DEP_1) | instskip(NEXT) | instid1(VALU_DEP_2)
	v_lshlrev_b64_e64 v[96:97], v96, -1
	v_lshlrev_b64_e64 v[60:61], v56, 1
	s_delay_alu instid0(VALU_DEP_2) | instskip(NEXT) | instid1(VALU_DEP_3)
	v_bfi_b32 v63, v97, 0, 0
	v_bfi_b32 v62, v96, 0, v98
	v_lshrrev_b64 v[96:97], v45, v[98:99]
	s_delay_alu instid0(VALU_DEP_1) | instskip(NEXT) | instid1(VALU_DEP_3)
	v_mov_b64_e32 v[98:99], v[96:97]
	v_cmpx_eq_u64_e64 v[62:63], v[60:61]
; %bb.898:                              ;   in Loop: Header=BB2_128 Depth=2
	v_bfe_u32 v98, v96, 20, 1
	v_mov_b32_e32 v99, v35
	s_delay_alu instid0(VALU_DEP_1) | instskip(NEXT) | instid1(VALU_DEP_1)
	v_add_nc_u64_e32 v[98:99], v[96:97], v[98:99]
	v_add_nc_u64_e32 v[98:99], -1, v[98:99]
; %bb.899:                              ;   in Loop: Header=BB2_128 Depth=2
	s_or_b32 exec_lo, exec_lo, s44
	v_add_nc_u32_e32 v97, 0xffffff81, v40
	v_lshrrev_b32_e32 v99, 23, v96
	s_mov_b32 s11, exec_lo
	s_delay_alu instid0(VALU_DEP_2) | instskip(NEXT) | instid1(VALU_DEP_1)
	v_cndmask_b32_e64 v97, v97, 0xffffff82, vcc_lo
	v_add3_u32 v99, v45, v97, v99
	v_and_b32_e32 v97, 0xfffff, v98
                                        ; implicit-def: $vgpr98
	s_delay_alu instid0(VALU_DEP_1) | instskip(SKIP_1) | instid1(VALU_DEP_2)
	v_dual_add_nc_u32 v40, 6, v99 :: v_dual_add_nc_u32 v96, v97, v96
	v_mov_b32_e32 v97, v35
	v_cmpx_ne_u32_e32 0, v40
	s_xor_b32 s11, exec_lo, s11
; %bb.900:                              ;   in Loop: Header=BB2_128 Depth=2
	s_delay_alu instid0(VALU_DEP_2) | instskip(SKIP_2) | instid1(VALU_DEP_2)
	v_cmp_lt_u64_e32 vcc_lo, 0xffffff, v[96:97]
	v_add_nc_u32_e32 v98, 7, v99
	v_cndmask_b32_e64 v99, 0, 1, vcc_lo
	v_cndmask_b32_e32 v98, v40, v98, vcc_lo
	s_delay_alu instid0(VALU_DEP_2)
	v_lshrrev_b64 v[96:97], v99, v[96:97]
; %bb.901:                              ;   in Loop: Header=BB2_128 Depth=2
	s_and_not1_saveexec_b32 s11, s11
; %bb.902:                              ;   in Loop: Header=BB2_128 Depth=2
	s_delay_alu instid0(VALU_DEP_1)
	v_bfe_u32 v98, v96, 23, 1
; %bb.903:                              ;   in Loop: Header=BB2_128 Depth=2
	s_or_b32 exec_lo, exec_lo, s11
	s_delay_alu instid0(VALU_DEP_2) | instskip(NEXT) | instid1(VALU_DEP_2)
	v_lshrrev_b64 v[96:97], 20, v[96:97]
	v_cmp_gt_i32_e32 vcc_lo, 16, v98
	v_min_i32_e32 v99, 15, v98
	v_cmp_eq_u32_e64 s11, 0, v98
	s_delay_alu instid0(VALU_DEP_2) | instskip(SKIP_1) | instid1(VALU_DEP_2)
	v_dual_cndmask_b32 v97, 0, v97, vcc_lo :: v_dual_lshlrev_b32 v99, 3, v99
	v_cndmask_b32_e32 v96, 7, v96, vcc_lo
	v_and_b32_e32 v99, 0xf8, v99
	s_delay_alu instid0(VALU_DEP_2) | instskip(NEXT) | instid1(VALU_DEP_2)
	v_cmp_eq_u64_e32 vcc_lo, 0, v[96:97]
	v_and_or_b32 v96, v96, 7, v99
	s_and_b32 s11, s11, vcc_lo
	s_delay_alu instid0(VALU_DEP_1) | instid1(SALU_CYCLE_1)
	v_cndmask_b32_e64 v96, v96, 0, s11
	s_delay_alu instid0(VALU_DEP_1)
	v_or_b32_e32 v98, v96, v11
.LBB2_904:                              ;   in Loop: Header=BB2_128 Depth=2
	s_or_b32 exec_lo, exec_lo, s43
                                        ; implicit-def: $vgpr11
.LBB2_905:                              ;   in Loop: Header=BB2_128 Depth=2
	s_and_not1_saveexec_b32 s11, s42
; %bb.906:                              ;   in Loop: Header=BB2_128 Depth=2
	v_or_b32_e32 v98, 0x7e, v11
; %bb.907:                              ;   in Loop: Header=BB2_128 Depth=2
	s_or_b32 exec_lo, exec_lo, s11
                                        ; implicit-def: $vgpr11
.LBB2_908:                              ;   in Loop: Header=BB2_128 Depth=2
	s_and_not1_saveexec_b32 s11, s12
; %bb.909:                              ;   in Loop: Header=BB2_128 Depth=2
	v_or_b32_e32 v98, 0x7f, v11
; %bb.910:                              ;   in Loop: Header=BB2_128 Depth=2
	s_or_b32 exec_lo, exec_lo, s11
	v_lshrrev_b16 v96, 8, v42
	v_mov_b32_e32 v11, 0
	s_mov_b32 s11, exec_lo
	s_delay_alu instid0(VALU_DEP_2)
	v_cmpx_ne_u16_e32 0, v96
	s_cbranch_execz .LBB2_918
; %bb.911:                              ;   in Loop: Header=BB2_128 Depth=2
	v_bfrev_b32_e32 v11, 1
	s_mov_b32 s12, exec_lo
	v_cmpx_ne_u16_e32 0x80, v96
	s_cbranch_execz .LBB2_917
; %bb.912:                              ;   in Loop: Header=BB2_128 Depth=2
	v_and_b32_e32 v96, 0xffff, v96
	v_mov_b32_e32 v11, 0x7f800001
	s_mov_b32 s42, exec_lo
	s_delay_alu instid0(VALU_DEP_2) | instskip(NEXT) | instid1(VALU_DEP_1)
	v_and_b32_e32 v99, 0x7f, v96
	v_cmpx_ne_u32_e32 0x7f, v99
	s_cbranch_execz .LBB2_916
; %bb.913:                              ;   in Loop: Header=BB2_128 Depth=2
	v_dual_mov_b32 v97, v35 :: v_dual_bitop2_b32 v96, 7, v96 bitop3:0x40
	v_lshrrev_b32_e32 v11, 3, v99
	s_mov_b32 s43, exec_lo
	v_cmpx_gt_u32_e32 8, v99
; %bb.914:                              ;   in Loop: Header=BB2_128 Depth=2
	s_delay_alu instid0(VALU_DEP_3) | instskip(NEXT) | instid1(VALU_DEP_1)
	v_clz_i32_u32_e32 v11, v96
	v_min_u32_e32 v11, 32, v11
	s_delay_alu instid0(VALU_DEP_1) | instskip(NEXT) | instid1(VALU_DEP_1)
	v_subrev_nc_u32_e32 v99, 28, v11
	v_lshlrev_b64_e32 v[96:97], v99, v[96:97]
	s_delay_alu instid0(VALU_DEP_1)
	v_dual_sub_nc_u32 v11, 29, v11 :: v_dual_bitop2_b32 v96, 7, v96 bitop3:0x40
; %bb.915:                              ;   in Loop: Header=BB2_128 Depth=2
	s_or_b32 exec_lo, exec_lo, s43
	s_delay_alu instid0(VALU_DEP_1) | instskip(NEXT) | instid1(VALU_DEP_2)
	v_dual_lshlrev_b32 v97, 16, v42 :: v_dual_lshlrev_b32 v96, 20, v96
	v_lshl_add_u32 v11, v11, 23, 0x3c000000
	s_delay_alu instid0(VALU_DEP_2) | instskip(NEXT) | instid1(VALU_DEP_1)
	v_and_b32_e32 v97, 0x80000000, v97
	v_or3_b32 v11, v96, v97, v11
.LBB2_916:                              ;   in Loop: Header=BB2_128 Depth=2
	s_or_b32 exec_lo, exec_lo, s42
.LBB2_917:                              ;   in Loop: Header=BB2_128 Depth=2
	s_delay_alu instid0(SALU_CYCLE_1)
	s_or_b32 exec_lo, exec_lo, s12
.LBB2_918:                              ;   in Loop: Header=BB2_128 Depth=2
	s_delay_alu instid0(SALU_CYCLE_1) | instskip(SKIP_3) | instid1(VALU_DEP_1)
	s_or_b32 exec_lo, exec_lo, s11
	v_lshrrev_b16 v96, 8, v10
	s_mov_b32 s12, 0
	s_mov_b32 s11, exec_lo
	v_cmpx_lt_i16_e32 0x7f, v96
	s_xor_b32 s11, exec_lo, s11
	s_cbranch_execnz .LBB2_925
; %bb.919:                              ;   in Loop: Header=BB2_128 Depth=2
	s_or_saveexec_b32 s11, s11
	v_bfrev_b32_e32 v97, 1
	s_xor_b32 exec_lo, exec_lo, s11
	s_cbranch_execnz .LBB2_928
.LBB2_920:                              ;   in Loop: Header=BB2_128 Depth=2
	s_or_b32 exec_lo, exec_lo, s11
	s_and_saveexec_b32 s11, s12
	s_cbranch_execnz .LBB2_929
	s_branch .LBB2_932
.LBB2_921:                              ;   in Loop: Header=BB2_128 Depth=2
	s_mov_b32 s11, -1
	s_mov_b32 s42, exec_lo
	v_cmpx_eq_u16_e32 0x80, v11
; %bb.922:                              ;   in Loop: Header=BB2_128 Depth=2
	s_xor_b32 s11, exec_lo, -1
; %bb.923:                              ;   in Loop: Header=BB2_128 Depth=2
	s_or_b32 exec_lo, exec_lo, s42
	s_delay_alu instid0(SALU_CYCLE_1)
	s_and_b32 s11, s11, exec_lo
                                        ; implicit-def: $vgpr11
	s_or_saveexec_b32 s12, s12
	v_bfrev_b32_e32 v97, 1
	s_xor_b32 exec_lo, exec_lo, s12
	s_cbranch_execz .LBB2_892
.LBB2_924:                              ;   in Loop: Header=BB2_128 Depth=2
	v_cmp_ne_u16_e32 vcc_lo, 0, v11
	v_mov_b32_e32 v97, 0
	s_and_not1_b32 s11, s11, exec_lo
	s_and_b32 s42, vcc_lo, exec_lo
	s_delay_alu instid0(SALU_CYCLE_1)
	s_or_b32 s11, s11, s42
	s_or_b32 exec_lo, exec_lo, s12
	v_mov_b32_e32 v11, v35
	s_and_saveexec_b32 s12, s11
	s_cbranch_execnz .LBB2_893
	s_branch .LBB2_894
.LBB2_925:                              ;   in Loop: Header=BB2_128 Depth=2
	s_mov_b32 s12, -1
	s_mov_b32 s42, exec_lo
	v_cmpx_eq_u16_e32 0x80, v96
; %bb.926:                              ;   in Loop: Header=BB2_128 Depth=2
	s_xor_b32 s12, exec_lo, -1
; %bb.927:                              ;   in Loop: Header=BB2_128 Depth=2
	s_or_b32 exec_lo, exec_lo, s42
	s_delay_alu instid0(SALU_CYCLE_1)
	s_and_b32 s12, s12, exec_lo
	s_or_saveexec_b32 s11, s11
	v_bfrev_b32_e32 v97, 1
	s_xor_b32 exec_lo, exec_lo, s11
	s_cbranch_execz .LBB2_920
.LBB2_928:                              ;   in Loop: Header=BB2_128 Depth=2
	v_cmp_ne_u16_e32 vcc_lo, 0, v96
	v_mov_b32_e32 v97, 0
	s_and_not1_b32 s12, s12, exec_lo
	s_and_b32 s42, vcc_lo, exec_lo
	s_delay_alu instid0(SALU_CYCLE_1)
	s_or_b32 s12, s12, s42
	s_or_b32 exec_lo, exec_lo, s11
	s_and_saveexec_b32 s11, s12
	s_cbranch_execz .LBB2_932
.LBB2_929:                              ;   in Loop: Header=BB2_128 Depth=2
	v_and_b32_e32 v10, 0xffff, v96
	v_mov_b32_e32 v97, 0x7f800001
	s_mov_b32 s12, exec_lo
	s_delay_alu instid0(VALU_DEP_2) | instskip(NEXT) | instid1(VALU_DEP_1)
	v_and_b32_e32 v99, 0x7f, v10
	v_cmpx_ne_u32_e32 0x7f, v99
	s_cbranch_execz .LBB2_931
; %bb.930:                              ;   in Loop: Header=BB2_128 Depth=2
	v_and_b32_e32 v97, 7, v10
	v_cmp_gt_u32_e32 vcc_lo, 8, v99
	v_lshlrev_b32_e32 v96, 24, v96
	s_delay_alu instid0(VALU_DEP_3) | instskip(NEXT) | instid1(VALU_DEP_2)
	v_clz_i32_u32_e32 v40, v97
	v_and_b32_e32 v96, 0x80000000, v96
	s_delay_alu instid0(VALU_DEP_2) | instskip(NEXT) | instid1(VALU_DEP_1)
	v_min_u32_e32 v40, 32, v40
	v_subrev_nc_u32_e32 v42, 28, v40
	s_delay_alu instid0(VALU_DEP_1) | instskip(NEXT) | instid1(VALU_DEP_1)
	v_lshlrev_b64_e32 v[60:61], v42, v[10:11]
	v_dual_lshrrev_b32 v10, 3, v99 :: v_dual_bitop2_b32 v99, 7, v60 bitop3:0x40
	s_delay_alu instid0(VALU_DEP_1) | instskip(NEXT) | instid1(VALU_DEP_1)
	v_dual_cndmask_b32 v97, v97, v99 :: v_dual_sub_nc_u32 v40, 29, v40
	v_dual_cndmask_b32 v10, v10, v40 :: v_dual_lshlrev_b32 v97, 20, v97
	s_delay_alu instid0(VALU_DEP_1) | instskip(NEXT) | instid1(VALU_DEP_1)
	v_lshl_add_u32 v10, v10, 23, 0x3c000000
	v_or3_b32 v97, v97, v96, v10
.LBB2_931:                              ;   in Loop: Header=BB2_128 Depth=2
	s_or_b32 exec_lo, exec_lo, s12
.LBB2_932:                              ;   in Loop: Header=BB2_128 Depth=2
	s_delay_alu instid0(SALU_CYCLE_1) | instskip(NEXT) | instid1(VALU_DEP_1)
	s_or_b32 exec_lo, exec_lo, s11
	v_add_f32_e32 v10, v11, v97
	v_mov_b32_e32 v97, v35
                                        ; implicit-def: $vgpr99
	s_mov_b32 s11, exec_lo
	s_delay_alu instid0(VALU_DEP_2) | instskip(SKIP_1) | instid1(VALU_DEP_2)
	v_and_b32_e32 v96, 0x7f800000, v10
	v_lshrrev_b32_e32 v11, 24, v10
	v_cmpx_ne_u64_e32 0x7f800000, v[96:97]
	s_xor_b32 s12, exec_lo, s11
	s_cbranch_execz .LBB2_946
; %bb.933:                              ;   in Loop: Header=BB2_128 Depth=2
	v_and_b32_e32 v96, 0x7fffffff, v10
	v_mov_b32_e32 v97, v35
	v_and_b32_e32 v40, 0x80, v11
                                        ; implicit-def: $vgpr99
	s_mov_b32 s11, exec_lo
	s_delay_alu instid0(VALU_DEP_2)
	v_cmpx_gt_u64_e32 0x43e00001, v[96:97]
	s_xor_b32 s42, exec_lo, s11
	s_cbranch_execz .LBB2_943
; %bb.934:                              ;   in Loop: Header=BB2_128 Depth=2
	v_mov_b32_e32 v99, 0
	s_mov_b32 s43, exec_lo
	v_cmpx_ne_u32_e32 0, v10
	s_cbranch_execz .LBB2_942
; %bb.935:                              ;   in Loop: Header=BB2_128 Depth=2
	v_bfe_u32 v99, v10, 23, 8
	v_and_b32_e32 v96, 0x7fffff, v10
	s_mov_b32 s44, exec_lo
	s_delay_alu instid0(VALU_DEP_2) | instskip(NEXT) | instid1(VALU_DEP_2)
	v_cmp_gt_u32_e32 vcc_lo, 0x7a, v99
	v_or_b32_e32 v97, 0x800000, v96
	v_sub_nc_u32_e32 v11, 0x79, v99
	s_delay_alu instid0(VALU_DEP_1) | instskip(SKIP_1) | instid1(VALU_DEP_2)
	v_cndmask_b32_e32 v11, 0, v11, vcc_lo
	v_cmp_eq_u32_e32 vcc_lo, 0, v99
	v_cndmask_b32_e64 v42, v11, 0x78, vcc_lo
	v_dual_cndmask_b32 v96, v97, v96 :: v_dual_mov_b32 v97, v35
	s_delay_alu instid0(VALU_DEP_2) | instskip(NEXT) | instid1(VALU_DEP_1)
	v_dual_add_nc_u32 v45, 19, v42 :: v_dual_add_nc_u32 v10, 20, v42
	v_lshlrev_b64_e64 v[60:61], v45, 1
	s_delay_alu instid0(VALU_DEP_2) | instskip(NEXT) | instid1(VALU_DEP_1)
	v_lshlrev_b64_e64 v[10:11], v10, -1
	v_bfi_b32 v63, v11, 0, 0
	s_delay_alu instid0(VALU_DEP_2) | instskip(SKIP_1) | instid1(VALU_DEP_1)
	v_bfi_b32 v62, v10, 0, v96
	v_lshrrev_b64 v[10:11], v42, v[96:97]
	v_mov_b64_e32 v[96:97], v[10:11]
	s_delay_alu instid0(VALU_DEP_3)
	v_cmpx_eq_u64_e64 v[62:63], v[60:61]
; %bb.936:                              ;   in Loop: Header=BB2_128 Depth=2
	v_bfe_u32 v96, v10, 20, 1
	v_mov_b32_e32 v97, v35
	s_delay_alu instid0(VALU_DEP_1) | instskip(NEXT) | instid1(VALU_DEP_1)
	v_add_nc_u64_e32 v[96:97], v[10:11], v[96:97]
	v_add_nc_u64_e32 v[96:97], -1, v[96:97]
; %bb.937:                              ;   in Loop: Header=BB2_128 Depth=2
	s_or_b32 exec_lo, exec_lo, s44
	v_add_nc_u32_e32 v11, 0xffffff81, v99
	v_lshrrev_b32_e32 v97, 23, v10
	s_mov_b32 s11, exec_lo
	s_delay_alu instid0(VALU_DEP_2) | instskip(NEXT) | instid1(VALU_DEP_1)
	v_cndmask_b32_e64 v11, v11, 0xffffff82, vcc_lo
	v_add3_u32 v97, v42, v11, v97
	v_and_b32_e32 v11, 0xfffff, v96
                                        ; implicit-def: $vgpr96
	s_delay_alu instid0(VALU_DEP_1) | instskip(SKIP_1) | instid1(VALU_DEP_2)
	v_dual_add_nc_u32 v99, 6, v97 :: v_dual_add_nc_u32 v10, v11, v10
	v_mov_b32_e32 v11, v35
	v_cmpx_ne_u32_e32 0, v99
	s_xor_b32 s11, exec_lo, s11
; %bb.938:                              ;   in Loop: Header=BB2_128 Depth=2
	s_delay_alu instid0(VALU_DEP_2) | instskip(SKIP_2) | instid1(VALU_DEP_2)
	v_cmp_lt_u64_e32 vcc_lo, 0xffffff, v[10:11]
	v_add_nc_u32_e32 v96, 7, v97
	v_cndmask_b32_e64 v97, 0, 1, vcc_lo
	v_cndmask_b32_e32 v96, v99, v96, vcc_lo
	s_delay_alu instid0(VALU_DEP_2)
	v_lshrrev_b64 v[10:11], v97, v[10:11]
; %bb.939:                              ;   in Loop: Header=BB2_128 Depth=2
	s_and_not1_saveexec_b32 s11, s11
; %bb.940:                              ;   in Loop: Header=BB2_128 Depth=2
	s_delay_alu instid0(VALU_DEP_1)
	v_bfe_u32 v96, v10, 23, 1
; %bb.941:                              ;   in Loop: Header=BB2_128 Depth=2
	s_or_b32 exec_lo, exec_lo, s11
	s_delay_alu instid0(VALU_DEP_2) | instskip(NEXT) | instid1(VALU_DEP_2)
	v_lshrrev_b64 v[10:11], 20, v[10:11]
	v_cmp_gt_i32_e32 vcc_lo, 16, v96
	v_min_i32_e32 v97, 15, v96
	v_cmp_eq_u32_e64 s11, 0, v96
	s_delay_alu instid0(VALU_DEP_2) | instskip(SKIP_1) | instid1(VALU_DEP_2)
	v_dual_cndmask_b32 v11, 0, v11, vcc_lo :: v_dual_lshlrev_b32 v97, 3, v97
	v_cndmask_b32_e32 v10, 7, v10, vcc_lo
	v_and_b32_e32 v97, 0xf8, v97
	s_delay_alu instid0(VALU_DEP_2) | instskip(NEXT) | instid1(VALU_DEP_2)
	v_cmp_eq_u64_e32 vcc_lo, 0, v[10:11]
	v_and_or_b32 v10, v10, 7, v97
	s_and_b32 s11, s11, vcc_lo
	s_delay_alu instid0(VALU_DEP_1) | instid1(SALU_CYCLE_1)
	v_cndmask_b32_e64 v10, v10, 0, s11
	s_delay_alu instid0(VALU_DEP_1)
	v_or_b32_e32 v99, v10, v40
.LBB2_942:                              ;   in Loop: Header=BB2_128 Depth=2
	s_or_b32 exec_lo, exec_lo, s43
                                        ; implicit-def: $vgpr40
.LBB2_943:                              ;   in Loop: Header=BB2_128 Depth=2
	s_and_not1_saveexec_b32 s11, s42
; %bb.944:                              ;   in Loop: Header=BB2_128 Depth=2
	v_or_b32_e32 v99, 0x7e, v40
; %bb.945:                              ;   in Loop: Header=BB2_128 Depth=2
	s_or_b32 exec_lo, exec_lo, s11
                                        ; implicit-def: $vgpr11
.LBB2_946:                              ;   in Loop: Header=BB2_128 Depth=2
	s_and_not1_saveexec_b32 s11, s12
; %bb.947:                              ;   in Loop: Header=BB2_128 Depth=2
	v_or_b32_e32 v99, 0x7f, v11
; %bb.948:                              ;   in Loop: Header=BB2_128 Depth=2
	s_or_b32 exec_lo, exec_lo, s11
	v_dual_mov_b32 v11, 0 :: v_dual_lshrrev_b32 v96, 16, v34
	s_mov_b32 s11, exec_lo
	s_delay_alu instid0(VALU_DEP_1) | instskip(NEXT) | instid1(VALU_DEP_1)
	v_and_b32_e32 v10, 0xff, v96
	v_cmpx_ne_u16_e32 0, v10
	s_cbranch_execz .LBB2_956
; %bb.949:                              ;   in Loop: Header=BB2_128 Depth=2
	v_bfrev_b32_e32 v11, 1
	s_mov_b32 s12, exec_lo
	v_cmpx_ne_u16_e32 0x80, v10
	s_cbranch_execz .LBB2_955
; %bb.950:                              ;   in Loop: Header=BB2_128 Depth=2
	v_bfe_u32 v40, v34, 16, 7
	v_mov_b32_e32 v11, 0x7f800001
	s_mov_b32 s42, exec_lo
	s_delay_alu instid0(VALU_DEP_2)
	v_cmpx_ne_u32_e32 0x7f, v40
	s_cbranch_execz .LBB2_954
; %bb.951:                              ;   in Loop: Header=BB2_128 Depth=2
	v_dual_mov_b32 v11, v35 :: v_dual_bitop2_b32 v10, 7, v96 bitop3:0x40
	v_lshrrev_b32_e32 v97, 3, v40
	s_mov_b32 s43, exec_lo
	v_cmpx_gt_u32_e32 8, v40
; %bb.952:                              ;   in Loop: Header=BB2_128 Depth=2
	s_delay_alu instid0(VALU_DEP_3) | instskip(NEXT) | instid1(VALU_DEP_1)
	v_clz_i32_u32_e32 v97, v10
	v_min_u32_e32 v97, 32, v97
	s_delay_alu instid0(VALU_DEP_1) | instskip(NEXT) | instid1(VALU_DEP_1)
	v_subrev_nc_u32_e32 v40, 28, v97
	v_lshlrev_b64_e32 v[10:11], v40, v[10:11]
	s_delay_alu instid0(VALU_DEP_1)
	v_dual_sub_nc_u32 v97, 29, v97 :: v_dual_bitop2_b32 v10, 7, v10 bitop3:0x40
; %bb.953:                              ;   in Loop: Header=BB2_128 Depth=2
	s_or_b32 exec_lo, exec_lo, s43
	s_delay_alu instid0(VALU_DEP_1) | instskip(NEXT) | instid1(VALU_DEP_2)
	v_dual_lshlrev_b32 v11, 24, v96 :: v_dual_lshlrev_b32 v10, 20, v10
	v_lshl_add_u32 v96, v97, 23, 0x3c000000
	s_delay_alu instid0(VALU_DEP_2) | instskip(NEXT) | instid1(VALU_DEP_1)
	v_and_b32_e32 v11, 0x80000000, v11
	v_or3_b32 v11, v10, v11, v96
.LBB2_954:                              ;   in Loop: Header=BB2_128 Depth=2
	s_or_b32 exec_lo, exec_lo, s42
.LBB2_955:                              ;   in Loop: Header=BB2_128 Depth=2
	s_delay_alu instid0(SALU_CYCLE_1)
	s_or_b32 exec_lo, exec_lo, s12
.LBB2_956:                              ;   in Loop: Header=BB2_128 Depth=2
	s_delay_alu instid0(SALU_CYCLE_1) | instskip(SKIP_3) | instid1(VALU_DEP_1)
	s_or_b32 exec_lo, exec_lo, s11
	v_lshrrev_b32_e32 v10, 16, v13
	s_mov_b32 s12, 0
	s_mov_b32 s11, exec_lo
	v_and_b32_e32 v97, 0xff, v10
	s_delay_alu instid0(VALU_DEP_1)
	v_cmpx_lt_i16_e32 0x7f, v97
	s_xor_b32 s11, exec_lo, s11
	s_cbranch_execnz .LBB2_959
; %bb.957:                              ;   in Loop: Header=BB2_128 Depth=2
	s_or_saveexec_b32 s11, s11
	v_bfrev_b32_e32 v96, 1
	s_xor_b32 exec_lo, exec_lo, s11
	s_cbranch_execnz .LBB2_962
.LBB2_958:                              ;   in Loop: Header=BB2_128 Depth=2
	s_or_b32 exec_lo, exec_lo, s11
	s_and_saveexec_b32 s11, s12
	s_cbranch_execnz .LBB2_963
	s_branch .LBB2_966
.LBB2_959:                              ;   in Loop: Header=BB2_128 Depth=2
	s_mov_b32 s12, -1
	s_mov_b32 s42, exec_lo
	v_cmpx_eq_u16_e32 0x80, v97
; %bb.960:                              ;   in Loop: Header=BB2_128 Depth=2
	s_xor_b32 s12, exec_lo, -1
; %bb.961:                              ;   in Loop: Header=BB2_128 Depth=2
	s_or_b32 exec_lo, exec_lo, s42
	s_delay_alu instid0(SALU_CYCLE_1)
	s_and_b32 s12, s12, exec_lo
                                        ; implicit-def: $vgpr97
	s_or_saveexec_b32 s11, s11
	v_bfrev_b32_e32 v96, 1
	s_xor_b32 exec_lo, exec_lo, s11
	s_cbranch_execz .LBB2_958
.LBB2_962:                              ;   in Loop: Header=BB2_128 Depth=2
	v_cmp_ne_u16_e32 vcc_lo, 0, v97
	v_mov_b32_e32 v96, 0
	s_and_not1_b32 s12, s12, exec_lo
	s_and_b32 s42, vcc_lo, exec_lo
	s_delay_alu instid0(SALU_CYCLE_1)
	s_or_b32 s12, s12, s42
	s_or_b32 exec_lo, exec_lo, s11
	s_and_saveexec_b32 s11, s12
	s_cbranch_execz .LBB2_966
.LBB2_963:                              ;   in Loop: Header=BB2_128 Depth=2
	v_and_b32_e32 v97, 0x7f, v10
	v_mov_b32_e32 v96, 0x7f800001
	s_mov_b32 s12, exec_lo
	s_delay_alu instid0(VALU_DEP_2)
	v_cmpx_ne_u32_e32 0x7f, v97
	s_cbranch_execz .LBB2_965
; %bb.964:                              ;   in Loop: Header=BB2_128 Depth=2
	v_and_b32_e32 v96, 7, v10
	v_cmp_gt_u32_e32 vcc_lo, 8, v97
	s_delay_alu instid0(VALU_DEP_2) | instskip(NEXT) | instid1(VALU_DEP_1)
	v_clz_i32_u32_e32 v40, v96
	v_min_u32_e32 v40, 32, v40
	s_delay_alu instid0(VALU_DEP_1) | instskip(SKIP_1) | instid1(VALU_DEP_2)
	v_subrev_nc_u32_e32 v42, 28, v40
	v_sub_nc_u32_e32 v40, 29, v40
	v_lshlrev_b64_e32 v[60:61], v42, v[10:11]
	v_dual_lshrrev_b32 v42, 3, v97 :: v_dual_lshlrev_b32 v10, 24, v10
	s_delay_alu instid0(VALU_DEP_1) | instskip(NEXT) | instid1(VALU_DEP_3)
	v_and_b32_e32 v10, 0x80000000, v10
	v_and_b32_e32 v97, 7, v60
	s_delay_alu instid0(VALU_DEP_1) | instskip(NEXT) | instid1(VALU_DEP_1)
	v_dual_cndmask_b32 v40, v42, v40, vcc_lo :: v_dual_cndmask_b32 v96, v96, v97, vcc_lo
	v_lshl_add_u32 v97, v40, 23, 0x3c000000
	s_delay_alu instid0(VALU_DEP_2) | instskip(NEXT) | instid1(VALU_DEP_1)
	v_lshlrev_b32_e32 v96, 20, v96
	v_or3_b32 v96, v96, v10, v97
.LBB2_965:                              ;   in Loop: Header=BB2_128 Depth=2
	s_or_b32 exec_lo, exec_lo, s12
.LBB2_966:                              ;   in Loop: Header=BB2_128 Depth=2
	s_delay_alu instid0(SALU_CYCLE_1) | instskip(NEXT) | instid1(VALU_DEP_1)
	s_or_b32 exec_lo, exec_lo, s11
	v_add_f32_e32 v10, v11, v96
	s_delay_alu instid0(VALU_DEP_1) | instskip(SKIP_1) | instid1(VALU_DEP_1)
	v_dual_mov_b32 v97, v35 :: v_dual_lshrrev_b32 v11, 24, v10
	v_and_b32_e32 v96, 0x7f800000, v10
	v_cmp_ne_u64_e32 vcc_lo, 0x7f800000, v[96:97]
                                        ; implicit-def: $vgpr96
	s_and_saveexec_b32 s11, vcc_lo
	s_delay_alu instid0(SALU_CYCLE_1)
	s_xor_b32 s12, exec_lo, s11
	s_cbranch_execz .LBB2_980
; %bb.967:                              ;   in Loop: Header=BB2_128 Depth=2
	v_and_b32_e32 v96, 0x7fffffff, v10
	v_mov_b32_e32 v97, v35
	v_and_b32_e32 v40, 0x80, v11
	s_delay_alu instid0(VALU_DEP_2) | instskip(SKIP_1) | instid1(SALU_CYCLE_1)
	v_cmp_gt_u64_e32 vcc_lo, 0x43e00001, v[96:97]
                                        ; implicit-def: $vgpr96
	s_and_saveexec_b32 s11, vcc_lo
	s_xor_b32 s42, exec_lo, s11
	s_cbranch_execz .LBB2_977
; %bb.968:                              ;   in Loop: Header=BB2_128 Depth=2
	v_mov_b32_e32 v96, 0
	s_mov_b32 s43, exec_lo
	v_cmpx_ne_u32_e32 0, v10
	s_cbranch_execz .LBB2_976
; %bb.969:                              ;   in Loop: Header=BB2_128 Depth=2
	v_bfe_u32 v42, v10, 23, 8
	v_and_b32_e32 v96, 0x7fffff, v10
	s_mov_b32 s44, exec_lo
	s_delay_alu instid0(VALU_DEP_2) | instskip(NEXT) | instid1(VALU_DEP_2)
	v_cmp_gt_u32_e32 vcc_lo, 0x7a, v42
	v_or_b32_e32 v97, 0x800000, v96
	v_sub_nc_u32_e32 v11, 0x79, v42
	s_delay_alu instid0(VALU_DEP_1) | instskip(SKIP_1) | instid1(VALU_DEP_2)
	v_cndmask_b32_e32 v11, 0, v11, vcc_lo
	v_cmp_eq_u32_e32 vcc_lo, 0, v42
	v_cndmask_b32_e64 v45, v11, 0x78, vcc_lo
	v_dual_cndmask_b32 v96, v97, v96 :: v_dual_mov_b32 v97, v35
	s_delay_alu instid0(VALU_DEP_2) | instskip(NEXT) | instid1(VALU_DEP_1)
	v_dual_add_nc_u32 v56, 19, v45 :: v_dual_add_nc_u32 v10, 20, v45
	v_lshlrev_b64_e64 v[60:61], v56, 1
	s_delay_alu instid0(VALU_DEP_2) | instskip(NEXT) | instid1(VALU_DEP_1)
	v_lshlrev_b64_e64 v[10:11], v10, -1
	v_bfi_b32 v63, v11, 0, 0
	s_delay_alu instid0(VALU_DEP_2) | instskip(SKIP_1) | instid1(VALU_DEP_1)
	v_bfi_b32 v62, v10, 0, v96
	v_lshrrev_b64 v[10:11], v45, v[96:97]
	v_mov_b64_e32 v[96:97], v[10:11]
	s_delay_alu instid0(VALU_DEP_3)
	v_cmpx_eq_u64_e64 v[62:63], v[60:61]
; %bb.970:                              ;   in Loop: Header=BB2_128 Depth=2
	v_bfe_u32 v96, v10, 20, 1
	v_mov_b32_e32 v97, v35
	s_delay_alu instid0(VALU_DEP_1) | instskip(NEXT) | instid1(VALU_DEP_1)
	v_add_nc_u64_e32 v[96:97], v[10:11], v[96:97]
	v_add_nc_u64_e32 v[96:97], -1, v[96:97]
; %bb.971:                              ;   in Loop: Header=BB2_128 Depth=2
	s_or_b32 exec_lo, exec_lo, s44
	v_add_nc_u32_e32 v11, 0xffffff81, v42
	v_lshrrev_b32_e32 v97, 23, v10
	s_mov_b32 s11, exec_lo
	s_delay_alu instid0(VALU_DEP_2) | instskip(NEXT) | instid1(VALU_DEP_1)
	v_cndmask_b32_e64 v11, v11, 0xffffff82, vcc_lo
	v_add3_u32 v97, v45, v11, v97
	v_and_b32_e32 v11, 0xfffff, v96
                                        ; implicit-def: $vgpr96
	s_delay_alu instid0(VALU_DEP_1) | instskip(SKIP_1) | instid1(VALU_DEP_2)
	v_dual_add_nc_u32 v42, 6, v97 :: v_dual_add_nc_u32 v10, v11, v10
	v_mov_b32_e32 v11, v35
	v_cmpx_ne_u32_e32 0, v42
	s_xor_b32 s11, exec_lo, s11
; %bb.972:                              ;   in Loop: Header=BB2_128 Depth=2
	s_delay_alu instid0(VALU_DEP_2) | instskip(SKIP_2) | instid1(VALU_DEP_2)
	v_cmp_lt_u64_e32 vcc_lo, 0xffffff, v[10:11]
	v_add_nc_u32_e32 v96, 7, v97
	v_cndmask_b32_e64 v97, 0, 1, vcc_lo
	v_cndmask_b32_e32 v96, v42, v96, vcc_lo
	s_delay_alu instid0(VALU_DEP_2)
	v_lshrrev_b64 v[10:11], v97, v[10:11]
; %bb.973:                              ;   in Loop: Header=BB2_128 Depth=2
	s_and_not1_saveexec_b32 s11, s11
; %bb.974:                              ;   in Loop: Header=BB2_128 Depth=2
	s_delay_alu instid0(VALU_DEP_1)
	v_bfe_u32 v96, v10, 23, 1
; %bb.975:                              ;   in Loop: Header=BB2_128 Depth=2
	s_or_b32 exec_lo, exec_lo, s11
	s_delay_alu instid0(VALU_DEP_2) | instskip(NEXT) | instid1(VALU_DEP_2)
	v_lshrrev_b64 v[10:11], 20, v[10:11]
	v_cmp_gt_i32_e32 vcc_lo, 16, v96
	v_min_i32_e32 v97, 15, v96
	v_cmp_eq_u32_e64 s11, 0, v96
	s_delay_alu instid0(VALU_DEP_2) | instskip(SKIP_1) | instid1(VALU_DEP_2)
	v_dual_cndmask_b32 v11, 0, v11, vcc_lo :: v_dual_lshlrev_b32 v97, 3, v97
	v_cndmask_b32_e32 v10, 7, v10, vcc_lo
	v_and_b32_e32 v97, 0xf8, v97
	s_delay_alu instid0(VALU_DEP_2) | instskip(NEXT) | instid1(VALU_DEP_2)
	v_cmp_eq_u64_e32 vcc_lo, 0, v[10:11]
	v_and_or_b32 v10, v10, 7, v97
	s_and_b32 s11, s11, vcc_lo
	s_delay_alu instid0(VALU_DEP_1) | instid1(SALU_CYCLE_1)
	v_cndmask_b32_e64 v10, v10, 0, s11
	s_delay_alu instid0(VALU_DEP_1)
	v_or_b32_e32 v96, v10, v40
.LBB2_976:                              ;   in Loop: Header=BB2_128 Depth=2
	s_or_b32 exec_lo, exec_lo, s43
                                        ; implicit-def: $vgpr40
.LBB2_977:                              ;   in Loop: Header=BB2_128 Depth=2
	s_and_not1_saveexec_b32 s11, s42
; %bb.978:                              ;   in Loop: Header=BB2_128 Depth=2
	v_or_b32_e32 v96, 0x7e, v40
; %bb.979:                              ;   in Loop: Header=BB2_128 Depth=2
	s_or_b32 exec_lo, exec_lo, s11
                                        ; implicit-def: $vgpr11
.LBB2_980:                              ;   in Loop: Header=BB2_128 Depth=2
	s_and_not1_saveexec_b32 s11, s12
; %bb.981:                              ;   in Loop: Header=BB2_128 Depth=2
	v_or_b32_e32 v96, 0x7f, v11
; %bb.982:                              ;   in Loop: Header=BB2_128 Depth=2
	s_or_b32 exec_lo, exec_lo, s11
	v_mov_b32_e32 v11, 0
	s_mov_b32 s11, exec_lo
	v_cmpx_lt_u32_e32 0xffffff, v34
	s_cbranch_execz .LBB2_990
; %bb.983:                              ;   in Loop: Header=BB2_128 Depth=2
	v_lshrrev_b32_e32 v10, 24, v34
	v_bfrev_b32_e32 v11, 1
	s_mov_b32 s12, exec_lo
	s_delay_alu instid0(VALU_DEP_2)
	v_cmpx_ne_u32_e32 0x80, v10
	s_cbranch_execz .LBB2_989
; %bb.984:                              ;   in Loop: Header=BB2_128 Depth=2
	v_bfe_u32 v97, v34, 24, 7
	v_mov_b32_e32 v11, 0x7f800001
	s_mov_b32 s42, exec_lo
	s_delay_alu instid0(VALU_DEP_2)
	v_cmpx_ne_u32_e32 0x7f, v97
	s_cbranch_execz .LBB2_988
; %bb.985:                              ;   in Loop: Header=BB2_128 Depth=2
	v_dual_lshrrev_b32 v11, 3, v97 :: v_dual_bitop2_b32 v34, 7, v10 bitop3:0x40
	s_mov_b32 s43, exec_lo
	v_cmpx_gt_u32_e32 8, v97
; %bb.986:                              ;   in Loop: Header=BB2_128 Depth=2
	s_delay_alu instid0(VALU_DEP_2) | instskip(NEXT) | instid1(VALU_DEP_1)
	v_clz_i32_u32_e32 v11, v34
	v_min_u32_e32 v11, 32, v11
	s_delay_alu instid0(VALU_DEP_1) | instskip(NEXT) | instid1(VALU_DEP_1)
	v_subrev_nc_u32_e32 v97, 28, v11
	v_lshlrev_b64_e32 v[60:61], v97, v[34:35]
	s_delay_alu instid0(VALU_DEP_1)
	v_dual_sub_nc_u32 v11, 29, v11 :: v_dual_bitop2_b32 v34, 7, v60 bitop3:0x40
; %bb.987:                              ;   in Loop: Header=BB2_128 Depth=2
	s_or_b32 exec_lo, exec_lo, s43
	v_lshlrev_b32_e32 v10, 24, v10
	s_delay_alu instid0(VALU_DEP_2) | instskip(NEXT) | instid1(VALU_DEP_3)
	v_lshlrev_b32_e32 v34, 20, v34
	v_lshl_add_u32 v11, v11, 23, 0x3c000000
	s_delay_alu instid0(VALU_DEP_3) | instskip(NEXT) | instid1(VALU_DEP_1)
	v_and_b32_e32 v10, 0x80000000, v10
	v_or3_b32 v11, v34, v10, v11
.LBB2_988:                              ;   in Loop: Header=BB2_128 Depth=2
	s_or_b32 exec_lo, exec_lo, s42
.LBB2_989:                              ;   in Loop: Header=BB2_128 Depth=2
	s_delay_alu instid0(SALU_CYCLE_1)
	s_or_b32 exec_lo, exec_lo, s12
.LBB2_990:                              ;   in Loop: Header=BB2_128 Depth=2
	s_delay_alu instid0(SALU_CYCLE_1) | instskip(SKIP_3) | instid1(VALU_DEP_3)
	s_or_b32 exec_lo, exec_lo, s11
	v_lshrrev_b32_e32 v10, 24, v13
	v_bfe_u32 v34, v13, 24, 7
	v_cmp_gt_u64_e64 s12, s[16:17], v[12:13]
	v_cmp_eq_u32_e64 s11, 0x80, v10
	s_delay_alu instid0(VALU_DEP_3) | instskip(NEXT) | instid1(VALU_DEP_2)
	v_cmp_eq_u32_e32 vcc_lo, 0x7f, v34
	v_cndmask_b32_e64 v97, 0x7f800001, v116, s11
	s_or_b32 s11, s11, vcc_lo
	s_delay_alu instid0(VALU_DEP_1) | instskip(SKIP_1) | instid1(SALU_CYCLE_1)
	v_cndmask_b32_e64 v12, v97, 0, s12
	s_nor_b32 s12, s12, s11
	s_and_saveexec_b32 s11, s12
	s_cbranch_execz .LBB2_992
; %bb.991:                              ;   in Loop: Header=BB2_128 Depth=2
	v_and_b32_e32 v97, 7, v10
	v_cmp_gt_u32_e32 vcc_lo, 8, v34
	s_delay_alu instid0(VALU_DEP_2) | instskip(NEXT) | instid1(VALU_DEP_1)
	v_clz_i32_u32_e32 v12, v97
	v_min_u32_e32 v40, 32, v12
	s_delay_alu instid0(VALU_DEP_1) | instskip(SKIP_1) | instid1(VALU_DEP_2)
	v_subrev_nc_u32_e32 v12, 28, v40
	v_sub_nc_u32_e32 v40, 29, v40
	v_lshlrev_b64_e32 v[12:13], v12, v[10:11]
	s_delay_alu instid0(VALU_DEP_1) | instskip(NEXT) | instid1(VALU_DEP_1)
	v_dual_lshrrev_b32 v13, 3, v34 :: v_dual_bitop2_b32 v12, 7, v12 bitop3:0x40
	v_dual_cndmask_b32 v13, v13, v40 :: v_dual_lshlrev_b32 v10, 24, v10
	s_delay_alu instid0(VALU_DEP_2) | instskip(NEXT) | instid1(VALU_DEP_2)
	v_cndmask_b32_e32 v12, v97, v12, vcc_lo
	v_and_b32_e32 v10, 0x80000000, v10
	s_delay_alu instid0(VALU_DEP_3) | instskip(NEXT) | instid1(VALU_DEP_3)
	v_lshl_add_u32 v13, v13, 23, 0x3c000000
	v_lshlrev_b32_e32 v12, 20, v12
	s_delay_alu instid0(VALU_DEP_1)
	v_or3_b32 v12, v12, v10, v13
.LBB2_992:                              ;   in Loop: Header=BB2_128 Depth=2
	s_or_b32 exec_lo, exec_lo, s11
	s_delay_alu instid0(VALU_DEP_1) | instskip(SKIP_1) | instid1(VALU_DEP_1)
	v_add_f32_e32 v11, v11, v12
                                        ; implicit-def: $vgpr10
	s_mov_b32 s11, exec_lo
	v_and_b32_e32 v34, 0x7f800000, v11
	v_lshrrev_b32_e32 v12, 24, v11
	s_delay_alu instid0(VALU_DEP_2)
	v_cmpx_ne_u64_e32 0x7f800000, v[34:35]
	s_xor_b32 s12, exec_lo, s11
	s_cbranch_execz .LBB2_1006
; %bb.993:                              ;   in Loop: Header=BB2_128 Depth=2
	v_and_b32_e32 v34, 0x7fffffff, v11
	v_and_b32_e32 v97, 0x80, v12
                                        ; implicit-def: $vgpr10
	s_mov_b32 s11, exec_lo
	s_delay_alu instid0(VALU_DEP_2)
	v_cmpx_gt_u64_e32 0x43e00001, v[34:35]
	s_xor_b32 s42, exec_lo, s11
	s_cbranch_execz .LBB2_1003
; %bb.994:                              ;   in Loop: Header=BB2_128 Depth=2
	v_mov_b32_e32 v10, 0
	s_mov_b32 s43, exec_lo
	v_cmpx_ne_u32_e32 0, v11
	s_cbranch_execz .LBB2_1002
; %bb.995:                              ;   in Loop: Header=BB2_128 Depth=2
	v_bfe_u32 v40, v11, 23, 8
	v_and_b32_e32 v12, 0x7fffff, v11
	s_delay_alu instid0(VALU_DEP_2) | instskip(SKIP_1) | instid1(VALU_DEP_3)
	v_sub_nc_u32_e32 v10, 0x79, v40
	v_cmp_gt_u32_e32 vcc_lo, 0x7a, v40
	v_or_b32_e32 v13, 0x800000, v12
	s_delay_alu instid0(VALU_DEP_3) | instskip(SKIP_1) | instid1(VALU_DEP_3)
	v_cndmask_b32_e32 v10, 0, v10, vcc_lo
	v_cmp_eq_u32_e32 vcc_lo, 0, v40
	v_cndmask_b32_e32 v34, v13, v12, vcc_lo
	s_delay_alu instid0(VALU_DEP_3) | instskip(NEXT) | instid1(VALU_DEP_1)
	v_cndmask_b32_e64 v42, v10, 0x78, vcc_lo
	v_dual_add_nc_u32 v10, 20, v42 :: v_dual_add_nc_u32 v45, 19, v42
	s_delay_alu instid0(VALU_DEP_1) | instskip(NEXT) | instid1(VALU_DEP_2)
	v_lshlrev_b64_e64 v[10:11], v10, -1
	v_lshlrev_b64_e64 v[12:13], v45, 1
	s_delay_alu instid0(VALU_DEP_2) | instskip(NEXT) | instid1(VALU_DEP_3)
	v_bfi_b32 v61, v11, 0, 0
	v_bfi_b32 v60, v10, 0, v34
	v_lshrrev_b64 v[10:11], v42, v[34:35]
	s_delay_alu instid0(VALU_DEP_2) | instskip(NEXT) | instid1(VALU_DEP_2)
	v_cmp_eq_u64_e64 s11, v[60:61], v[12:13]
	v_mov_b64_e32 v[12:13], v[10:11]
	s_and_saveexec_b32 s44, s11
; %bb.996:                              ;   in Loop: Header=BB2_128 Depth=2
	v_bfe_u32 v34, v10, 20, 1
	s_delay_alu instid0(VALU_DEP_1) | instskip(NEXT) | instid1(VALU_DEP_1)
	v_add_nc_u64_e32 v[12:13], v[10:11], v[34:35]
	v_add_nc_u64_e32 v[12:13], -1, v[12:13]
; %bb.997:                              ;   in Loop: Header=BB2_128 Depth=2
	s_or_b32 exec_lo, exec_lo, s44
	v_add_nc_u32_e32 v11, 0xffffff81, v40
	v_lshrrev_b32_e32 v13, 23, v10
	s_mov_b32 s11, exec_lo
	s_delay_alu instid0(VALU_DEP_2) | instskip(NEXT) | instid1(VALU_DEP_1)
	v_cndmask_b32_e64 v11, v11, 0xffffff82, vcc_lo
	v_add3_u32 v13, v42, v11, v13
	v_and_b32_e32 v11, 0xfffff, v12
                                        ; implicit-def: $vgpr12
	s_delay_alu instid0(VALU_DEP_1) | instskip(NEXT) | instid1(VALU_DEP_1)
	v_dual_add_nc_u32 v40, 6, v13 :: v_dual_add_nc_u32 v34, v11, v10
                                        ; implicit-def: $vgpr10_vgpr11
	v_cmpx_ne_u32_e32 0, v40
	s_xor_b32 s11, exec_lo, s11
; %bb.998:                              ;   in Loop: Header=BB2_128 Depth=2
	s_delay_alu instid0(VALU_DEP_2) | instskip(SKIP_1) | instid1(VALU_DEP_1)
	v_cmp_lt_u64_e32 vcc_lo, 0xffffff, v[34:35]
	v_add_nc_u32_e32 v10, 7, v13
	v_cndmask_b32_e32 v12, v40, v10, vcc_lo
	v_cndmask_b32_e64 v10, 0, 1, vcc_lo
	s_delay_alu instid0(VALU_DEP_1)
	v_lshrrev_b64 v[10:11], v10, v[34:35]
; %bb.999:                              ;   in Loop: Header=BB2_128 Depth=2
	s_and_not1_saveexec_b32 s11, s11
; %bb.1000:                             ;   in Loop: Header=BB2_128 Depth=2
	v_mov_b64_e32 v[10:11], v[34:35]
	v_bfe_u32 v12, v34, 23, 1
; %bb.1001:                             ;   in Loop: Header=BB2_128 Depth=2
	s_or_b32 exec_lo, exec_lo, s11
	s_delay_alu instid0(VALU_DEP_2) | instskip(NEXT) | instid1(VALU_DEP_2)
	v_lshrrev_b64 v[10:11], 20, v[10:11]
	v_cmp_gt_i32_e32 vcc_lo, 16, v12
	v_min_i32_e32 v13, 15, v12
	v_cmp_eq_u32_e64 s11, 0, v12
	s_delay_alu instid0(VALU_DEP_2) | instskip(SKIP_1) | instid1(VALU_DEP_2)
	v_dual_cndmask_b32 v11, 0, v11, vcc_lo :: v_dual_lshlrev_b32 v13, 3, v13
	v_cndmask_b32_e32 v10, 7, v10, vcc_lo
	v_and_b32_e32 v13, 0xf8, v13
	s_delay_alu instid0(VALU_DEP_2) | instskip(NEXT) | instid1(VALU_DEP_2)
	v_cmp_eq_u64_e32 vcc_lo, 0, v[10:11]
	v_and_or_b32 v10, v10, 7, v13
	s_and_b32 s11, s11, vcc_lo
	s_delay_alu instid0(VALU_DEP_1) | instid1(SALU_CYCLE_1)
	v_cndmask_b32_e64 v10, v10, 0, s11
	s_delay_alu instid0(VALU_DEP_1)
	v_or_b32_e32 v10, v10, v97
.LBB2_1002:                             ;   in Loop: Header=BB2_128 Depth=2
	s_or_b32 exec_lo, exec_lo, s43
                                        ; implicit-def: $vgpr97
.LBB2_1003:                             ;   in Loop: Header=BB2_128 Depth=2
	s_and_not1_saveexec_b32 s11, s42
; %bb.1004:                             ;   in Loop: Header=BB2_128 Depth=2
	v_or_b32_e32 v10, 0x7e, v97
; %bb.1005:                             ;   in Loop: Header=BB2_128 Depth=2
	s_or_b32 exec_lo, exec_lo, s11
                                        ; implicit-def: $vgpr12
.LBB2_1006:                             ;   in Loop: Header=BB2_128 Depth=2
	s_and_not1_saveexec_b32 s11, s12
	s_cbranch_execz .LBB2_127
; %bb.1007:                             ;   in Loop: Header=BB2_128 Depth=2
	v_or_b32_e32 v10, 0x7f, v12
	s_branch .LBB2_127
.LBB2_1008:                             ;   in Loop: Header=BB2_49 Depth=1
	s_or_b32 exec_lo, exec_lo, s29
.LBB2_1009:                             ;   in Loop: Header=BB2_49 Depth=1
	s_delay_alu instid0(SALU_CYCLE_1) | instskip(SKIP_3) | instid1(VALU_DEP_1)
	s_or_b32 exec_lo, exec_lo, s27
	v_and_b32_e32 v10, 15, v67
	s_mov_b32 s11, 0
	s_mov_b32 s12, exec_lo
                                        ; implicit-def: $vgpr30
	v_dual_cndmask_b32 v117, v69, v10, s10 :: v_dual_mov_b32 v69, 0
	s_delay_alu instid0(VALU_DEP_1)
	v_cmpx_ne_u32_e32 0, v117
	s_cbranch_execz .LBB2_1895
; %bb.1010:                             ;   in Loop: Header=BB2_49 Depth=1
	v_cmp_lt_i32_e32 vcc_lo, 0, v118
	s_mov_b32 s27, exec_lo
	v_cndmask_b32_e32 v10, 0, v36, vcc_lo
	s_delay_alu instid0(VALU_DEP_1) | instskip(NEXT) | instid1(VALU_DEP_1)
	v_sub_nc_u32_e32 v10, v10, v118
	v_lshl_or_b32 v10, v10, 5, v112
	s_delay_alu instid0(VALU_DEP_1) | instskip(NEXT) | instid1(VALU_DEP_1)
	v_ashrrev_i32_e32 v11, 31, v10
	v_lshrrev_b32_e32 v11, 27, v11
	s_delay_alu instid0(VALU_DEP_1) | instskip(NEXT) | instid1(VALU_DEP_1)
	v_add_nc_u32_e32 v11, v10, v11
	v_and_b32_e32 v12, 0xffffffe0, v11
	s_delay_alu instid0(VALU_DEP_1) | instskip(SKIP_1) | instid1(VALU_DEP_2)
	v_sub_nc_u32_e32 v118, v10, v12
	v_and_b32_e32 v12, 0x1f0, v67
	v_dual_lshlrev_b32 v10, 4, v118 :: v_dual_ashrrev_i32 v11, 5, v11
	s_delay_alu instid0(VALU_DEP_1) | instskip(NEXT) | instid1(VALU_DEP_3)
	v_lshl_add_u32 v10, v11, 9, v10
	v_dual_cndmask_b32 v12, 0, v12, s10 :: v_dual_sub_nc_u32 v119, 0, v11
	s_delay_alu instid0(VALU_DEP_2) | instskip(NEXT) | instid1(VALU_DEP_2)
	v_sub_nc_u32_e32 v40, v117, v10
	v_and_or_b32 v69, 0x3ffffe00, v67, v12
	s_delay_alu instid0(VALU_DEP_2)
	v_cmpx_lt_i32_e32 15, v40
	s_cbranch_execz .LBB2_1894
; %bb.1011:                             ;   in Loop: Header=BB2_49 Depth=1
	s_trap 2
	ds_load_b64 v[12:13], v0
	v_add_nc_u32_e32 v10, v10, v69
	s_delay_alu instid0(VALU_DEP_1) | instskip(NEXT) | instid1(VALU_DEP_1)
	v_ashrrev_i32_e32 v11, 31, v10
	v_add_nc_u64_e32 v[82:83], v[10:11], v[70:71]
	v_add_nc_u64_e32 v[84:85], v[10:11], v[80:81]
	s_wait_dscnt 0x0
	v_readfirstlane_b32 s10, v12
	v_readfirstlane_b32 s11, v13
	v_add_nc_u64_e32 v[86:87], v[12:13], v[10:11]
	s_and_b32 s28, s10, 7
	s_and_b32 s40, s10, 0x7f
	s_clz_i32_u32 s28, s28
	s_bfe_u32 s29, s10, 0x40003
	s_min_u32 s28, s28, 32
	s_delay_alu instid0(SALU_CYCLE_1)
	s_sub_co_i32 s41, s28, 28
	s_sub_co_i32 s28, 29, s28
	s_cmp_lt_u32 s40, 8
	s_cselect_b32 s42, s28, s29
	s_cselect_b32 s28, s41, 0
	s_lshl_b32 s41, s10, 24
	s_lshl_b64 s[28:29], s[10:11], s28
	s_and_b32 s11, s41, 0x80000000
	s_lshl_b32 s28, s28, 20
	s_lshl_b32 s29, s42, 23
	s_and_b32 s28, s28, 0x700000
	s_add_co_i32 s29, s29, 0x3c000000
	s_or_b32 s11, s28, s11
	s_mov_b32 s28, 0
	s_or_b32 s11, s29, s11
	s_cmp_lg_u32 s40, 0x7f
	s_cselect_b32 s29, s11, 0x7f800001
	s_and_b32 s40, s10, 0xff
	s_branch .LBB2_1013
.LBB2_1012:                             ;   in Loop: Header=BB2_1013 Depth=2
	s_or_b32 exec_lo, exec_lo, s10
	v_lshl_or_b32 v11, v101, 8, v100
	v_dual_lshlrev_b32 v12, 16, v61 :: v_dual_lshlrev_b32 v13, 24, v30
	v_lshl_or_b32 v30, v43, 8, v41
	v_dual_lshlrev_b32 v34, 16, v46 :: v_dual_lshlrev_b32 v97, 24, v57
	;; [unrolled: 2-line block ×3, first 2 shown]
	v_dual_lshlrev_b32 v42, 24, v10 :: v_dual_lshlrev_b32 v96, 16, v96
	v_lshl_or_b32 v98, v99, 8, v98
	v_or3_b32 v11, v11, v12, v13
	v_or3_b32 v10, v30, v34, v97
	;; [unrolled: 1-line block ×3, first 2 shown]
	v_sub_nc_u32_e32 v40, v40, v48
	v_or3_b32 v13, v98, v96, v42
	v_add_nc_u64_e32 v[82:83], v[82:83], v[48:49]
	v_add_nc_u64_e32 v[86:87], v[86:87], v[48:49]
	v_sub_nc_u32_e32 v119, v119, v36
	v_cmp_gt_i32_e32 vcc_lo, 16, v40
	global_store_b128 v[84:85], v[10:13], off th:TH_STORE_NT
	s_wait_xcnt 0x0
	v_add_nc_u64_e32 v[84:85], v[84:85], v[48:49]
	s_or_b32 s28, vcc_lo, s28
	s_delay_alu instid0(SALU_CYCLE_1)
	s_and_not1_b32 exec_lo, exec_lo, s28
	s_cbranch_execz .LBB2_1893
.LBB2_1013:                             ;   Parent Loop BB2_49 Depth=1
                                        ; =>  This Inner Loop Header: Depth=2
	s_cmp_lt_i32 s40, 0x80
	s_cbranch_scc1 .LBB2_1017
; %bb.1014:                             ;   in Loop: Header=BB2_1013 Depth=2
	s_and_b32 s10, 0xffff, s40
	s_delay_alu instid0(SALU_CYCLE_1)
	s_cmp_eq_u32 s10, 0x80
	s_mov_b32 s10, -1
	s_cbranch_scc0 .LBB2_1016
; %bb.1015:                             ;   in Loop: Header=BB2_1013 Depth=2
	s_mov_b32 s10, 0
.LBB2_1016:                             ;   in Loop: Header=BB2_1013 Depth=2
	s_brev_b32 s11, 1
	s_branch .LBB2_1019
.LBB2_1017:                             ;   in Loop: Header=BB2_1013 Depth=2
	s_mov_b32 s10, 0
	s_brev_b32 s11, 1
	s_cbranch_execz .LBB2_1019
; %bb.1018:                             ;   in Loop: Header=BB2_1013 Depth=2
	s_and_b32 s10, 0xffff, s40
	s_mov_b32 s11, 0
	s_cmp_lg_u32 s10, 0
	s_cselect_b32 s10, -1, 0
.LBB2_1019:                             ;   in Loop: Header=BB2_1013 Depth=2
	s_delay_alu instid0(SALU_CYCLE_1)
	s_and_not1_b32 vcc_lo, exec_lo, s10
	s_cbranch_vccnz .LBB2_1021
; %bb.1020:                             ;   in Loop: Header=BB2_1013 Depth=2
	s_mov_b32 s11, s29
.LBB2_1021:                             ;   in Loop: Header=BB2_1013 Depth=2
	global_load_b128 v[10:13], v[82:83], off th:TH_LOAD_NT
	v_mov_b32_e32 v30, 0
	s_mov_b32 s10, exec_lo
	s_wait_loadcnt 0x0
	v_and_b32_e32 v34, 0xff, v10
	s_wait_xcnt 0x0
	s_delay_alu instid0(VALU_DEP_1)
	v_cmpx_ne_u16_e32 0, v34
	s_cbranch_execz .LBB2_1027
; %bb.1022:                             ;   in Loop: Header=BB2_1013 Depth=2
	v_bfrev_b32_e32 v30, 1
	s_mov_b32 s41, exec_lo
	v_cmpx_ne_u16_e32 0x80, v34
	s_cbranch_execz .LBB2_1026
; %bb.1023:                             ;   in Loop: Header=BB2_1013 Depth=2
	v_and_b32_e32 v34, 0x7f, v10
	v_mov_b32_e32 v30, 0x7f800001
	s_mov_b32 s42, exec_lo
	s_delay_alu instid0(VALU_DEP_2)
	v_cmpx_ne_u32_e32 0x7f, v34
	s_cbranch_execz .LBB2_1025
; %bb.1024:                             ;   in Loop: Header=BB2_1013 Depth=2
	v_cmp_gt_u32_e32 vcc_lo, 8, v34
	v_and_b32_e32 v30, 7, v10
	v_lshrrev_b32_e32 v96, 3, v34
	s_delay_alu instid0(VALU_DEP_2) | instskip(NEXT) | instid1(VALU_DEP_1)
	v_clz_i32_u32_e32 v30, v30
	v_min_u32_e32 v30, 32, v30
	s_delay_alu instid0(VALU_DEP_1) | instskip(NEXT) | instid1(VALU_DEP_1)
	v_subrev_nc_u32_e32 v97, 28, v30
	v_dual_sub_nc_u32 v30, 29, v30 :: v_dual_cndmask_b32 v34, 0, v97, vcc_lo
	s_delay_alu instid0(VALU_DEP_1) | instskip(NEXT) | instid1(VALU_DEP_2)
	v_cndmask_b32_e32 v30, v96, v30, vcc_lo
	v_lshlrev_b64_e32 v[96:97], v34, v[10:11]
	v_lshlrev_b32_e32 v34, 24, v10
	s_delay_alu instid0(VALU_DEP_3) | instskip(NEXT) | instid1(VALU_DEP_2)
	v_lshl_add_u32 v30, v30, 23, 0x3c000000
	v_and_b32_e32 v34, 0x80000000, v34
	s_delay_alu instid0(VALU_DEP_4) | instskip(NEXT) | instid1(VALU_DEP_1)
	v_lshlrev_b32_e32 v96, 20, v96
	v_and_b32_e32 v96, 0x700000, v96
	s_delay_alu instid0(VALU_DEP_1)
	v_or3_b32 v30, v96, v34, v30
.LBB2_1025:                             ;   in Loop: Header=BB2_1013 Depth=2
	s_or_b32 exec_lo, exec_lo, s42
.LBB2_1026:                             ;   in Loop: Header=BB2_1013 Depth=2
	s_delay_alu instid0(SALU_CYCLE_1)
	s_or_b32 exec_lo, exec_lo, s41
.LBB2_1027:                             ;   in Loop: Header=BB2_1013 Depth=2
	s_delay_alu instid0(SALU_CYCLE_1) | instskip(NEXT) | instid1(VALU_DEP_1)
	s_or_b32 exec_lo, exec_lo, s10
	v_mul_f32_e32 v96, s11, v30
                                        ; implicit-def: $vgpr30
	s_mov_b32 s10, exec_lo
	s_delay_alu instid0(VALU_DEP_1) | instskip(SKIP_1) | instid1(VALU_DEP_2)
	v_and_b32_e32 v34, 0x7f800000, v96
	v_lshrrev_b32_e32 v97, 24, v96
	v_cmpx_ne_u64_e32 0x7f800000, v[34:35]
	s_xor_b32 s41, exec_lo, s10
	s_cbranch_execz .LBB2_1041
; %bb.1028:                             ;   in Loop: Header=BB2_1013 Depth=2
	v_and_b32_e32 v34, 0x7fffffff, v96
	v_and_b32_e32 v100, 0x80, v97
                                        ; implicit-def: $vgpr30
	s_mov_b32 s10, exec_lo
	s_delay_alu instid0(VALU_DEP_2)
	v_cmpx_gt_u64_e32 0x43e00001, v[34:35]
	s_xor_b32 s42, exec_lo, s10
	s_cbranch_execz .LBB2_1038
; %bb.1029:                             ;   in Loop: Header=BB2_1013 Depth=2
	v_mov_b32_e32 v30, 0
	s_mov_b32 s43, exec_lo
	v_cmpx_ne_u32_e32 0, v96
	s_cbranch_execz .LBB2_1037
; %bb.1030:                             ;   in Loop: Header=BB2_1013 Depth=2
	v_bfe_u32 v30, v96, 23, 8
	s_delay_alu instid0(VALU_DEP_1) | instskip(SKIP_1) | instid1(VALU_DEP_2)
	v_sub_nc_u32_e32 v34, 0x79, v30
	v_cmp_gt_u32_e32 vcc_lo, 0x7a, v30
	v_cndmask_b32_e32 v34, 0, v34, vcc_lo
	v_cmp_eq_u32_e32 vcc_lo, 0, v30
	s_delay_alu instid0(VALU_DEP_2) | instskip(SKIP_1) | instid1(VALU_DEP_2)
	v_cndmask_b32_e64 v101, v34, 0x78, vcc_lo
	v_and_b32_e32 v34, 0x7fffff, v96
	v_add_nc_u32_e32 v96, 20, v101
	s_delay_alu instid0(VALU_DEP_2) | instskip(SKIP_1) | instid1(VALU_DEP_3)
	v_or_b32_e32 v98, 0x800000, v34
	v_add_nc_u32_e32 v99, 19, v101
	v_lshlrev_b64_e64 v[96:97], v96, -1
	s_delay_alu instid0(VALU_DEP_3) | instskip(NEXT) | instid1(VALU_DEP_3)
	v_cndmask_b32_e32 v34, v98, v34, vcc_lo
	v_lshlrev_b64_e64 v[98:99], v99, 1
	s_delay_alu instid0(VALU_DEP_3) | instskip(NEXT) | instid1(VALU_DEP_3)
	v_bfi_b32 v43, v97, 0, 0
	v_bfi_b32 v42, v96, 0, v34
	v_lshrrev_b64 v[96:97], v101, v[34:35]
	s_delay_alu instid0(VALU_DEP_2) | instskip(NEXT) | instid1(VALU_DEP_2)
	v_cmp_eq_u64_e64 s10, v[42:43], v[98:99]
	v_mov_b64_e32 v[98:99], v[96:97]
	s_and_saveexec_b32 s44, s10
; %bb.1031:                             ;   in Loop: Header=BB2_1013 Depth=2
	v_bfe_u32 v34, v96, 20, 1
	s_delay_alu instid0(VALU_DEP_1) | instskip(NEXT) | instid1(VALU_DEP_1)
	v_add_nc_u64_e32 v[98:99], v[96:97], v[34:35]
	v_add_nc_u64_e32 v[98:99], -1, v[98:99]
; %bb.1032:                             ;   in Loop: Header=BB2_1013 Depth=2
	s_or_b32 exec_lo, exec_lo, s44
	v_add_nc_u32_e32 v30, 0xffffff81, v30
	v_lshrrev_b32_e32 v34, 23, v96
	s_mov_b32 s10, exec_lo
	s_delay_alu instid0(VALU_DEP_2) | instskip(NEXT) | instid1(VALU_DEP_1)
	v_cndmask_b32_e64 v30, v30, 0xffffff82, vcc_lo
	v_add3_u32 v99, v101, v30, v34
	v_and_b32_e32 v30, 0xfffff, v98
	s_delay_alu instid0(VALU_DEP_1) | instskip(NEXT) | instid1(VALU_DEP_1)
	v_dual_add_nc_u32 v98, 6, v99 :: v_dual_add_nc_u32 v34, v30, v96
                                        ; implicit-def: $vgpr96_vgpr97
                                        ; implicit-def: $vgpr30
	v_cmpx_ne_u32_e32 0, v98
	s_xor_b32 s10, exec_lo, s10
; %bb.1033:                             ;   in Loop: Header=BB2_1013 Depth=2
	s_delay_alu instid0(VALU_DEP_2) | instskip(SKIP_2) | instid1(VALU_DEP_2)
	v_cmp_lt_u64_e32 vcc_lo, 0xffffff, v[34:35]
	v_add_nc_u32_e32 v30, 7, v99
	v_cndmask_b32_e64 v96, 0, 1, vcc_lo
	v_cndmask_b32_e32 v30, v98, v30, vcc_lo
	s_delay_alu instid0(VALU_DEP_2)
	v_lshrrev_b64 v[96:97], v96, v[34:35]
; %bb.1034:                             ;   in Loop: Header=BB2_1013 Depth=2
	s_and_not1_saveexec_b32 s10, s10
; %bb.1035:                             ;   in Loop: Header=BB2_1013 Depth=2
	v_mov_b64_e32 v[96:97], v[34:35]
	v_bfe_u32 v30, v34, 23, 1
; %bb.1036:                             ;   in Loop: Header=BB2_1013 Depth=2
	s_or_b32 exec_lo, exec_lo, s10
	s_delay_alu instid0(VALU_DEP_2) | instskip(NEXT) | instid1(VALU_DEP_2)
	v_lshrrev_b64 v[96:97], 20, v[96:97]
	v_cmp_gt_i32_e32 vcc_lo, 16, v30
	v_min_i32_e32 v34, 15, v30
	v_cmp_eq_u32_e64 s10, 0, v30
	s_delay_alu instid0(VALU_DEP_2) | instskip(SKIP_1) | instid1(VALU_DEP_2)
	v_dual_cndmask_b32 v97, 0, v97 :: v_dual_lshlrev_b32 v34, 3, v34
	v_cndmask_b32_e32 v96, 7, v96, vcc_lo
	v_and_b32_e32 v34, 0xf8, v34
	s_delay_alu instid0(VALU_DEP_2) | instskip(NEXT) | instid1(VALU_DEP_2)
	v_cmp_eq_u64_e32 vcc_lo, 0, v[96:97]
	v_and_or_b32 v30, v96, 7, v34
	s_and_b32 s10, s10, vcc_lo
	s_delay_alu instid0(VALU_DEP_1) | instid1(SALU_CYCLE_1)
	v_cndmask_b32_e64 v30, v30, 0, s10
	s_delay_alu instid0(VALU_DEP_1)
	v_or_b32_e32 v30, v30, v100
.LBB2_1037:                             ;   in Loop: Header=BB2_1013 Depth=2
	s_or_b32 exec_lo, exec_lo, s43
                                        ; implicit-def: $vgpr100
.LBB2_1038:                             ;   in Loop: Header=BB2_1013 Depth=2
	s_and_not1_saveexec_b32 s10, s42
; %bb.1039:                             ;   in Loop: Header=BB2_1013 Depth=2
	v_or_b32_e32 v30, 0x7e, v100
; %bb.1040:                             ;   in Loop: Header=BB2_1013 Depth=2
	s_or_b32 exec_lo, exec_lo, s10
                                        ; implicit-def: $vgpr97
.LBB2_1041:                             ;   in Loop: Header=BB2_1013 Depth=2
	s_and_not1_saveexec_b32 s10, s41
; %bb.1042:                             ;   in Loop: Header=BB2_1013 Depth=2
	v_or_b32_e32 v30, 0x7f, v97
; %bb.1043:                             ;   in Loop: Header=BB2_1013 Depth=2
	s_or_b32 exec_lo, exec_lo, s10
	v_lshrrev_b16 v96, 8, v10
	v_mov_b32_e32 v34, 0
	s_mov_b32 s10, exec_lo
	s_delay_alu instid0(VALU_DEP_2)
	v_cmpx_ne_u16_e32 0, v96
	s_cbranch_execz .LBB2_1051
; %bb.1044:                             ;   in Loop: Header=BB2_1013 Depth=2
	v_bfrev_b32_e32 v34, 1
	s_mov_b32 s41, exec_lo
	v_cmpx_ne_u16_e32 0x80, v96
	s_cbranch_execz .LBB2_1050
; %bb.1045:                             ;   in Loop: Header=BB2_1013 Depth=2
	v_and_b32_e32 v96, 0xffff, v96
	v_mov_b32_e32 v34, 0x7f800001
	s_mov_b32 s42, exec_lo
	s_delay_alu instid0(VALU_DEP_2) | instskip(NEXT) | instid1(VALU_DEP_1)
	v_and_b32_e32 v97, 0x7f, v96
	v_cmpx_ne_u32_e32 0x7f, v97
	s_cbranch_execz .LBB2_1049
; %bb.1046:                             ;   in Loop: Header=BB2_1013 Depth=2
	v_dual_lshrrev_b32 v96, 3, v97 :: v_dual_bitop2_b32 v34, 7, v96 bitop3:0x40
	s_mov_b32 s43, exec_lo
	v_cmpx_gt_u32_e32 8, v97
; %bb.1047:                             ;   in Loop: Header=BB2_1013 Depth=2
	s_delay_alu instid0(VALU_DEP_2) | instskip(NEXT) | instid1(VALU_DEP_1)
	v_clz_i32_u32_e32 v96, v34
	v_min_u32_e32 v96, 32, v96
	s_delay_alu instid0(VALU_DEP_1) | instskip(NEXT) | instid1(VALU_DEP_1)
	v_subrev_nc_u32_e32 v97, 28, v96
	v_lshlrev_b64_e32 v[98:99], v97, v[34:35]
	s_delay_alu instid0(VALU_DEP_1)
	v_dual_sub_nc_u32 v96, 29, v96 :: v_dual_bitop2_b32 v34, 7, v98 bitop3:0x40
; %bb.1048:                             ;   in Loop: Header=BB2_1013 Depth=2
	s_or_b32 exec_lo, exec_lo, s43
	v_lshlrev_b32_e32 v97, 16, v10
	s_delay_alu instid0(VALU_DEP_2) | instskip(NEXT) | instid1(VALU_DEP_3)
	v_lshlrev_b32_e32 v34, 20, v34
	v_lshl_add_u32 v96, v96, 23, 0x3c000000
	s_delay_alu instid0(VALU_DEP_3) | instskip(NEXT) | instid1(VALU_DEP_1)
	v_and_b32_e32 v97, 0x80000000, v97
	v_or3_b32 v34, v34, v97, v96
.LBB2_1049:                             ;   in Loop: Header=BB2_1013 Depth=2
	s_or_b32 exec_lo, exec_lo, s42
.LBB2_1050:                             ;   in Loop: Header=BB2_1013 Depth=2
	s_delay_alu instid0(SALU_CYCLE_1)
	s_or_b32 exec_lo, exec_lo, s41
.LBB2_1051:                             ;   in Loop: Header=BB2_1013 Depth=2
	s_delay_alu instid0(SALU_CYCLE_1) | instskip(NEXT) | instid1(VALU_DEP_1)
	s_or_b32 exec_lo, exec_lo, s10
	v_mul_f32_e32 v96, s11, v34
                                        ; implicit-def: $vgpr41
	s_mov_b32 s10, exec_lo
	s_delay_alu instid0(VALU_DEP_1) | instskip(SKIP_1) | instid1(VALU_DEP_2)
	v_and_b32_e32 v34, 0x7f800000, v96
	v_lshrrev_b32_e32 v97, 24, v96
	v_cmpx_ne_u64_e32 0x7f800000, v[34:35]
	s_xor_b32 s41, exec_lo, s10
	s_cbranch_execz .LBB2_1065
; %bb.1052:                             ;   in Loop: Header=BB2_1013 Depth=2
	v_and_b32_e32 v34, 0x7fffffff, v96
	v_and_b32_e32 v100, 0x80, v97
                                        ; implicit-def: $vgpr41
	s_mov_b32 s10, exec_lo
	s_delay_alu instid0(VALU_DEP_2)
	v_cmpx_gt_u64_e32 0x43e00001, v[34:35]
	s_xor_b32 s42, exec_lo, s10
	s_cbranch_execz .LBB2_1062
; %bb.1053:                             ;   in Loop: Header=BB2_1013 Depth=2
	v_mov_b32_e32 v41, 0
	s_mov_b32 s43, exec_lo
	v_cmpx_ne_u32_e32 0, v96
	s_cbranch_execz .LBB2_1061
; %bb.1054:                             ;   in Loop: Header=BB2_1013 Depth=2
	v_bfe_u32 v101, v96, 23, 8
	s_delay_alu instid0(VALU_DEP_1) | instskip(SKIP_1) | instid1(VALU_DEP_2)
	v_sub_nc_u32_e32 v34, 0x79, v101
	v_cmp_gt_u32_e32 vcc_lo, 0x7a, v101
	v_cndmask_b32_e32 v34, 0, v34, vcc_lo
	v_cmp_eq_u32_e32 vcc_lo, 0, v101
	s_delay_alu instid0(VALU_DEP_2) | instskip(SKIP_1) | instid1(VALU_DEP_2)
	v_cndmask_b32_e64 v41, v34, 0x78, vcc_lo
	v_and_b32_e32 v34, 0x7fffff, v96
	v_add_nc_u32_e32 v96, 20, v41
	s_delay_alu instid0(VALU_DEP_2) | instskip(SKIP_1) | instid1(VALU_DEP_3)
	v_or_b32_e32 v98, 0x800000, v34
	v_add_nc_u32_e32 v99, 19, v41
	v_lshlrev_b64_e64 v[96:97], v96, -1
	s_delay_alu instid0(VALU_DEP_3) | instskip(NEXT) | instid1(VALU_DEP_3)
	v_cndmask_b32_e32 v34, v98, v34, vcc_lo
	v_lshlrev_b64_e64 v[98:99], v99, 1
	s_delay_alu instid0(VALU_DEP_3) | instskip(NEXT) | instid1(VALU_DEP_3)
	v_bfi_b32 v43, v97, 0, 0
	v_bfi_b32 v42, v96, 0, v34
	v_lshrrev_b64 v[96:97], v41, v[34:35]
	s_delay_alu instid0(VALU_DEP_2) | instskip(NEXT) | instid1(VALU_DEP_2)
	v_cmp_eq_u64_e64 s10, v[42:43], v[98:99]
	v_mov_b64_e32 v[98:99], v[96:97]
	s_and_saveexec_b32 s44, s10
; %bb.1055:                             ;   in Loop: Header=BB2_1013 Depth=2
	v_bfe_u32 v34, v96, 20, 1
	s_delay_alu instid0(VALU_DEP_1) | instskip(NEXT) | instid1(VALU_DEP_1)
	v_add_nc_u64_e32 v[98:99], v[96:97], v[34:35]
	v_add_nc_u64_e32 v[98:99], -1, v[98:99]
; %bb.1056:                             ;   in Loop: Header=BB2_1013 Depth=2
	s_or_b32 exec_lo, exec_lo, s44
	v_add_nc_u32_e32 v34, 0xffffff81, v101
	v_lshrrev_b32_e32 v97, 23, v96
	s_mov_b32 s10, exec_lo
	s_delay_alu instid0(VALU_DEP_2) | instskip(NEXT) | instid1(VALU_DEP_1)
	v_cndmask_b32_e64 v34, v34, 0xffffff82, vcc_lo
	v_add3_u32 v99, v41, v34, v97
	v_and_b32_e32 v34, 0xfffff, v98
                                        ; implicit-def: $vgpr98
	s_delay_alu instid0(VALU_DEP_1) | instskip(NEXT) | instid1(VALU_DEP_1)
	v_dual_add_nc_u32 v101, 6, v99 :: v_dual_add_nc_u32 v34, v34, v96
                                        ; implicit-def: $vgpr96_vgpr97
	v_cmpx_ne_u32_e32 0, v101
	s_xor_b32 s10, exec_lo, s10
; %bb.1057:                             ;   in Loop: Header=BB2_1013 Depth=2
	s_delay_alu instid0(VALU_DEP_2) | instskip(SKIP_1) | instid1(VALU_DEP_1)
	v_cmp_lt_u64_e32 vcc_lo, 0xffffff, v[34:35]
	v_add_nc_u32_e32 v96, 7, v99
	v_cndmask_b32_e32 v98, v101, v96, vcc_lo
	v_cndmask_b32_e64 v96, 0, 1, vcc_lo
	s_delay_alu instid0(VALU_DEP_1)
	v_lshrrev_b64 v[96:97], v96, v[34:35]
; %bb.1058:                             ;   in Loop: Header=BB2_1013 Depth=2
	s_and_not1_saveexec_b32 s10, s10
; %bb.1059:                             ;   in Loop: Header=BB2_1013 Depth=2
	v_mov_b64_e32 v[96:97], v[34:35]
	v_bfe_u32 v98, v34, 23, 1
; %bb.1060:                             ;   in Loop: Header=BB2_1013 Depth=2
	s_or_b32 exec_lo, exec_lo, s10
	s_delay_alu instid0(VALU_DEP_2) | instskip(NEXT) | instid1(VALU_DEP_2)
	v_lshrrev_b64 v[96:97], 20, v[96:97]
	v_cmp_gt_i32_e32 vcc_lo, 16, v98
	v_min_i32_e32 v34, 15, v98
	v_cmp_eq_u32_e64 s10, 0, v98
	s_delay_alu instid0(VALU_DEP_2) | instskip(SKIP_1) | instid1(VALU_DEP_2)
	v_dual_cndmask_b32 v97, 0, v97 :: v_dual_lshlrev_b32 v34, 3, v34
	v_cndmask_b32_e32 v96, 7, v96, vcc_lo
	v_and_b32_e32 v34, 0xf8, v34
	s_delay_alu instid0(VALU_DEP_2) | instskip(NEXT) | instid1(VALU_DEP_2)
	v_cmp_eq_u64_e32 vcc_lo, 0, v[96:97]
	v_and_or_b32 v34, v96, 7, v34
	s_and_b32 s10, s10, vcc_lo
	s_delay_alu instid0(VALU_DEP_1) | instid1(SALU_CYCLE_1)
	v_cndmask_b32_e64 v34, v34, 0, s10
	s_delay_alu instid0(VALU_DEP_1)
	v_or_b32_e32 v41, v34, v100
.LBB2_1061:                             ;   in Loop: Header=BB2_1013 Depth=2
	s_or_b32 exec_lo, exec_lo, s43
                                        ; implicit-def: $vgpr100
.LBB2_1062:                             ;   in Loop: Header=BB2_1013 Depth=2
	s_and_not1_saveexec_b32 s10, s42
; %bb.1063:                             ;   in Loop: Header=BB2_1013 Depth=2
	v_or_b32_e32 v41, 0x7e, v100
; %bb.1064:                             ;   in Loop: Header=BB2_1013 Depth=2
	s_or_b32 exec_lo, exec_lo, s10
                                        ; implicit-def: $vgpr97
.LBB2_1065:                             ;   in Loop: Header=BB2_1013 Depth=2
	s_and_not1_saveexec_b32 s10, s41
; %bb.1066:                             ;   in Loop: Header=BB2_1013 Depth=2
	v_or_b32_e32 v41, 0x7f, v97
; %bb.1067:                             ;   in Loop: Header=BB2_1013 Depth=2
	s_or_b32 exec_lo, exec_lo, s10
	v_dual_lshrrev_b32 v96, 16, v10 :: v_dual_mov_b32 v34, 0
	s_mov_b32 s10, exec_lo
	s_delay_alu instid0(VALU_DEP_1) | instskip(NEXT) | instid1(VALU_DEP_1)
	v_and_b32_e32 v97, 0xff, v96
	v_cmpx_ne_u16_e32 0, v97
	s_cbranch_execz .LBB2_1075
; %bb.1068:                             ;   in Loop: Header=BB2_1013 Depth=2
	v_bfrev_b32_e32 v34, 1
	s_mov_b32 s41, exec_lo
	v_cmpx_ne_u16_e32 0x80, v97
	s_cbranch_execz .LBB2_1074
; %bb.1069:                             ;   in Loop: Header=BB2_1013 Depth=2
	v_bfe_u32 v98, v10, 16, 7
	v_mov_b32_e32 v34, 0x7f800001
	s_mov_b32 s42, exec_lo
	s_delay_alu instid0(VALU_DEP_2)
	v_cmpx_ne_u32_e32 0x7f, v98
	s_cbranch_execz .LBB2_1073
; %bb.1070:                             ;   in Loop: Header=BB2_1013 Depth=2
	v_dual_lshrrev_b32 v97, 3, v98 :: v_dual_bitop2_b32 v34, 7, v96 bitop3:0x40
	s_mov_b32 s43, exec_lo
	v_cmpx_gt_u32_e32 8, v98
; %bb.1071:                             ;   in Loop: Header=BB2_1013 Depth=2
	s_delay_alu instid0(VALU_DEP_2) | instskip(NEXT) | instid1(VALU_DEP_1)
	v_clz_i32_u32_e32 v97, v34
	v_min_u32_e32 v97, 32, v97
	s_delay_alu instid0(VALU_DEP_1) | instskip(NEXT) | instid1(VALU_DEP_1)
	v_subrev_nc_u32_e32 v98, 28, v97
	v_lshlrev_b64_e32 v[98:99], v98, v[34:35]
	s_delay_alu instid0(VALU_DEP_1)
	v_dual_sub_nc_u32 v97, 29, v97 :: v_dual_bitop2_b32 v34, 7, v98 bitop3:0x40
; %bb.1072:                             ;   in Loop: Header=BB2_1013 Depth=2
	s_or_b32 exec_lo, exec_lo, s43
	s_delay_alu instid0(VALU_DEP_1) | instskip(NEXT) | instid1(VALU_DEP_2)
	v_dual_lshlrev_b32 v96, 24, v96 :: v_dual_lshlrev_b32 v34, 20, v34
	v_lshl_add_u32 v97, v97, 23, 0x3c000000
	s_delay_alu instid0(VALU_DEP_2) | instskip(NEXT) | instid1(VALU_DEP_1)
	v_and_b32_e32 v96, 0x80000000, v96
	v_or3_b32 v34, v34, v96, v97
.LBB2_1073:                             ;   in Loop: Header=BB2_1013 Depth=2
	s_or_b32 exec_lo, exec_lo, s42
.LBB2_1074:                             ;   in Loop: Header=BB2_1013 Depth=2
	s_delay_alu instid0(SALU_CYCLE_1)
	s_or_b32 exec_lo, exec_lo, s41
.LBB2_1075:                             ;   in Loop: Header=BB2_1013 Depth=2
	s_delay_alu instid0(SALU_CYCLE_1) | instskip(NEXT) | instid1(VALU_DEP_1)
	s_or_b32 exec_lo, exec_lo, s10
	v_mul_f32_e32 v96, s11, v34
                                        ; implicit-def: $vgpr43
	s_mov_b32 s10, exec_lo
	s_delay_alu instid0(VALU_DEP_1) | instskip(SKIP_1) | instid1(VALU_DEP_2)
	v_and_b32_e32 v34, 0x7f800000, v96
	v_lshrrev_b32_e32 v97, 24, v96
	v_cmpx_ne_u64_e32 0x7f800000, v[34:35]
	s_xor_b32 s41, exec_lo, s10
	s_cbranch_execz .LBB2_1089
; %bb.1076:                             ;   in Loop: Header=BB2_1013 Depth=2
	v_and_b32_e32 v34, 0x7fffffff, v96
	v_and_b32_e32 v100, 0x80, v97
                                        ; implicit-def: $vgpr43
	s_mov_b32 s10, exec_lo
	s_delay_alu instid0(VALU_DEP_2)
	v_cmpx_gt_u64_e32 0x43e00001, v[34:35]
	s_xor_b32 s42, exec_lo, s10
	s_cbranch_execz .LBB2_1086
; %bb.1077:                             ;   in Loop: Header=BB2_1013 Depth=2
	v_mov_b32_e32 v43, 0
	s_mov_b32 s43, exec_lo
	v_cmpx_ne_u32_e32 0, v96
	s_cbranch_execz .LBB2_1085
; %bb.1078:                             ;   in Loop: Header=BB2_1013 Depth=2
	v_bfe_u32 v101, v96, 23, 8
	s_delay_alu instid0(VALU_DEP_1) | instskip(SKIP_1) | instid1(VALU_DEP_2)
	v_sub_nc_u32_e32 v34, 0x79, v101
	v_cmp_gt_u32_e32 vcc_lo, 0x7a, v101
	v_cndmask_b32_e32 v34, 0, v34, vcc_lo
	v_cmp_eq_u32_e32 vcc_lo, 0, v101
	s_delay_alu instid0(VALU_DEP_2) | instskip(SKIP_1) | instid1(VALU_DEP_2)
	v_cndmask_b32_e64 v42, v34, 0x78, vcc_lo
	v_and_b32_e32 v34, 0x7fffff, v96
	v_dual_add_nc_u32 v96, 20, v42 :: v_dual_add_nc_u32 v99, 19, v42
	s_delay_alu instid0(VALU_DEP_2) | instskip(NEXT) | instid1(VALU_DEP_2)
	v_or_b32_e32 v98, 0x800000, v34
	v_lshlrev_b64_e64 v[96:97], v96, -1
	s_delay_alu instid0(VALU_DEP_2) | instskip(NEXT) | instid1(VALU_DEP_4)
	v_cndmask_b32_e32 v34, v98, v34, vcc_lo
	v_lshlrev_b64_e64 v[98:99], v99, 1
	s_delay_alu instid0(VALU_DEP_3) | instskip(NEXT) | instid1(VALU_DEP_3)
	v_bfi_b32 v45, v97, 0, 0
	v_bfi_b32 v44, v96, 0, v34
	v_lshrrev_b64 v[96:97], v42, v[34:35]
	s_delay_alu instid0(VALU_DEP_2) | instskip(NEXT) | instid1(VALU_DEP_2)
	v_cmp_eq_u64_e64 s10, v[44:45], v[98:99]
	v_mov_b64_e32 v[98:99], v[96:97]
	s_and_saveexec_b32 s44, s10
; %bb.1079:                             ;   in Loop: Header=BB2_1013 Depth=2
	v_bfe_u32 v34, v96, 20, 1
	s_delay_alu instid0(VALU_DEP_1) | instskip(NEXT) | instid1(VALU_DEP_1)
	v_add_nc_u64_e32 v[98:99], v[96:97], v[34:35]
	v_add_nc_u64_e32 v[98:99], -1, v[98:99]
; %bb.1080:                             ;   in Loop: Header=BB2_1013 Depth=2
	s_or_b32 exec_lo, exec_lo, s44
	v_add_nc_u32_e32 v34, 0xffffff81, v101
	v_lshrrev_b32_e32 v97, 23, v96
	s_mov_b32 s10, exec_lo
	s_delay_alu instid0(VALU_DEP_2) | instskip(NEXT) | instid1(VALU_DEP_1)
	v_cndmask_b32_e64 v34, v34, 0xffffff82, vcc_lo
	v_add3_u32 v99, v42, v34, v97
	v_and_b32_e32 v34, 0xfffff, v98
                                        ; implicit-def: $vgpr98
	s_delay_alu instid0(VALU_DEP_1) | instskip(NEXT) | instid1(VALU_DEP_1)
	v_dual_add_nc_u32 v101, 6, v99 :: v_dual_add_nc_u32 v34, v34, v96
                                        ; implicit-def: $vgpr96_vgpr97
	v_cmpx_ne_u32_e32 0, v101
	s_xor_b32 s10, exec_lo, s10
; %bb.1081:                             ;   in Loop: Header=BB2_1013 Depth=2
	s_delay_alu instid0(VALU_DEP_2) | instskip(SKIP_1) | instid1(VALU_DEP_1)
	v_cmp_lt_u64_e32 vcc_lo, 0xffffff, v[34:35]
	v_add_nc_u32_e32 v96, 7, v99
	v_cndmask_b32_e32 v98, v101, v96, vcc_lo
	v_cndmask_b32_e64 v96, 0, 1, vcc_lo
	s_delay_alu instid0(VALU_DEP_1)
	v_lshrrev_b64 v[96:97], v96, v[34:35]
; %bb.1082:                             ;   in Loop: Header=BB2_1013 Depth=2
	s_and_not1_saveexec_b32 s10, s10
; %bb.1083:                             ;   in Loop: Header=BB2_1013 Depth=2
	v_mov_b64_e32 v[96:97], v[34:35]
	v_bfe_u32 v98, v34, 23, 1
; %bb.1084:                             ;   in Loop: Header=BB2_1013 Depth=2
	s_or_b32 exec_lo, exec_lo, s10
	s_delay_alu instid0(VALU_DEP_2) | instskip(NEXT) | instid1(VALU_DEP_2)
	v_lshrrev_b64 v[96:97], 20, v[96:97]
	v_cmp_gt_i32_e32 vcc_lo, 16, v98
	v_min_i32_e32 v34, 15, v98
	v_cmp_eq_u32_e64 s10, 0, v98
	s_delay_alu instid0(VALU_DEP_2) | instskip(SKIP_1) | instid1(VALU_DEP_2)
	v_dual_cndmask_b32 v97, 0, v97 :: v_dual_lshlrev_b32 v34, 3, v34
	v_cndmask_b32_e32 v96, 7, v96, vcc_lo
	v_and_b32_e32 v34, 0xf8, v34
	s_delay_alu instid0(VALU_DEP_2) | instskip(NEXT) | instid1(VALU_DEP_2)
	v_cmp_eq_u64_e32 vcc_lo, 0, v[96:97]
	v_and_or_b32 v34, v96, 7, v34
	s_and_b32 s10, s10, vcc_lo
	s_delay_alu instid0(VALU_DEP_1) | instid1(SALU_CYCLE_1)
	v_cndmask_b32_e64 v34, v34, 0, s10
	s_delay_alu instid0(VALU_DEP_1)
	v_or_b32_e32 v43, v34, v100
.LBB2_1085:                             ;   in Loop: Header=BB2_1013 Depth=2
	s_or_b32 exec_lo, exec_lo, s43
                                        ; implicit-def: $vgpr100
.LBB2_1086:                             ;   in Loop: Header=BB2_1013 Depth=2
	s_and_not1_saveexec_b32 s10, s42
; %bb.1087:                             ;   in Loop: Header=BB2_1013 Depth=2
	v_or_b32_e32 v43, 0x7e, v100
; %bb.1088:                             ;   in Loop: Header=BB2_1013 Depth=2
	s_or_b32 exec_lo, exec_lo, s10
                                        ; implicit-def: $vgpr97
.LBB2_1089:                             ;   in Loop: Header=BB2_1013 Depth=2
	s_and_not1_saveexec_b32 s10, s41
; %bb.1090:                             ;   in Loop: Header=BB2_1013 Depth=2
	v_or_b32_e32 v43, 0x7f, v97
; %bb.1091:                             ;   in Loop: Header=BB2_1013 Depth=2
	s_or_b32 exec_lo, exec_lo, s10
	v_mov_b32_e32 v34, 0
	s_mov_b32 s10, exec_lo
	v_cmpx_lt_u32_e32 0xffffff, v10
	s_cbranch_execz .LBB2_1099
; %bb.1092:                             ;   in Loop: Header=BB2_1013 Depth=2
	v_lshrrev_b32_e32 v96, 24, v10
	v_bfrev_b32_e32 v34, 1
	s_mov_b32 s41, exec_lo
	s_delay_alu instid0(VALU_DEP_2)
	v_cmpx_ne_u32_e32 0x80, v96
	s_cbranch_execz .LBB2_1098
; %bb.1093:                             ;   in Loop: Header=BB2_1013 Depth=2
	v_bfe_u32 v98, v10, 24, 7
	v_mov_b32_e32 v34, 0x7f800001
	s_mov_b32 s42, exec_lo
	s_delay_alu instid0(VALU_DEP_2)
	v_cmpx_ne_u32_e32 0x7f, v98
	s_cbranch_execz .LBB2_1097
; %bb.1094:                             ;   in Loop: Header=BB2_1013 Depth=2
	v_dual_lshrrev_b32 v97, 3, v98 :: v_dual_bitop2_b32 v34, 7, v96 bitop3:0x40
	s_mov_b32 s43, exec_lo
	v_cmpx_gt_u32_e32 8, v98
; %bb.1095:                             ;   in Loop: Header=BB2_1013 Depth=2
	s_delay_alu instid0(VALU_DEP_2) | instskip(NEXT) | instid1(VALU_DEP_1)
	v_clz_i32_u32_e32 v97, v34
	v_min_u32_e32 v97, 32, v97
	s_delay_alu instid0(VALU_DEP_1) | instskip(NEXT) | instid1(VALU_DEP_1)
	v_subrev_nc_u32_e32 v98, 28, v97
	v_lshlrev_b64_e32 v[98:99], v98, v[34:35]
	s_delay_alu instid0(VALU_DEP_1)
	v_dual_sub_nc_u32 v97, 29, v97 :: v_dual_bitop2_b32 v34, 7, v98 bitop3:0x40
; %bb.1096:                             ;   in Loop: Header=BB2_1013 Depth=2
	s_or_b32 exec_lo, exec_lo, s43
	s_delay_alu instid0(VALU_DEP_1) | instskip(NEXT) | instid1(VALU_DEP_2)
	v_dual_lshlrev_b32 v96, 24, v96 :: v_dual_lshlrev_b32 v34, 20, v34
	v_lshl_add_u32 v97, v97, 23, 0x3c000000
	s_delay_alu instid0(VALU_DEP_2) | instskip(NEXT) | instid1(VALU_DEP_1)
	v_and_b32_e32 v96, 0x80000000, v96
	v_or3_b32 v34, v34, v96, v97
.LBB2_1097:                             ;   in Loop: Header=BB2_1013 Depth=2
	s_or_b32 exec_lo, exec_lo, s42
.LBB2_1098:                             ;   in Loop: Header=BB2_1013 Depth=2
	s_delay_alu instid0(SALU_CYCLE_1)
	s_or_b32 exec_lo, exec_lo, s41
.LBB2_1099:                             ;   in Loop: Header=BB2_1013 Depth=2
	s_delay_alu instid0(SALU_CYCLE_1) | instskip(NEXT) | instid1(VALU_DEP_1)
	s_or_b32 exec_lo, exec_lo, s10
	v_mul_f32_e32 v96, s11, v34
                                        ; implicit-def: $vgpr46
	s_mov_b32 s10, exec_lo
	s_delay_alu instid0(VALU_DEP_1) | instskip(SKIP_1) | instid1(VALU_DEP_2)
	v_and_b32_e32 v34, 0x7f800000, v96
	v_lshrrev_b32_e32 v97, 24, v96
	v_cmpx_ne_u64_e32 0x7f800000, v[34:35]
	s_xor_b32 s41, exec_lo, s10
	s_cbranch_execz .LBB2_1113
; %bb.1100:                             ;   in Loop: Header=BB2_1013 Depth=2
	v_and_b32_e32 v34, 0x7fffffff, v96
	v_and_b32_e32 v100, 0x80, v97
                                        ; implicit-def: $vgpr46
	s_mov_b32 s10, exec_lo
	s_delay_alu instid0(VALU_DEP_2)
	v_cmpx_gt_u64_e32 0x43e00001, v[34:35]
	s_xor_b32 s42, exec_lo, s10
	s_cbranch_execz .LBB2_1110
; %bb.1101:                             ;   in Loop: Header=BB2_1013 Depth=2
	v_mov_b32_e32 v46, 0
	s_mov_b32 s43, exec_lo
	v_cmpx_ne_u32_e32 0, v96
	s_cbranch_execz .LBB2_1109
; %bb.1102:                             ;   in Loop: Header=BB2_1013 Depth=2
	v_bfe_u32 v101, v96, 23, 8
	s_delay_alu instid0(VALU_DEP_1) | instskip(SKIP_1) | instid1(VALU_DEP_2)
	v_sub_nc_u32_e32 v34, 0x79, v101
	v_cmp_gt_u32_e32 vcc_lo, 0x7a, v101
	v_cndmask_b32_e32 v34, 0, v34, vcc_lo
	v_cmp_eq_u32_e32 vcc_lo, 0, v101
	s_delay_alu instid0(VALU_DEP_2) | instskip(SKIP_1) | instid1(VALU_DEP_2)
	v_cndmask_b32_e64 v42, v34, 0x78, vcc_lo
	v_and_b32_e32 v34, 0x7fffff, v96
	v_dual_add_nc_u32 v96, 20, v42 :: v_dual_add_nc_u32 v99, 19, v42
	s_delay_alu instid0(VALU_DEP_2) | instskip(NEXT) | instid1(VALU_DEP_2)
	v_or_b32_e32 v98, 0x800000, v34
	v_lshlrev_b64_e64 v[96:97], v96, -1
	s_delay_alu instid0(VALU_DEP_2) | instskip(NEXT) | instid1(VALU_DEP_4)
	v_cndmask_b32_e32 v34, v98, v34, vcc_lo
	v_lshlrev_b64_e64 v[98:99], v99, 1
	s_delay_alu instid0(VALU_DEP_3) | instskip(NEXT) | instid1(VALU_DEP_3)
	v_bfi_b32 v45, v97, 0, 0
	v_bfi_b32 v44, v96, 0, v34
	v_lshrrev_b64 v[96:97], v42, v[34:35]
	s_delay_alu instid0(VALU_DEP_2) | instskip(NEXT) | instid1(VALU_DEP_2)
	v_cmp_eq_u64_e64 s10, v[44:45], v[98:99]
	v_mov_b64_e32 v[98:99], v[96:97]
	s_and_saveexec_b32 s44, s10
; %bb.1103:                             ;   in Loop: Header=BB2_1013 Depth=2
	v_bfe_u32 v34, v96, 20, 1
	s_delay_alu instid0(VALU_DEP_1) | instskip(NEXT) | instid1(VALU_DEP_1)
	v_add_nc_u64_e32 v[98:99], v[96:97], v[34:35]
	v_add_nc_u64_e32 v[98:99], -1, v[98:99]
; %bb.1104:                             ;   in Loop: Header=BB2_1013 Depth=2
	s_or_b32 exec_lo, exec_lo, s44
	v_add_nc_u32_e32 v34, 0xffffff81, v101
	v_lshrrev_b32_e32 v97, 23, v96
	s_mov_b32 s10, exec_lo
	s_delay_alu instid0(VALU_DEP_2) | instskip(NEXT) | instid1(VALU_DEP_1)
	v_cndmask_b32_e64 v34, v34, 0xffffff82, vcc_lo
	v_add3_u32 v99, v42, v34, v97
	v_and_b32_e32 v34, 0xfffff, v98
                                        ; implicit-def: $vgpr98
	s_delay_alu instid0(VALU_DEP_1) | instskip(NEXT) | instid1(VALU_DEP_1)
	v_dual_add_nc_u32 v101, 6, v99 :: v_dual_add_nc_u32 v34, v34, v96
                                        ; implicit-def: $vgpr96_vgpr97
	v_cmpx_ne_u32_e32 0, v101
	s_xor_b32 s10, exec_lo, s10
; %bb.1105:                             ;   in Loop: Header=BB2_1013 Depth=2
	s_delay_alu instid0(VALU_DEP_2) | instskip(SKIP_1) | instid1(VALU_DEP_1)
	v_cmp_lt_u64_e32 vcc_lo, 0xffffff, v[34:35]
	v_add_nc_u32_e32 v96, 7, v99
	v_cndmask_b32_e32 v98, v101, v96, vcc_lo
	v_cndmask_b32_e64 v96, 0, 1, vcc_lo
	s_delay_alu instid0(VALU_DEP_1)
	v_lshrrev_b64 v[96:97], v96, v[34:35]
; %bb.1106:                             ;   in Loop: Header=BB2_1013 Depth=2
	s_and_not1_saveexec_b32 s10, s10
; %bb.1107:                             ;   in Loop: Header=BB2_1013 Depth=2
	v_mov_b64_e32 v[96:97], v[34:35]
	v_bfe_u32 v98, v34, 23, 1
; %bb.1108:                             ;   in Loop: Header=BB2_1013 Depth=2
	s_or_b32 exec_lo, exec_lo, s10
	s_delay_alu instid0(VALU_DEP_2) | instskip(NEXT) | instid1(VALU_DEP_2)
	v_lshrrev_b64 v[96:97], 20, v[96:97]
	v_cmp_gt_i32_e32 vcc_lo, 16, v98
	v_min_i32_e32 v34, 15, v98
	v_cmp_eq_u32_e64 s10, 0, v98
	s_delay_alu instid0(VALU_DEP_2) | instskip(SKIP_1) | instid1(VALU_DEP_2)
	v_dual_cndmask_b32 v97, 0, v97 :: v_dual_lshlrev_b32 v34, 3, v34
	v_cndmask_b32_e32 v96, 7, v96, vcc_lo
	v_and_b32_e32 v34, 0xf8, v34
	s_delay_alu instid0(VALU_DEP_2) | instskip(NEXT) | instid1(VALU_DEP_2)
	v_cmp_eq_u64_e32 vcc_lo, 0, v[96:97]
	v_and_or_b32 v34, v96, 7, v34
	s_and_b32 s10, s10, vcc_lo
	s_delay_alu instid0(VALU_DEP_1) | instid1(SALU_CYCLE_1)
	v_cndmask_b32_e64 v34, v34, 0, s10
	s_delay_alu instid0(VALU_DEP_1)
	v_or_b32_e32 v46, v34, v100
.LBB2_1109:                             ;   in Loop: Header=BB2_1013 Depth=2
	s_or_b32 exec_lo, exec_lo, s43
                                        ; implicit-def: $vgpr100
.LBB2_1110:                             ;   in Loop: Header=BB2_1013 Depth=2
	s_and_not1_saveexec_b32 s10, s42
; %bb.1111:                             ;   in Loop: Header=BB2_1013 Depth=2
	v_or_b32_e32 v46, 0x7e, v100
; %bb.1112:                             ;   in Loop: Header=BB2_1013 Depth=2
	s_or_b32 exec_lo, exec_lo, s10
                                        ; implicit-def: $vgpr97
.LBB2_1113:                             ;   in Loop: Header=BB2_1013 Depth=2
	s_and_not1_saveexec_b32 s10, s41
; %bb.1114:                             ;   in Loop: Header=BB2_1013 Depth=2
	v_or_b32_e32 v46, 0x7f, v97
; %bb.1115:                             ;   in Loop: Header=BB2_1013 Depth=2
	s_or_b32 exec_lo, exec_lo, s10
	v_and_b32_e32 v97, 0xff, v11
	v_dual_mov_b32 v34, v11 :: v_dual_mov_b32 v96, 0
	s_mov_b32 s10, exec_lo
	s_delay_alu instid0(VALU_DEP_2)
	v_cmpx_ne_u16_e32 0, v97
	s_cbranch_execz .LBB2_1121
; %bb.1116:                             ;   in Loop: Header=BB2_1013 Depth=2
	v_bfrev_b32_e32 v96, 1
	s_mov_b32 s41, exec_lo
	v_cmpx_ne_u16_e32 0x80, v97
	s_cbranch_execz .LBB2_1120
; %bb.1117:                             ;   in Loop: Header=BB2_1013 Depth=2
	v_and_b32_e32 v97, 0x7f, v11
	v_mov_b32_e32 v96, 0x7f800001
	s_mov_b32 s42, exec_lo
	s_delay_alu instid0(VALU_DEP_2)
	v_cmpx_ne_u32_e32 0x7f, v97
	s_cbranch_execz .LBB2_1119
; %bb.1118:                             ;   in Loop: Header=BB2_1013 Depth=2
	v_dual_lshrrev_b32 v98, 3, v97 :: v_dual_bitop2_b32 v96, 7, v11 bitop3:0x40
	v_cmp_gt_u32_e32 vcc_lo, 8, v97
	s_delay_alu instid0(VALU_DEP_2) | instskip(NEXT) | instid1(VALU_DEP_1)
	v_clz_i32_u32_e32 v96, v96
	v_min_u32_e32 v96, 32, v96
	s_delay_alu instid0(VALU_DEP_1) | instskip(SKIP_1) | instid1(VALU_DEP_1)
	v_subrev_nc_u32_e32 v99, 28, v96
	v_sub_nc_u32_e32 v96, 29, v96
	v_dual_cndmask_b32 v98, v98, v96, vcc_lo :: v_dual_cndmask_b32 v96, 0, v99, vcc_lo
	s_delay_alu instid0(VALU_DEP_1) | instskip(NEXT) | instid1(VALU_DEP_2)
	v_lshl_add_u32 v98, v98, 23, 0x3c000000
	v_lshlrev_b64_e32 v[96:97], v96, v[34:35]
	v_lshlrev_b32_e32 v97, 24, v34
	s_delay_alu instid0(VALU_DEP_1) | instskip(NEXT) | instid1(VALU_DEP_3)
	v_and_b32_e32 v97, 0x80000000, v97
	v_lshlrev_b32_e32 v96, 20, v96
	s_delay_alu instid0(VALU_DEP_1) | instskip(NEXT) | instid1(VALU_DEP_1)
	v_and_b32_e32 v96, 0x700000, v96
	v_or3_b32 v96, v96, v97, v98
.LBB2_1119:                             ;   in Loop: Header=BB2_1013 Depth=2
	s_or_b32 exec_lo, exec_lo, s42
.LBB2_1120:                             ;   in Loop: Header=BB2_1013 Depth=2
	s_delay_alu instid0(SALU_CYCLE_1)
	s_or_b32 exec_lo, exec_lo, s41
.LBB2_1121:                             ;   in Loop: Header=BB2_1013 Depth=2
	s_delay_alu instid0(SALU_CYCLE_1) | instskip(NEXT) | instid1(VALU_DEP_1)
	s_or_b32 exec_lo, exec_lo, s10
	v_dual_mul_f32 v96, s11, v96 :: v_dual_mov_b32 v99, v35
                                        ; implicit-def: $vgpr100
	s_mov_b32 s10, exec_lo
	s_delay_alu instid0(VALU_DEP_1) | instskip(SKIP_1) | instid1(VALU_DEP_2)
	v_and_b32_e32 v98, 0x7f800000, v96
	v_lshrrev_b32_e32 v97, 24, v96
	v_cmpx_ne_u64_e32 0x7f800000, v[98:99]
	s_xor_b32 s41, exec_lo, s10
	s_cbranch_execz .LBB2_1135
; %bb.1122:                             ;   in Loop: Header=BB2_1013 Depth=2
	v_and_b32_e32 v98, 0x7fffffff, v96
	v_mov_b32_e32 v99, v35
	v_and_b32_e32 v101, 0x80, v97
                                        ; implicit-def: $vgpr100
	s_mov_b32 s10, exec_lo
	s_delay_alu instid0(VALU_DEP_2)
	v_cmpx_gt_u64_e32 0x43e00001, v[98:99]
	s_xor_b32 s42, exec_lo, s10
	s_cbranch_execz .LBB2_1132
; %bb.1123:                             ;   in Loop: Header=BB2_1013 Depth=2
	v_mov_b32_e32 v100, 0
	s_mov_b32 s43, exec_lo
	v_cmpx_ne_u32_e32 0, v96
	s_cbranch_execz .LBB2_1131
; %bb.1124:                             ;   in Loop: Header=BB2_1013 Depth=2
	v_bfe_u32 v100, v96, 23, 8
	v_and_b32_e32 v98, 0x7fffff, v96
	s_mov_b32 s44, exec_lo
	s_delay_alu instid0(VALU_DEP_2) | instskip(NEXT) | instid1(VALU_DEP_2)
	v_cmp_gt_u32_e32 vcc_lo, 0x7a, v100
	v_or_b32_e32 v99, 0x800000, v98
	v_sub_nc_u32_e32 v97, 0x79, v100
	s_delay_alu instid0(VALU_DEP_1) | instskip(SKIP_1) | instid1(VALU_DEP_2)
	v_cndmask_b32_e32 v97, 0, v97, vcc_lo
	v_cmp_eq_u32_e32 vcc_lo, 0, v100
	v_cndmask_b32_e64 v42, v97, 0x78, vcc_lo
	v_cndmask_b32_e32 v98, v99, v98, vcc_lo
	s_delay_alu instid0(VALU_DEP_2) | instskip(SKIP_1) | instid1(VALU_DEP_2)
	v_dual_mov_b32 v99, v35 :: v_dual_add_nc_u32 v44, 19, v42
	v_add_nc_u32_e32 v96, 20, v42
	v_lshlrev_b64_e64 v[44:45], v44, 1
	s_delay_alu instid0(VALU_DEP_2) | instskip(NEXT) | instid1(VALU_DEP_1)
	v_lshlrev_b64_e64 v[96:97], v96, -1
	v_bfi_b32 v57, v97, 0, 0
	s_delay_alu instid0(VALU_DEP_2) | instskip(SKIP_1) | instid1(VALU_DEP_1)
	v_bfi_b32 v56, v96, 0, v98
	v_lshrrev_b64 v[96:97], v42, v[98:99]
	v_mov_b64_e32 v[98:99], v[96:97]
	s_delay_alu instid0(VALU_DEP_3)
	v_cmpx_eq_u64_e64 v[56:57], v[44:45]
; %bb.1125:                             ;   in Loop: Header=BB2_1013 Depth=2
	v_bfe_u32 v98, v96, 20, 1
	v_mov_b32_e32 v99, v35
	s_delay_alu instid0(VALU_DEP_1) | instskip(NEXT) | instid1(VALU_DEP_1)
	v_add_nc_u64_e32 v[98:99], v[96:97], v[98:99]
	v_add_nc_u64_e32 v[98:99], -1, v[98:99]
; %bb.1126:                             ;   in Loop: Header=BB2_1013 Depth=2
	s_or_b32 exec_lo, exec_lo, s44
	v_add_nc_u32_e32 v97, 0xffffff81, v100
	v_lshrrev_b32_e32 v99, 23, v96
	s_mov_b32 s10, exec_lo
	s_delay_alu instid0(VALU_DEP_2) | instskip(NEXT) | instid1(VALU_DEP_1)
	v_cndmask_b32_e64 v97, v97, 0xffffff82, vcc_lo
	v_add3_u32 v99, v42, v97, v99
	v_and_b32_e32 v97, 0xfffff, v98
                                        ; implicit-def: $vgpr98
	s_delay_alu instid0(VALU_DEP_1) | instskip(SKIP_1) | instid1(VALU_DEP_2)
	v_dual_add_nc_u32 v100, 6, v99 :: v_dual_add_nc_u32 v96, v97, v96
	v_mov_b32_e32 v97, v35
	v_cmpx_ne_u32_e32 0, v100
	s_xor_b32 s10, exec_lo, s10
; %bb.1127:                             ;   in Loop: Header=BB2_1013 Depth=2
	s_delay_alu instid0(VALU_DEP_2) | instskip(SKIP_2) | instid1(VALU_DEP_2)
	v_cmp_lt_u64_e32 vcc_lo, 0xffffff, v[96:97]
	v_add_nc_u32_e32 v98, 7, v99
	v_cndmask_b32_e64 v99, 0, 1, vcc_lo
	v_cndmask_b32_e32 v98, v100, v98, vcc_lo
	s_delay_alu instid0(VALU_DEP_2)
	v_lshrrev_b64 v[96:97], v99, v[96:97]
; %bb.1128:                             ;   in Loop: Header=BB2_1013 Depth=2
	s_and_not1_saveexec_b32 s10, s10
; %bb.1129:                             ;   in Loop: Header=BB2_1013 Depth=2
	s_delay_alu instid0(VALU_DEP_1)
	v_bfe_u32 v98, v96, 23, 1
; %bb.1130:                             ;   in Loop: Header=BB2_1013 Depth=2
	s_or_b32 exec_lo, exec_lo, s10
	s_delay_alu instid0(VALU_DEP_2) | instskip(NEXT) | instid1(VALU_DEP_2)
	v_lshrrev_b64 v[96:97], 20, v[96:97]
	v_cmp_gt_i32_e32 vcc_lo, 16, v98
	v_min_i32_e32 v99, 15, v98
	v_cmp_eq_u32_e64 s10, 0, v98
	s_delay_alu instid0(VALU_DEP_2) | instskip(SKIP_1) | instid1(VALU_DEP_2)
	v_dual_cndmask_b32 v97, 0, v97, vcc_lo :: v_dual_lshlrev_b32 v99, 3, v99
	v_cndmask_b32_e32 v96, 7, v96, vcc_lo
	v_and_b32_e32 v99, 0xf8, v99
	s_delay_alu instid0(VALU_DEP_2) | instskip(NEXT) | instid1(VALU_DEP_2)
	v_cmp_eq_u64_e32 vcc_lo, 0, v[96:97]
	v_and_or_b32 v96, v96, 7, v99
	s_and_b32 s10, s10, vcc_lo
	s_delay_alu instid0(VALU_DEP_1) | instid1(SALU_CYCLE_1)
	v_cndmask_b32_e64 v96, v96, 0, s10
	s_delay_alu instid0(VALU_DEP_1)
	v_or_b32_e32 v100, v96, v101
.LBB2_1131:                             ;   in Loop: Header=BB2_1013 Depth=2
	s_or_b32 exec_lo, exec_lo, s43
                                        ; implicit-def: $vgpr101
.LBB2_1132:                             ;   in Loop: Header=BB2_1013 Depth=2
	s_and_not1_saveexec_b32 s10, s42
; %bb.1133:                             ;   in Loop: Header=BB2_1013 Depth=2
	v_or_b32_e32 v100, 0x7e, v101
; %bb.1134:                             ;   in Loop: Header=BB2_1013 Depth=2
	s_or_b32 exec_lo, exec_lo, s10
                                        ; implicit-def: $vgpr97
.LBB2_1135:                             ;   in Loop: Header=BB2_1013 Depth=2
	s_and_not1_saveexec_b32 s10, s41
; %bb.1136:                             ;   in Loop: Header=BB2_1013 Depth=2
	v_or_b32_e32 v100, 0x7f, v97
; %bb.1137:                             ;   in Loop: Header=BB2_1013 Depth=2
	s_or_b32 exec_lo, exec_lo, s10
	v_lshrrev_b16 v97, 8, v34
	v_mov_b32_e32 v96, 0
	s_mov_b32 s10, exec_lo
	s_delay_alu instid0(VALU_DEP_2)
	v_cmpx_ne_u16_e32 0, v97
	s_cbranch_execz .LBB2_1145
; %bb.1138:                             ;   in Loop: Header=BB2_1013 Depth=2
	v_bfrev_b32_e32 v96, 1
	s_mov_b32 s41, exec_lo
	v_cmpx_ne_u16_e32 0x80, v97
	s_cbranch_execz .LBB2_1144
; %bb.1139:                             ;   in Loop: Header=BB2_1013 Depth=2
	v_and_b32_e32 v97, 0xffff, v97
	v_mov_b32_e32 v96, 0x7f800001
	s_mov_b32 s42, exec_lo
	s_delay_alu instid0(VALU_DEP_2) | instskip(NEXT) | instid1(VALU_DEP_1)
	v_and_b32_e32 v99, 0x7f, v97
	v_cmpx_ne_u32_e32 0x7f, v99
	s_cbranch_execz .LBB2_1143
; %bb.1140:                             ;   in Loop: Header=BB2_1013 Depth=2
	v_dual_mov_b32 v97, v35 :: v_dual_bitop2_b32 v96, 7, v97 bitop3:0x40
	v_lshrrev_b32_e32 v98, 3, v99
	s_mov_b32 s43, exec_lo
	v_cmpx_gt_u32_e32 8, v99
; %bb.1141:                             ;   in Loop: Header=BB2_1013 Depth=2
	s_delay_alu instid0(VALU_DEP_3) | instskip(NEXT) | instid1(VALU_DEP_1)
	v_clz_i32_u32_e32 v98, v96
	v_min_u32_e32 v98, 32, v98
	s_delay_alu instid0(VALU_DEP_1) | instskip(NEXT) | instid1(VALU_DEP_1)
	v_subrev_nc_u32_e32 v99, 28, v98
	v_lshlrev_b64_e32 v[96:97], v99, v[96:97]
	s_delay_alu instid0(VALU_DEP_1)
	v_dual_sub_nc_u32 v98, 29, v98 :: v_dual_bitop2_b32 v96, 7, v96 bitop3:0x40
; %bb.1142:                             ;   in Loop: Header=BB2_1013 Depth=2
	s_or_b32 exec_lo, exec_lo, s43
	s_delay_alu instid0(VALU_DEP_1) | instskip(NEXT) | instid1(VALU_DEP_2)
	v_dual_lshlrev_b32 v34, 16, v34 :: v_dual_lshlrev_b32 v96, 20, v96
	v_lshl_add_u32 v97, v98, 23, 0x3c000000
	s_delay_alu instid0(VALU_DEP_2) | instskip(NEXT) | instid1(VALU_DEP_1)
	v_and_b32_e32 v34, 0x80000000, v34
	v_or3_b32 v96, v96, v34, v97
.LBB2_1143:                             ;   in Loop: Header=BB2_1013 Depth=2
	s_or_b32 exec_lo, exec_lo, s42
.LBB2_1144:                             ;   in Loop: Header=BB2_1013 Depth=2
	s_delay_alu instid0(SALU_CYCLE_1)
	s_or_b32 exec_lo, exec_lo, s41
.LBB2_1145:                             ;   in Loop: Header=BB2_1013 Depth=2
	s_delay_alu instid0(SALU_CYCLE_1) | instskip(NEXT) | instid1(VALU_DEP_1)
	s_or_b32 exec_lo, exec_lo, s10
	v_mul_f32_e32 v96, s11, v96
                                        ; implicit-def: $vgpr101
	s_mov_b32 s10, exec_lo
	s_delay_alu instid0(VALU_DEP_1) | instskip(SKIP_1) | instid1(VALU_DEP_2)
	v_and_b32_e32 v34, 0x7f800000, v96
	v_lshrrev_b32_e32 v97, 24, v96
	v_cmpx_ne_u64_e32 0x7f800000, v[34:35]
	s_xor_b32 s41, exec_lo, s10
	s_cbranch_execz .LBB2_1159
; %bb.1146:                             ;   in Loop: Header=BB2_1013 Depth=2
	v_and_b32_e32 v34, 0x7fffffff, v96
	v_and_b32_e32 v42, 0x80, v97
                                        ; implicit-def: $vgpr101
	s_mov_b32 s10, exec_lo
	s_delay_alu instid0(VALU_DEP_2)
	v_cmpx_gt_u64_e32 0x43e00001, v[34:35]
	s_xor_b32 s42, exec_lo, s10
	s_cbranch_execz .LBB2_1156
; %bb.1147:                             ;   in Loop: Header=BB2_1013 Depth=2
	v_mov_b32_e32 v101, 0
	s_mov_b32 s43, exec_lo
	v_cmpx_ne_u32_e32 0, v96
	s_cbranch_execz .LBB2_1155
; %bb.1148:                             ;   in Loop: Header=BB2_1013 Depth=2
	v_bfe_u32 v101, v96, 23, 8
	s_delay_alu instid0(VALU_DEP_1) | instskip(SKIP_1) | instid1(VALU_DEP_2)
	v_sub_nc_u32_e32 v34, 0x79, v101
	v_cmp_gt_u32_e32 vcc_lo, 0x7a, v101
	v_cndmask_b32_e32 v34, 0, v34, vcc_lo
	v_cmp_eq_u32_e32 vcc_lo, 0, v101
	s_delay_alu instid0(VALU_DEP_2) | instskip(SKIP_1) | instid1(VALU_DEP_2)
	v_cndmask_b32_e64 v44, v34, 0x78, vcc_lo
	v_and_b32_e32 v34, 0x7fffff, v96
	v_add_nc_u32_e32 v96, 20, v44
	s_delay_alu instid0(VALU_DEP_2) | instskip(SKIP_1) | instid1(VALU_DEP_3)
	v_or_b32_e32 v98, 0x800000, v34
	v_add_nc_u32_e32 v99, 19, v44
	v_lshlrev_b64_e64 v[96:97], v96, -1
	s_delay_alu instid0(VALU_DEP_3) | instskip(NEXT) | instid1(VALU_DEP_3)
	v_cndmask_b32_e32 v34, v98, v34, vcc_lo
	v_lshlrev_b64_e64 v[98:99], v99, 1
	s_delay_alu instid0(VALU_DEP_3) | instskip(NEXT) | instid1(VALU_DEP_3)
	v_bfi_b32 v57, v97, 0, 0
	v_bfi_b32 v56, v96, 0, v34
	v_lshrrev_b64 v[96:97], v44, v[34:35]
	s_delay_alu instid0(VALU_DEP_2) | instskip(NEXT) | instid1(VALU_DEP_2)
	v_cmp_eq_u64_e64 s10, v[56:57], v[98:99]
	v_mov_b64_e32 v[98:99], v[96:97]
	s_and_saveexec_b32 s44, s10
; %bb.1149:                             ;   in Loop: Header=BB2_1013 Depth=2
	v_bfe_u32 v34, v96, 20, 1
	s_delay_alu instid0(VALU_DEP_1) | instskip(NEXT) | instid1(VALU_DEP_1)
	v_add_nc_u64_e32 v[98:99], v[96:97], v[34:35]
	v_add_nc_u64_e32 v[98:99], -1, v[98:99]
; %bb.1150:                             ;   in Loop: Header=BB2_1013 Depth=2
	s_or_b32 exec_lo, exec_lo, s44
	v_add_nc_u32_e32 v34, 0xffffff81, v101
	v_lshrrev_b32_e32 v97, 23, v96
	s_mov_b32 s10, exec_lo
	s_delay_alu instid0(VALU_DEP_2) | instskip(NEXT) | instid1(VALU_DEP_1)
	v_cndmask_b32_e64 v34, v34, 0xffffff82, vcc_lo
	v_add3_u32 v99, v44, v34, v97
	v_and_b32_e32 v34, 0xfffff, v98
                                        ; implicit-def: $vgpr98
	s_delay_alu instid0(VALU_DEP_1) | instskip(NEXT) | instid1(VALU_DEP_1)
	v_dual_add_nc_u32 v101, 6, v99 :: v_dual_add_nc_u32 v34, v34, v96
                                        ; implicit-def: $vgpr96_vgpr97
	v_cmpx_ne_u32_e32 0, v101
	s_xor_b32 s10, exec_lo, s10
; %bb.1151:                             ;   in Loop: Header=BB2_1013 Depth=2
	s_delay_alu instid0(VALU_DEP_2) | instskip(SKIP_1) | instid1(VALU_DEP_1)
	v_cmp_lt_u64_e32 vcc_lo, 0xffffff, v[34:35]
	v_add_nc_u32_e32 v96, 7, v99
	v_cndmask_b32_e32 v98, v101, v96, vcc_lo
	v_cndmask_b32_e64 v96, 0, 1, vcc_lo
	s_delay_alu instid0(VALU_DEP_1)
	v_lshrrev_b64 v[96:97], v96, v[34:35]
; %bb.1152:                             ;   in Loop: Header=BB2_1013 Depth=2
	s_and_not1_saveexec_b32 s10, s10
; %bb.1153:                             ;   in Loop: Header=BB2_1013 Depth=2
	v_mov_b64_e32 v[96:97], v[34:35]
	v_bfe_u32 v98, v34, 23, 1
; %bb.1154:                             ;   in Loop: Header=BB2_1013 Depth=2
	s_or_b32 exec_lo, exec_lo, s10
	s_delay_alu instid0(VALU_DEP_2) | instskip(NEXT) | instid1(VALU_DEP_2)
	v_lshrrev_b64 v[96:97], 20, v[96:97]
	v_cmp_gt_i32_e32 vcc_lo, 16, v98
	v_min_i32_e32 v34, 15, v98
	v_cmp_eq_u32_e64 s10, 0, v98
	s_delay_alu instid0(VALU_DEP_2) | instskip(SKIP_1) | instid1(VALU_DEP_2)
	v_dual_cndmask_b32 v97, 0, v97 :: v_dual_lshlrev_b32 v34, 3, v34
	v_cndmask_b32_e32 v96, 7, v96, vcc_lo
	v_and_b32_e32 v34, 0xf8, v34
	s_delay_alu instid0(VALU_DEP_2) | instskip(NEXT) | instid1(VALU_DEP_2)
	v_cmp_eq_u64_e32 vcc_lo, 0, v[96:97]
	v_and_or_b32 v34, v96, 7, v34
	s_and_b32 s10, s10, vcc_lo
	s_delay_alu instid0(VALU_DEP_1) | instid1(SALU_CYCLE_1)
	v_cndmask_b32_e64 v34, v34, 0, s10
	s_delay_alu instid0(VALU_DEP_1)
	v_or_b32_e32 v101, v34, v42
.LBB2_1155:                             ;   in Loop: Header=BB2_1013 Depth=2
	s_or_b32 exec_lo, exec_lo, s43
                                        ; implicit-def: $vgpr42
.LBB2_1156:                             ;   in Loop: Header=BB2_1013 Depth=2
	s_and_not1_saveexec_b32 s10, s42
; %bb.1157:                             ;   in Loop: Header=BB2_1013 Depth=2
	v_or_b32_e32 v101, 0x7e, v42
; %bb.1158:                             ;   in Loop: Header=BB2_1013 Depth=2
	s_or_b32 exec_lo, exec_lo, s10
                                        ; implicit-def: $vgpr97
.LBB2_1159:                             ;   in Loop: Header=BB2_1013 Depth=2
	s_and_not1_saveexec_b32 s10, s41
; %bb.1160:                             ;   in Loop: Header=BB2_1013 Depth=2
	v_or_b32_e32 v101, 0x7f, v97
; %bb.1161:                             ;   in Loop: Header=BB2_1013 Depth=2
	s_or_b32 exec_lo, exec_lo, s10
	v_dual_lshrrev_b32 v96, 16, v11 :: v_dual_mov_b32 v34, 0
	s_mov_b32 s10, exec_lo
	s_delay_alu instid0(VALU_DEP_1) | instskip(NEXT) | instid1(VALU_DEP_1)
	v_and_b32_e32 v97, 0xff, v96
	v_cmpx_ne_u16_e32 0, v97
	s_cbranch_execz .LBB2_1169
; %bb.1162:                             ;   in Loop: Header=BB2_1013 Depth=2
	v_bfrev_b32_e32 v34, 1
	s_mov_b32 s41, exec_lo
	v_cmpx_ne_u16_e32 0x80, v97
	s_cbranch_execz .LBB2_1168
; %bb.1163:                             ;   in Loop: Header=BB2_1013 Depth=2
	v_bfe_u32 v98, v11, 16, 7
	v_mov_b32_e32 v34, 0x7f800001
	s_mov_b32 s42, exec_lo
	s_delay_alu instid0(VALU_DEP_2)
	v_cmpx_ne_u32_e32 0x7f, v98
	s_cbranch_execz .LBB2_1167
; %bb.1164:                             ;   in Loop: Header=BB2_1013 Depth=2
	v_dual_lshrrev_b32 v97, 3, v98 :: v_dual_bitop2_b32 v34, 7, v96 bitop3:0x40
	s_mov_b32 s43, exec_lo
	v_cmpx_gt_u32_e32 8, v98
; %bb.1165:                             ;   in Loop: Header=BB2_1013 Depth=2
	s_delay_alu instid0(VALU_DEP_2) | instskip(NEXT) | instid1(VALU_DEP_1)
	v_clz_i32_u32_e32 v97, v34
	v_min_u32_e32 v97, 32, v97
	s_delay_alu instid0(VALU_DEP_1) | instskip(NEXT) | instid1(VALU_DEP_1)
	v_subrev_nc_u32_e32 v98, 28, v97
	v_lshlrev_b64_e32 v[98:99], v98, v[34:35]
	s_delay_alu instid0(VALU_DEP_1)
	v_dual_sub_nc_u32 v97, 29, v97 :: v_dual_bitop2_b32 v34, 7, v98 bitop3:0x40
; %bb.1166:                             ;   in Loop: Header=BB2_1013 Depth=2
	s_or_b32 exec_lo, exec_lo, s43
	s_delay_alu instid0(VALU_DEP_1) | instskip(NEXT) | instid1(VALU_DEP_2)
	v_dual_lshlrev_b32 v96, 24, v96 :: v_dual_lshlrev_b32 v34, 20, v34
	v_lshl_add_u32 v97, v97, 23, 0x3c000000
	s_delay_alu instid0(VALU_DEP_2) | instskip(NEXT) | instid1(VALU_DEP_1)
	v_and_b32_e32 v96, 0x80000000, v96
	v_or3_b32 v34, v34, v96, v97
.LBB2_1167:                             ;   in Loop: Header=BB2_1013 Depth=2
	s_or_b32 exec_lo, exec_lo, s42
.LBB2_1168:                             ;   in Loop: Header=BB2_1013 Depth=2
	s_delay_alu instid0(SALU_CYCLE_1)
	s_or_b32 exec_lo, exec_lo, s41
.LBB2_1169:                             ;   in Loop: Header=BB2_1013 Depth=2
	s_delay_alu instid0(SALU_CYCLE_1) | instskip(NEXT) | instid1(VALU_DEP_1)
	s_or_b32 exec_lo, exec_lo, s10
	v_mul_f32_e32 v96, s11, v34
                                        ; implicit-def: $vgpr61
	s_mov_b32 s10, exec_lo
	s_delay_alu instid0(VALU_DEP_1) | instskip(SKIP_1) | instid1(VALU_DEP_2)
	v_and_b32_e32 v34, 0x7f800000, v96
	v_lshrrev_b32_e32 v97, 24, v96
	v_cmpx_ne_u64_e32 0x7f800000, v[34:35]
	s_xor_b32 s41, exec_lo, s10
	s_cbranch_execz .LBB2_1183
; %bb.1170:                             ;   in Loop: Header=BB2_1013 Depth=2
	v_and_b32_e32 v34, 0x7fffffff, v96
	v_and_b32_e32 v42, 0x80, v97
                                        ; implicit-def: $vgpr61
	s_mov_b32 s10, exec_lo
	s_delay_alu instid0(VALU_DEP_2)
	v_cmpx_gt_u64_e32 0x43e00001, v[34:35]
	s_xor_b32 s42, exec_lo, s10
	s_cbranch_execz .LBB2_1180
; %bb.1171:                             ;   in Loop: Header=BB2_1013 Depth=2
	v_mov_b32_e32 v61, 0
	s_mov_b32 s43, exec_lo
	v_cmpx_ne_u32_e32 0, v96
	s_cbranch_execz .LBB2_1179
; %bb.1172:                             ;   in Loop: Header=BB2_1013 Depth=2
	v_bfe_u32 v44, v96, 23, 8
	s_delay_alu instid0(VALU_DEP_1) | instskip(SKIP_1) | instid1(VALU_DEP_2)
	v_sub_nc_u32_e32 v34, 0x79, v44
	v_cmp_gt_u32_e32 vcc_lo, 0x7a, v44
	v_cndmask_b32_e32 v34, 0, v34, vcc_lo
	v_cmp_eq_u32_e32 vcc_lo, 0, v44
	s_delay_alu instid0(VALU_DEP_2) | instskip(SKIP_1) | instid1(VALU_DEP_2)
	v_cndmask_b32_e64 v45, v34, 0x78, vcc_lo
	v_and_b32_e32 v34, 0x7fffff, v96
	v_add_nc_u32_e32 v96, 20, v45
	s_delay_alu instid0(VALU_DEP_2) | instskip(SKIP_1) | instid1(VALU_DEP_3)
	v_or_b32_e32 v98, 0x800000, v34
	v_add_nc_u32_e32 v99, 19, v45
	v_lshlrev_b64_e64 v[96:97], v96, -1
	s_delay_alu instid0(VALU_DEP_3) | instskip(NEXT) | instid1(VALU_DEP_3)
	v_cndmask_b32_e32 v34, v98, v34, vcc_lo
	v_lshlrev_b64_e64 v[98:99], v99, 1
	s_delay_alu instid0(VALU_DEP_3) | instskip(NEXT) | instid1(VALU_DEP_3)
	v_bfi_b32 v57, v97, 0, 0
	v_bfi_b32 v56, v96, 0, v34
	v_lshrrev_b64 v[96:97], v45, v[34:35]
	s_delay_alu instid0(VALU_DEP_2) | instskip(NEXT) | instid1(VALU_DEP_2)
	v_cmp_eq_u64_e64 s10, v[56:57], v[98:99]
	v_mov_b64_e32 v[98:99], v[96:97]
	s_and_saveexec_b32 s44, s10
; %bb.1173:                             ;   in Loop: Header=BB2_1013 Depth=2
	v_bfe_u32 v34, v96, 20, 1
	s_delay_alu instid0(VALU_DEP_1) | instskip(NEXT) | instid1(VALU_DEP_1)
	v_add_nc_u64_e32 v[98:99], v[96:97], v[34:35]
	v_add_nc_u64_e32 v[98:99], -1, v[98:99]
; %bb.1174:                             ;   in Loop: Header=BB2_1013 Depth=2
	s_or_b32 exec_lo, exec_lo, s44
	v_add_nc_u32_e32 v34, 0xffffff81, v44
	v_lshrrev_b32_e32 v97, 23, v96
	s_mov_b32 s10, exec_lo
	s_delay_alu instid0(VALU_DEP_2) | instskip(NEXT) | instid1(VALU_DEP_1)
	v_cndmask_b32_e64 v34, v34, 0xffffff82, vcc_lo
	v_add3_u32 v99, v45, v34, v97
	v_and_b32_e32 v34, 0xfffff, v98
                                        ; implicit-def: $vgpr98
	s_delay_alu instid0(VALU_DEP_1) | instskip(NEXT) | instid1(VALU_DEP_1)
	v_dual_add_nc_u32 v44, 6, v99 :: v_dual_add_nc_u32 v34, v34, v96
                                        ; implicit-def: $vgpr96_vgpr97
	v_cmpx_ne_u32_e32 0, v44
	s_xor_b32 s10, exec_lo, s10
; %bb.1175:                             ;   in Loop: Header=BB2_1013 Depth=2
	s_delay_alu instid0(VALU_DEP_2) | instskip(SKIP_1) | instid1(VALU_DEP_1)
	v_cmp_lt_u64_e32 vcc_lo, 0xffffff, v[34:35]
	v_add_nc_u32_e32 v96, 7, v99
	v_cndmask_b32_e32 v98, v44, v96, vcc_lo
	v_cndmask_b32_e64 v96, 0, 1, vcc_lo
	s_delay_alu instid0(VALU_DEP_1)
	v_lshrrev_b64 v[96:97], v96, v[34:35]
; %bb.1176:                             ;   in Loop: Header=BB2_1013 Depth=2
	s_and_not1_saveexec_b32 s10, s10
; %bb.1177:                             ;   in Loop: Header=BB2_1013 Depth=2
	v_mov_b64_e32 v[96:97], v[34:35]
	v_bfe_u32 v98, v34, 23, 1
; %bb.1178:                             ;   in Loop: Header=BB2_1013 Depth=2
	s_or_b32 exec_lo, exec_lo, s10
	s_delay_alu instid0(VALU_DEP_2) | instskip(NEXT) | instid1(VALU_DEP_2)
	v_lshrrev_b64 v[96:97], 20, v[96:97]
	v_cmp_gt_i32_e32 vcc_lo, 16, v98
	v_min_i32_e32 v34, 15, v98
	v_cmp_eq_u32_e64 s10, 0, v98
	s_delay_alu instid0(VALU_DEP_2) | instskip(SKIP_1) | instid1(VALU_DEP_2)
	v_dual_cndmask_b32 v97, 0, v97 :: v_dual_lshlrev_b32 v34, 3, v34
	v_cndmask_b32_e32 v96, 7, v96, vcc_lo
	v_and_b32_e32 v34, 0xf8, v34
	s_delay_alu instid0(VALU_DEP_2) | instskip(NEXT) | instid1(VALU_DEP_2)
	v_cmp_eq_u64_e32 vcc_lo, 0, v[96:97]
	v_and_or_b32 v34, v96, 7, v34
	s_and_b32 s10, s10, vcc_lo
	s_delay_alu instid0(VALU_DEP_1) | instid1(SALU_CYCLE_1)
	v_cndmask_b32_e64 v34, v34, 0, s10
	s_delay_alu instid0(VALU_DEP_1)
	v_or_b32_e32 v61, v34, v42
.LBB2_1179:                             ;   in Loop: Header=BB2_1013 Depth=2
	s_or_b32 exec_lo, exec_lo, s43
                                        ; implicit-def: $vgpr42
.LBB2_1180:                             ;   in Loop: Header=BB2_1013 Depth=2
	s_and_not1_saveexec_b32 s10, s42
; %bb.1181:                             ;   in Loop: Header=BB2_1013 Depth=2
	v_or_b32_e32 v61, 0x7e, v42
; %bb.1182:                             ;   in Loop: Header=BB2_1013 Depth=2
	s_or_b32 exec_lo, exec_lo, s10
                                        ; implicit-def: $vgpr97
.LBB2_1183:                             ;   in Loop: Header=BB2_1013 Depth=2
	s_and_not1_saveexec_b32 s10, s41
; %bb.1184:                             ;   in Loop: Header=BB2_1013 Depth=2
	v_or_b32_e32 v61, 0x7f, v97
; %bb.1185:                             ;   in Loop: Header=BB2_1013 Depth=2
	s_or_b32 exec_lo, exec_lo, s10
	v_mov_b32_e32 v34, 0
	s_mov_b32 s10, exec_lo
	v_cmpx_lt_u64_e64 s[14:15], v[10:11]
	s_cbranch_execz .LBB2_1193
; %bb.1186:                             ;   in Loop: Header=BB2_1013 Depth=2
	v_lshrrev_b32_e32 v10, 24, v11
	v_bfrev_b32_e32 v34, 1
	s_mov_b32 s41, exec_lo
	s_delay_alu instid0(VALU_DEP_2)
	v_cmpx_ne_u32_e32 0x80, v10
	s_cbranch_execz .LBB2_1192
; %bb.1187:                             ;   in Loop: Header=BB2_1013 Depth=2
	v_bfe_u32 v96, v11, 24, 7
	v_mov_b32_e32 v34, 0x7f800001
	s_mov_b32 s42, exec_lo
	s_delay_alu instid0(VALU_DEP_2)
	v_cmpx_ne_u32_e32 0x7f, v96
	s_cbranch_execz .LBB2_1191
; %bb.1188:                             ;   in Loop: Header=BB2_1013 Depth=2
	v_dual_lshrrev_b32 v11, 3, v96 :: v_dual_bitop2_b32 v34, 7, v10 bitop3:0x40
	s_mov_b32 s43, exec_lo
	v_cmpx_gt_u32_e32 8, v96
; %bb.1189:                             ;   in Loop: Header=BB2_1013 Depth=2
	s_delay_alu instid0(VALU_DEP_2) | instskip(NEXT) | instid1(VALU_DEP_1)
	v_clz_i32_u32_e32 v11, v34
	v_min_u32_e32 v11, 32, v11
	s_delay_alu instid0(VALU_DEP_1) | instskip(NEXT) | instid1(VALU_DEP_1)
	v_subrev_nc_u32_e32 v96, 28, v11
	v_lshlrev_b64_e32 v[96:97], v96, v[34:35]
	s_delay_alu instid0(VALU_DEP_1)
	v_dual_sub_nc_u32 v11, 29, v11 :: v_dual_bitop2_b32 v34, 7, v96 bitop3:0x40
; %bb.1190:                             ;   in Loop: Header=BB2_1013 Depth=2
	s_or_b32 exec_lo, exec_lo, s43
	v_lshlrev_b32_e32 v10, 24, v10
	s_delay_alu instid0(VALU_DEP_2) | instskip(NEXT) | instid1(VALU_DEP_3)
	v_lshlrev_b32_e32 v34, 20, v34
	v_lshl_add_u32 v11, v11, 23, 0x3c000000
	s_delay_alu instid0(VALU_DEP_3) | instskip(NEXT) | instid1(VALU_DEP_1)
	v_and_b32_e32 v10, 0x80000000, v10
	v_or3_b32 v34, v34, v10, v11
.LBB2_1191:                             ;   in Loop: Header=BB2_1013 Depth=2
	s_or_b32 exec_lo, exec_lo, s42
.LBB2_1192:                             ;   in Loop: Header=BB2_1013 Depth=2
	s_delay_alu instid0(SALU_CYCLE_1)
	s_or_b32 exec_lo, exec_lo, s41
.LBB2_1193:                             ;   in Loop: Header=BB2_1013 Depth=2
	s_delay_alu instid0(SALU_CYCLE_1) | instskip(NEXT) | instid1(VALU_DEP_1)
	s_or_b32 exec_lo, exec_lo, s10
	v_mul_f32_e32 v10, s11, v34
                                        ; implicit-def: $vgpr62
	s_mov_b32 s10, exec_lo
	s_delay_alu instid0(VALU_DEP_1) | instskip(SKIP_1) | instid1(VALU_DEP_2)
	v_and_b32_e32 v34, 0x7f800000, v10
	v_lshrrev_b32_e32 v11, 24, v10
	v_cmpx_ne_u64_e32 0x7f800000, v[34:35]
	s_xor_b32 s41, exec_lo, s10
	s_cbranch_execz .LBB2_1207
; %bb.1194:                             ;   in Loop: Header=BB2_1013 Depth=2
	v_and_b32_e32 v34, 0x7fffffff, v10
	v_and_b32_e32 v98, 0x80, v11
                                        ; implicit-def: $vgpr62
	s_mov_b32 s10, exec_lo
	s_delay_alu instid0(VALU_DEP_2)
	v_cmpx_gt_u64_e32 0x43e00001, v[34:35]
	s_xor_b32 s42, exec_lo, s10
	s_cbranch_execz .LBB2_1204
; %bb.1195:                             ;   in Loop: Header=BB2_1013 Depth=2
	v_mov_b32_e32 v62, 0
	s_mov_b32 s43, exec_lo
	v_cmpx_ne_u32_e32 0, v10
	s_cbranch_execz .LBB2_1203
; %bb.1196:                             ;   in Loop: Header=BB2_1013 Depth=2
	v_bfe_u32 v99, v10, 23, 8
	v_and_b32_e32 v34, 0x7fffff, v10
	s_delay_alu instid0(VALU_DEP_2) | instskip(NEXT) | instid1(VALU_DEP_2)
	v_cmp_gt_u32_e32 vcc_lo, 0x7a, v99
	v_or_b32_e32 v96, 0x800000, v34
	v_sub_nc_u32_e32 v11, 0x79, v99
	s_delay_alu instid0(VALU_DEP_1) | instskip(SKIP_1) | instid1(VALU_DEP_2)
	v_cndmask_b32_e32 v11, 0, v11, vcc_lo
	v_cmp_eq_u32_e32 vcc_lo, 0, v99
	v_cndmask_b32_e64 v42, v11, 0x78, vcc_lo
	v_cndmask_b32_e32 v34, v96, v34, vcc_lo
	s_delay_alu instid0(VALU_DEP_2) | instskip(NEXT) | instid1(VALU_DEP_1)
	v_dual_add_nc_u32 v10, 20, v42 :: v_dual_add_nc_u32 v97, 19, v42
	v_lshlrev_b64_e64 v[10:11], v10, -1
	s_delay_alu instid0(VALU_DEP_2) | instskip(NEXT) | instid1(VALU_DEP_2)
	v_lshlrev_b64_e64 v[96:97], v97, 1
	v_bfi_b32 v45, v11, 0, 0
	s_delay_alu instid0(VALU_DEP_3) | instskip(SKIP_1) | instid1(VALU_DEP_2)
	v_bfi_b32 v44, v10, 0, v34
	v_lshrrev_b64 v[10:11], v42, v[34:35]
	v_cmp_eq_u64_e64 s10, v[44:45], v[96:97]
	s_delay_alu instid0(VALU_DEP_2)
	v_mov_b64_e32 v[96:97], v[10:11]
	s_and_saveexec_b32 s44, s10
; %bb.1197:                             ;   in Loop: Header=BB2_1013 Depth=2
	v_bfe_u32 v34, v10, 20, 1
	s_delay_alu instid0(VALU_DEP_1) | instskip(NEXT) | instid1(VALU_DEP_1)
	v_add_nc_u64_e32 v[96:97], v[10:11], v[34:35]
	v_add_nc_u64_e32 v[96:97], -1, v[96:97]
; %bb.1198:                             ;   in Loop: Header=BB2_1013 Depth=2
	s_or_b32 exec_lo, exec_lo, s44
	v_add_nc_u32_e32 v11, 0xffffff81, v99
	v_lshrrev_b32_e32 v34, 23, v10
	s_mov_b32 s10, exec_lo
	s_delay_alu instid0(VALU_DEP_2) | instskip(NEXT) | instid1(VALU_DEP_1)
	v_cndmask_b32_e64 v11, v11, 0xffffff82, vcc_lo
	v_add3_u32 v97, v42, v11, v34
	v_and_b32_e32 v11, 0xfffff, v96
                                        ; implicit-def: $vgpr96
	s_delay_alu instid0(VALU_DEP_1) | instskip(NEXT) | instid1(VALU_DEP_1)
	v_dual_add_nc_u32 v99, 6, v97 :: v_dual_add_nc_u32 v34, v11, v10
                                        ; implicit-def: $vgpr10_vgpr11
	v_cmpx_ne_u32_e32 0, v99
	s_xor_b32 s10, exec_lo, s10
; %bb.1199:                             ;   in Loop: Header=BB2_1013 Depth=2
	s_delay_alu instid0(VALU_DEP_2) | instskip(SKIP_1) | instid1(VALU_DEP_1)
	v_cmp_lt_u64_e32 vcc_lo, 0xffffff, v[34:35]
	v_add_nc_u32_e32 v10, 7, v97
	v_cndmask_b32_e32 v96, v99, v10, vcc_lo
	v_cndmask_b32_e64 v10, 0, 1, vcc_lo
	s_delay_alu instid0(VALU_DEP_1)
	v_lshrrev_b64 v[10:11], v10, v[34:35]
; %bb.1200:                             ;   in Loop: Header=BB2_1013 Depth=2
	s_and_not1_saveexec_b32 s10, s10
; %bb.1201:                             ;   in Loop: Header=BB2_1013 Depth=2
	v_mov_b64_e32 v[10:11], v[34:35]
	v_bfe_u32 v96, v34, 23, 1
; %bb.1202:                             ;   in Loop: Header=BB2_1013 Depth=2
	s_or_b32 exec_lo, exec_lo, s10
	s_delay_alu instid0(VALU_DEP_2) | instskip(NEXT) | instid1(VALU_DEP_2)
	v_lshrrev_b64 v[10:11], 20, v[10:11]
	v_cmp_gt_i32_e32 vcc_lo, 16, v96
	v_min_i32_e32 v34, 15, v96
	v_cmp_eq_u32_e64 s10, 0, v96
	s_delay_alu instid0(VALU_DEP_2) | instskip(SKIP_1) | instid1(VALU_DEP_2)
	v_dual_cndmask_b32 v11, 0, v11 :: v_dual_lshlrev_b32 v34, 3, v34
	v_cndmask_b32_e32 v10, 7, v10, vcc_lo
	v_and_b32_e32 v34, 0xf8, v34
	s_delay_alu instid0(VALU_DEP_2) | instskip(NEXT) | instid1(VALU_DEP_2)
	v_cmp_eq_u64_e32 vcc_lo, 0, v[10:11]
	v_and_or_b32 v10, v10, 7, v34
	s_and_b32 s10, s10, vcc_lo
	s_delay_alu instid0(VALU_DEP_1) | instid1(SALU_CYCLE_1)
	v_cndmask_b32_e64 v10, v10, 0, s10
	s_delay_alu instid0(VALU_DEP_1)
	v_or_b32_e32 v62, v10, v98
.LBB2_1203:                             ;   in Loop: Header=BB2_1013 Depth=2
	s_or_b32 exec_lo, exec_lo, s43
                                        ; implicit-def: $vgpr98
.LBB2_1204:                             ;   in Loop: Header=BB2_1013 Depth=2
	s_and_not1_saveexec_b32 s10, s42
; %bb.1205:                             ;   in Loop: Header=BB2_1013 Depth=2
	v_or_b32_e32 v62, 0x7e, v98
; %bb.1206:                             ;   in Loop: Header=BB2_1013 Depth=2
	s_or_b32 exec_lo, exec_lo, s10
                                        ; implicit-def: $vgpr11
.LBB2_1207:                             ;   in Loop: Header=BB2_1013 Depth=2
	s_and_not1_saveexec_b32 s10, s41
; %bb.1208:                             ;   in Loop: Header=BB2_1013 Depth=2
	v_or_b32_e32 v62, 0x7f, v11
; %bb.1209:                             ;   in Loop: Header=BB2_1013 Depth=2
	s_or_b32 exec_lo, exec_lo, s10
	v_and_b32_e32 v11, 0xff, v12
	v_mov_b32_e32 v10, 0
	s_mov_b32 s10, exec_lo
	s_delay_alu instid0(VALU_DEP_2)
	v_cmpx_ne_u16_e32 0, v11
	s_cbranch_execz .LBB2_1215
; %bb.1210:                             ;   in Loop: Header=BB2_1013 Depth=2
	v_bfrev_b32_e32 v10, 1
	s_mov_b32 s41, exec_lo
	v_cmpx_ne_u16_e32 0x80, v11
	s_cbranch_execz .LBB2_1214
; %bb.1211:                             ;   in Loop: Header=BB2_1013 Depth=2
	v_and_b32_e32 v11, 0x7f, v12
	v_mov_b32_e32 v10, 0x7f800001
	s_mov_b32 s42, exec_lo
	s_delay_alu instid0(VALU_DEP_2)
	v_cmpx_ne_u32_e32 0x7f, v11
	s_cbranch_execz .LBB2_1213
; %bb.1212:                             ;   in Loop: Header=BB2_1013 Depth=2
	v_dual_lshrrev_b32 v34, 3, v11 :: v_dual_bitop2_b32 v10, 7, v12 bitop3:0x40
	v_cmp_gt_u32_e32 vcc_lo, 8, v11
	s_delay_alu instid0(VALU_DEP_2) | instskip(NEXT) | instid1(VALU_DEP_1)
	v_clz_i32_u32_e32 v10, v10
	v_min_u32_e32 v10, 32, v10
	s_delay_alu instid0(VALU_DEP_1) | instskip(SKIP_1) | instid1(VALU_DEP_1)
	v_subrev_nc_u32_e32 v96, 28, v10
	v_sub_nc_u32_e32 v10, 29, v10
	v_dual_cndmask_b32 v34, v34, v10, vcc_lo :: v_dual_cndmask_b32 v10, 0, v96, vcc_lo
	s_delay_alu instid0(VALU_DEP_1) | instskip(NEXT) | instid1(VALU_DEP_2)
	v_lshl_add_u32 v34, v34, 23, 0x3c000000
	v_lshlrev_b64_e32 v[10:11], v10, v[12:13]
	v_lshlrev_b32_e32 v11, 24, v12
	s_delay_alu instid0(VALU_DEP_1) | instskip(NEXT) | instid1(VALU_DEP_3)
	v_and_b32_e32 v11, 0x80000000, v11
	v_lshlrev_b32_e32 v10, 20, v10
	s_delay_alu instid0(VALU_DEP_1) | instskip(NEXT) | instid1(VALU_DEP_1)
	v_and_b32_e32 v10, 0x700000, v10
	v_or3_b32 v10, v10, v11, v34
.LBB2_1213:                             ;   in Loop: Header=BB2_1013 Depth=2
	s_or_b32 exec_lo, exec_lo, s42
.LBB2_1214:                             ;   in Loop: Header=BB2_1013 Depth=2
	s_delay_alu instid0(SALU_CYCLE_1)
	s_or_b32 exec_lo, exec_lo, s41
.LBB2_1215:                             ;   in Loop: Header=BB2_1013 Depth=2
	s_delay_alu instid0(SALU_CYCLE_1) | instskip(NEXT) | instid1(VALU_DEP_1)
	s_or_b32 exec_lo, exec_lo, s10
	v_mul_f32_e32 v10, s11, v10
                                        ; implicit-def: $vgpr45
	s_mov_b32 s10, exec_lo
	s_delay_alu instid0(VALU_DEP_1) | instskip(SKIP_1) | instid1(VALU_DEP_2)
	v_and_b32_e32 v34, 0x7f800000, v10
	v_lshrrev_b32_e32 v11, 24, v10
	v_cmpx_ne_u64_e32 0x7f800000, v[34:35]
	s_xor_b32 s41, exec_lo, s10
	s_cbranch_execz .LBB2_1229
; %bb.1216:                             ;   in Loop: Header=BB2_1013 Depth=2
	v_and_b32_e32 v34, 0x7fffffff, v10
	v_and_b32_e32 v98, 0x80, v11
                                        ; implicit-def: $vgpr45
	s_mov_b32 s10, exec_lo
	s_delay_alu instid0(VALU_DEP_2)
	v_cmpx_gt_u64_e32 0x43e00001, v[34:35]
	s_xor_b32 s42, exec_lo, s10
	s_cbranch_execz .LBB2_1226
; %bb.1217:                             ;   in Loop: Header=BB2_1013 Depth=2
	v_mov_b32_e32 v45, 0
	s_mov_b32 s43, exec_lo
	v_cmpx_ne_u32_e32 0, v10
	s_cbranch_execz .LBB2_1225
; %bb.1218:                             ;   in Loop: Header=BB2_1013 Depth=2
	v_bfe_u32 v99, v10, 23, 8
	v_and_b32_e32 v34, 0x7fffff, v10
	s_delay_alu instid0(VALU_DEP_2) | instskip(NEXT) | instid1(VALU_DEP_2)
	v_cmp_gt_u32_e32 vcc_lo, 0x7a, v99
	v_or_b32_e32 v96, 0x800000, v34
	v_sub_nc_u32_e32 v11, 0x79, v99
	s_delay_alu instid0(VALU_DEP_1) | instskip(SKIP_1) | instid1(VALU_DEP_2)
	v_cndmask_b32_e32 v11, 0, v11, vcc_lo
	v_cmp_eq_u32_e32 vcc_lo, 0, v99
	v_cndmask_b32_e64 v42, v11, 0x78, vcc_lo
	v_cndmask_b32_e32 v34, v96, v34, vcc_lo
	s_delay_alu instid0(VALU_DEP_2) | instskip(NEXT) | instid1(VALU_DEP_1)
	v_dual_add_nc_u32 v10, 20, v42 :: v_dual_add_nc_u32 v97, 19, v42
	v_lshlrev_b64_e64 v[10:11], v10, -1
	s_delay_alu instid0(VALU_DEP_2) | instskip(NEXT) | instid1(VALU_DEP_2)
	v_lshlrev_b64_e64 v[96:97], v97, 1
	v_bfi_b32 v45, v11, 0, 0
	s_delay_alu instid0(VALU_DEP_3) | instskip(SKIP_1) | instid1(VALU_DEP_2)
	v_bfi_b32 v44, v10, 0, v34
	v_lshrrev_b64 v[10:11], v42, v[34:35]
	v_cmp_eq_u64_e64 s10, v[44:45], v[96:97]
	s_delay_alu instid0(VALU_DEP_2)
	v_mov_b64_e32 v[96:97], v[10:11]
	s_and_saveexec_b32 s44, s10
; %bb.1219:                             ;   in Loop: Header=BB2_1013 Depth=2
	v_bfe_u32 v34, v10, 20, 1
	s_delay_alu instid0(VALU_DEP_1) | instskip(NEXT) | instid1(VALU_DEP_1)
	v_add_nc_u64_e32 v[96:97], v[10:11], v[34:35]
	v_add_nc_u64_e32 v[96:97], -1, v[96:97]
; %bb.1220:                             ;   in Loop: Header=BB2_1013 Depth=2
	s_or_b32 exec_lo, exec_lo, s44
	v_add_nc_u32_e32 v11, 0xffffff81, v99
	v_lshrrev_b32_e32 v34, 23, v10
	s_mov_b32 s10, exec_lo
	s_delay_alu instid0(VALU_DEP_2) | instskip(NEXT) | instid1(VALU_DEP_1)
	v_cndmask_b32_e64 v11, v11, 0xffffff82, vcc_lo
	v_add3_u32 v97, v42, v11, v34
	v_and_b32_e32 v11, 0xfffff, v96
                                        ; implicit-def: $vgpr96
	s_delay_alu instid0(VALU_DEP_1) | instskip(NEXT) | instid1(VALU_DEP_1)
	v_dual_add_nc_u32 v99, 6, v97 :: v_dual_add_nc_u32 v34, v11, v10
                                        ; implicit-def: $vgpr10_vgpr11
	v_cmpx_ne_u32_e32 0, v99
	s_xor_b32 s10, exec_lo, s10
; %bb.1221:                             ;   in Loop: Header=BB2_1013 Depth=2
	s_delay_alu instid0(VALU_DEP_2) | instskip(SKIP_1) | instid1(VALU_DEP_1)
	v_cmp_lt_u64_e32 vcc_lo, 0xffffff, v[34:35]
	v_add_nc_u32_e32 v10, 7, v97
	v_cndmask_b32_e32 v96, v99, v10, vcc_lo
	v_cndmask_b32_e64 v10, 0, 1, vcc_lo
	s_delay_alu instid0(VALU_DEP_1)
	v_lshrrev_b64 v[10:11], v10, v[34:35]
; %bb.1222:                             ;   in Loop: Header=BB2_1013 Depth=2
	s_and_not1_saveexec_b32 s10, s10
; %bb.1223:                             ;   in Loop: Header=BB2_1013 Depth=2
	v_mov_b64_e32 v[10:11], v[34:35]
	v_bfe_u32 v96, v34, 23, 1
; %bb.1224:                             ;   in Loop: Header=BB2_1013 Depth=2
	s_or_b32 exec_lo, exec_lo, s10
	s_delay_alu instid0(VALU_DEP_2) | instskip(NEXT) | instid1(VALU_DEP_2)
	v_lshrrev_b64 v[10:11], 20, v[10:11]
	v_cmp_gt_i32_e32 vcc_lo, 16, v96
	v_min_i32_e32 v34, 15, v96
	v_cmp_eq_u32_e64 s10, 0, v96
	s_delay_alu instid0(VALU_DEP_2) | instskip(SKIP_1) | instid1(VALU_DEP_2)
	v_dual_cndmask_b32 v11, 0, v11 :: v_dual_lshlrev_b32 v34, 3, v34
	v_cndmask_b32_e32 v10, 7, v10, vcc_lo
	v_and_b32_e32 v34, 0xf8, v34
	s_delay_alu instid0(VALU_DEP_2) | instskip(NEXT) | instid1(VALU_DEP_2)
	v_cmp_eq_u64_e32 vcc_lo, 0, v[10:11]
	v_and_or_b32 v10, v10, 7, v34
	s_and_b32 s10, s10, vcc_lo
	s_delay_alu instid0(VALU_DEP_1) | instid1(SALU_CYCLE_1)
	v_cndmask_b32_e64 v10, v10, 0, s10
	s_delay_alu instid0(VALU_DEP_1)
	v_or_b32_e32 v45, v10, v98
.LBB2_1225:                             ;   in Loop: Header=BB2_1013 Depth=2
	s_or_b32 exec_lo, exec_lo, s43
                                        ; implicit-def: $vgpr98
.LBB2_1226:                             ;   in Loop: Header=BB2_1013 Depth=2
	s_and_not1_saveexec_b32 s10, s42
; %bb.1227:                             ;   in Loop: Header=BB2_1013 Depth=2
	v_or_b32_e32 v45, 0x7e, v98
; %bb.1228:                             ;   in Loop: Header=BB2_1013 Depth=2
	s_or_b32 exec_lo, exec_lo, s10
                                        ; implicit-def: $vgpr11
.LBB2_1229:                             ;   in Loop: Header=BB2_1013 Depth=2
	s_and_not1_saveexec_b32 s10, s41
; %bb.1230:                             ;   in Loop: Header=BB2_1013 Depth=2
	v_or_b32_e32 v45, 0x7f, v11
; %bb.1231:                             ;   in Loop: Header=BB2_1013 Depth=2
	s_or_b32 exec_lo, exec_lo, s10
	v_lshrrev_b16 v11, 8, v12
	v_mov_b32_e32 v10, 0
	s_mov_b32 s10, exec_lo
	s_delay_alu instid0(VALU_DEP_2)
	v_cmpx_ne_u16_e32 0, v11
	s_cbranch_execz .LBB2_1239
; %bb.1232:                             ;   in Loop: Header=BB2_1013 Depth=2
	v_bfrev_b32_e32 v10, 1
	s_mov_b32 s41, exec_lo
	v_cmpx_ne_u16_e32 0x80, v11
	s_cbranch_execz .LBB2_1238
; %bb.1233:                             ;   in Loop: Header=BB2_1013 Depth=2
	v_and_b32_e32 v34, 0xffff, v11
	v_mov_b32_e32 v10, 0x7f800001
	s_mov_b32 s42, exec_lo
	s_delay_alu instid0(VALU_DEP_2) | instskip(NEXT) | instid1(VALU_DEP_1)
	v_and_b32_e32 v11, 0x7f, v34
	v_cmpx_ne_u32_e32 0x7f, v11
	s_cbranch_execz .LBB2_1237
; %bb.1234:                             ;   in Loop: Header=BB2_1013 Depth=2
	v_dual_lshrrev_b32 v10, 3, v11 :: v_dual_bitop2_b32 v34, 7, v34 bitop3:0x40
	s_mov_b32 s43, exec_lo
	v_cmpx_gt_u32_e32 8, v11
; %bb.1235:                             ;   in Loop: Header=BB2_1013 Depth=2
	s_delay_alu instid0(VALU_DEP_2) | instskip(NEXT) | instid1(VALU_DEP_1)
	v_clz_i32_u32_e32 v10, v34
	v_min_u32_e32 v10, 32, v10
	s_delay_alu instid0(VALU_DEP_1) | instskip(NEXT) | instid1(VALU_DEP_1)
	v_subrev_nc_u32_e32 v11, 28, v10
	v_lshlrev_b64_e32 v[96:97], v11, v[34:35]
	s_delay_alu instid0(VALU_DEP_1)
	v_dual_sub_nc_u32 v10, 29, v10 :: v_dual_bitop2_b32 v34, 7, v96 bitop3:0x40
; %bb.1236:                             ;   in Loop: Header=BB2_1013 Depth=2
	s_or_b32 exec_lo, exec_lo, s43
	s_delay_alu instid0(VALU_DEP_1) | instskip(NEXT) | instid1(VALU_DEP_2)
	v_dual_lshlrev_b32 v11, 16, v12 :: v_dual_lshlrev_b32 v34, 20, v34
	v_lshl_add_u32 v10, v10, 23, 0x3c000000
	s_delay_alu instid0(VALU_DEP_2) | instskip(NEXT) | instid1(VALU_DEP_1)
	v_and_b32_e32 v11, 0x80000000, v11
	v_or3_b32 v10, v34, v11, v10
.LBB2_1237:                             ;   in Loop: Header=BB2_1013 Depth=2
	s_or_b32 exec_lo, exec_lo, s42
.LBB2_1238:                             ;   in Loop: Header=BB2_1013 Depth=2
	s_delay_alu instid0(SALU_CYCLE_1)
	s_or_b32 exec_lo, exec_lo, s41
.LBB2_1239:                             ;   in Loop: Header=BB2_1013 Depth=2
	s_delay_alu instid0(SALU_CYCLE_1) | instskip(NEXT) | instid1(VALU_DEP_1)
	s_or_b32 exec_lo, exec_lo, s10
	v_mul_f32_e32 v10, s11, v10
                                        ; implicit-def: $vgpr56
	s_mov_b32 s10, exec_lo
	s_delay_alu instid0(VALU_DEP_1) | instskip(SKIP_1) | instid1(VALU_DEP_2)
	v_and_b32_e32 v34, 0x7f800000, v10
	v_lshrrev_b32_e32 v11, 24, v10
	v_cmpx_ne_u64_e32 0x7f800000, v[34:35]
	s_xor_b32 s41, exec_lo, s10
	s_cbranch_execz .LBB2_1253
; %bb.1240:                             ;   in Loop: Header=BB2_1013 Depth=2
	v_and_b32_e32 v34, 0x7fffffff, v10
	v_and_b32_e32 v98, 0x80, v11
                                        ; implicit-def: $vgpr56
	s_mov_b32 s10, exec_lo
	s_delay_alu instid0(VALU_DEP_2)
	v_cmpx_gt_u64_e32 0x43e00001, v[34:35]
	s_xor_b32 s42, exec_lo, s10
	s_cbranch_execz .LBB2_1250
; %bb.1241:                             ;   in Loop: Header=BB2_1013 Depth=2
	v_mov_b32_e32 v56, 0
	s_mov_b32 s43, exec_lo
	v_cmpx_ne_u32_e32 0, v10
	s_cbranch_execz .LBB2_1249
; %bb.1242:                             ;   in Loop: Header=BB2_1013 Depth=2
	v_bfe_u32 v99, v10, 23, 8
	v_and_b32_e32 v34, 0x7fffff, v10
	s_delay_alu instid0(VALU_DEP_2) | instskip(NEXT) | instid1(VALU_DEP_2)
	v_cmp_gt_u32_e32 vcc_lo, 0x7a, v99
	v_or_b32_e32 v96, 0x800000, v34
	v_sub_nc_u32_e32 v11, 0x79, v99
	s_delay_alu instid0(VALU_DEP_1) | instskip(SKIP_1) | instid1(VALU_DEP_2)
	v_cndmask_b32_e32 v11, 0, v11, vcc_lo
	v_cmp_eq_u32_e32 vcc_lo, 0, v99
	v_cndmask_b32_e64 v42, v11, 0x78, vcc_lo
	v_cndmask_b32_e32 v34, v96, v34, vcc_lo
	s_delay_alu instid0(VALU_DEP_2) | instskip(NEXT) | instid1(VALU_DEP_1)
	v_dual_add_nc_u32 v10, 20, v42 :: v_dual_add_nc_u32 v97, 19, v42
	v_lshlrev_b64_e64 v[10:11], v10, -1
	s_delay_alu instid0(VALU_DEP_2) | instskip(NEXT) | instid1(VALU_DEP_2)
	v_lshlrev_b64_e64 v[96:97], v97, 1
	v_bfi_b32 v57, v11, 0, 0
	s_delay_alu instid0(VALU_DEP_3) | instskip(SKIP_1) | instid1(VALU_DEP_2)
	v_bfi_b32 v56, v10, 0, v34
	v_lshrrev_b64 v[10:11], v42, v[34:35]
	v_cmp_eq_u64_e64 s10, v[56:57], v[96:97]
	s_delay_alu instid0(VALU_DEP_2)
	v_mov_b64_e32 v[96:97], v[10:11]
	s_and_saveexec_b32 s44, s10
; %bb.1243:                             ;   in Loop: Header=BB2_1013 Depth=2
	v_bfe_u32 v34, v10, 20, 1
	s_delay_alu instid0(VALU_DEP_1) | instskip(NEXT) | instid1(VALU_DEP_1)
	v_add_nc_u64_e32 v[96:97], v[10:11], v[34:35]
	v_add_nc_u64_e32 v[96:97], -1, v[96:97]
; %bb.1244:                             ;   in Loop: Header=BB2_1013 Depth=2
	s_or_b32 exec_lo, exec_lo, s44
	v_add_nc_u32_e32 v11, 0xffffff81, v99
	v_lshrrev_b32_e32 v34, 23, v10
	s_mov_b32 s10, exec_lo
	s_delay_alu instid0(VALU_DEP_2) | instskip(NEXT) | instid1(VALU_DEP_1)
	v_cndmask_b32_e64 v11, v11, 0xffffff82, vcc_lo
	v_add3_u32 v97, v42, v11, v34
	v_and_b32_e32 v11, 0xfffff, v96
                                        ; implicit-def: $vgpr96
	s_delay_alu instid0(VALU_DEP_1) | instskip(NEXT) | instid1(VALU_DEP_1)
	v_dual_add_nc_u32 v99, 6, v97 :: v_dual_add_nc_u32 v34, v11, v10
                                        ; implicit-def: $vgpr10_vgpr11
	v_cmpx_ne_u32_e32 0, v99
	s_xor_b32 s10, exec_lo, s10
; %bb.1245:                             ;   in Loop: Header=BB2_1013 Depth=2
	s_delay_alu instid0(VALU_DEP_2) | instskip(SKIP_1) | instid1(VALU_DEP_1)
	v_cmp_lt_u64_e32 vcc_lo, 0xffffff, v[34:35]
	v_add_nc_u32_e32 v10, 7, v97
	v_cndmask_b32_e32 v96, v99, v10, vcc_lo
	v_cndmask_b32_e64 v10, 0, 1, vcc_lo
	s_delay_alu instid0(VALU_DEP_1)
	v_lshrrev_b64 v[10:11], v10, v[34:35]
; %bb.1246:                             ;   in Loop: Header=BB2_1013 Depth=2
	s_and_not1_saveexec_b32 s10, s10
; %bb.1247:                             ;   in Loop: Header=BB2_1013 Depth=2
	v_mov_b64_e32 v[10:11], v[34:35]
	v_bfe_u32 v96, v34, 23, 1
; %bb.1248:                             ;   in Loop: Header=BB2_1013 Depth=2
	s_or_b32 exec_lo, exec_lo, s10
	s_delay_alu instid0(VALU_DEP_2) | instskip(NEXT) | instid1(VALU_DEP_2)
	v_lshrrev_b64 v[10:11], 20, v[10:11]
	v_cmp_gt_i32_e32 vcc_lo, 16, v96
	v_min_i32_e32 v34, 15, v96
	v_cmp_eq_u32_e64 s10, 0, v96
	s_delay_alu instid0(VALU_DEP_2) | instskip(SKIP_1) | instid1(VALU_DEP_2)
	v_dual_cndmask_b32 v11, 0, v11 :: v_dual_lshlrev_b32 v34, 3, v34
	v_cndmask_b32_e32 v10, 7, v10, vcc_lo
	v_and_b32_e32 v34, 0xf8, v34
	s_delay_alu instid0(VALU_DEP_2) | instskip(NEXT) | instid1(VALU_DEP_2)
	v_cmp_eq_u64_e32 vcc_lo, 0, v[10:11]
	v_and_or_b32 v10, v10, 7, v34
	s_and_b32 s10, s10, vcc_lo
	s_delay_alu instid0(VALU_DEP_1) | instid1(SALU_CYCLE_1)
	v_cndmask_b32_e64 v10, v10, 0, s10
	s_delay_alu instid0(VALU_DEP_1)
	v_or_b32_e32 v56, v10, v98
.LBB2_1249:                             ;   in Loop: Header=BB2_1013 Depth=2
	s_or_b32 exec_lo, exec_lo, s43
                                        ; implicit-def: $vgpr98
.LBB2_1250:                             ;   in Loop: Header=BB2_1013 Depth=2
	s_and_not1_saveexec_b32 s10, s42
; %bb.1251:                             ;   in Loop: Header=BB2_1013 Depth=2
	v_or_b32_e32 v56, 0x7e, v98
; %bb.1252:                             ;   in Loop: Header=BB2_1013 Depth=2
	s_or_b32 exec_lo, exec_lo, s10
                                        ; implicit-def: $vgpr11
.LBB2_1253:                             ;   in Loop: Header=BB2_1013 Depth=2
	s_and_not1_saveexec_b32 s10, s41
; %bb.1254:                             ;   in Loop: Header=BB2_1013 Depth=2
	v_or_b32_e32 v56, 0x7f, v11
; %bb.1255:                             ;   in Loop: Header=BB2_1013 Depth=2
	s_or_b32 exec_lo, exec_lo, s10
	v_dual_mov_b32 v11, 0 :: v_dual_lshrrev_b32 v10, 16, v12
	s_mov_b32 s10, exec_lo
	s_delay_alu instid0(VALU_DEP_1) | instskip(NEXT) | instid1(VALU_DEP_1)
	v_and_b32_e32 v34, 0xff, v10
	v_cmpx_ne_u16_e32 0, v34
	s_cbranch_execz .LBB2_1263
; %bb.1256:                             ;   in Loop: Header=BB2_1013 Depth=2
	v_bfrev_b32_e32 v11, 1
	s_mov_b32 s41, exec_lo
	v_cmpx_ne_u16_e32 0x80, v34
	s_cbranch_execz .LBB2_1262
; %bb.1257:                             ;   in Loop: Header=BB2_1013 Depth=2
	v_bfe_u32 v96, v12, 16, 7
	v_mov_b32_e32 v11, 0x7f800001
	s_mov_b32 s42, exec_lo
	s_delay_alu instid0(VALU_DEP_2)
	v_cmpx_ne_u32_e32 0x7f, v96
	s_cbranch_execz .LBB2_1261
; %bb.1258:                             ;   in Loop: Header=BB2_1013 Depth=2
	v_dual_lshrrev_b32 v11, 3, v96 :: v_dual_bitop2_b32 v34, 7, v10 bitop3:0x40
	s_mov_b32 s43, exec_lo
	v_cmpx_gt_u32_e32 8, v96
; %bb.1259:                             ;   in Loop: Header=BB2_1013 Depth=2
	s_delay_alu instid0(VALU_DEP_2) | instskip(NEXT) | instid1(VALU_DEP_1)
	v_clz_i32_u32_e32 v11, v34
	v_min_u32_e32 v11, 32, v11
	s_delay_alu instid0(VALU_DEP_1) | instskip(NEXT) | instid1(VALU_DEP_1)
	v_subrev_nc_u32_e32 v96, 28, v11
	v_lshlrev_b64_e32 v[96:97], v96, v[34:35]
	s_delay_alu instid0(VALU_DEP_1)
	v_dual_sub_nc_u32 v11, 29, v11 :: v_dual_bitop2_b32 v34, 7, v96 bitop3:0x40
; %bb.1260:                             ;   in Loop: Header=BB2_1013 Depth=2
	s_or_b32 exec_lo, exec_lo, s43
	v_lshlrev_b32_e32 v10, 24, v10
	s_delay_alu instid0(VALU_DEP_2) | instskip(NEXT) | instid1(VALU_DEP_3)
	v_lshlrev_b32_e32 v34, 20, v34
	v_lshl_add_u32 v11, v11, 23, 0x3c000000
	s_delay_alu instid0(VALU_DEP_3) | instskip(NEXT) | instid1(VALU_DEP_1)
	v_and_b32_e32 v10, 0x80000000, v10
	v_or3_b32 v11, v34, v10, v11
.LBB2_1261:                             ;   in Loop: Header=BB2_1013 Depth=2
	s_or_b32 exec_lo, exec_lo, s42
.LBB2_1262:                             ;   in Loop: Header=BB2_1013 Depth=2
	s_delay_alu instid0(SALU_CYCLE_1)
	s_or_b32 exec_lo, exec_lo, s41
.LBB2_1263:                             ;   in Loop: Header=BB2_1013 Depth=2
	s_delay_alu instid0(SALU_CYCLE_1) | instskip(NEXT) | instid1(VALU_DEP_1)
	s_or_b32 exec_lo, exec_lo, s10
	v_mul_f32_e32 v10, s11, v11
                                        ; implicit-def: $vgpr59
	s_mov_b32 s10, exec_lo
	s_delay_alu instid0(VALU_DEP_1) | instskip(SKIP_1) | instid1(VALU_DEP_2)
	v_and_b32_e32 v34, 0x7f800000, v10
	v_lshrrev_b32_e32 v11, 24, v10
	v_cmpx_ne_u64_e32 0x7f800000, v[34:35]
	s_xor_b32 s41, exec_lo, s10
	s_cbranch_execz .LBB2_1277
; %bb.1264:                             ;   in Loop: Header=BB2_1013 Depth=2
	v_and_b32_e32 v34, 0x7fffffff, v10
	v_and_b32_e32 v98, 0x80, v11
                                        ; implicit-def: $vgpr59
	s_mov_b32 s10, exec_lo
	s_delay_alu instid0(VALU_DEP_2)
	v_cmpx_gt_u64_e32 0x43e00001, v[34:35]
	s_xor_b32 s42, exec_lo, s10
	s_cbranch_execz .LBB2_1274
; %bb.1265:                             ;   in Loop: Header=BB2_1013 Depth=2
	v_mov_b32_e32 v59, 0
	s_mov_b32 s43, exec_lo
	v_cmpx_ne_u32_e32 0, v10
	s_cbranch_execz .LBB2_1273
; %bb.1266:                             ;   in Loop: Header=BB2_1013 Depth=2
	v_bfe_u32 v99, v10, 23, 8
	v_and_b32_e32 v34, 0x7fffff, v10
	s_delay_alu instid0(VALU_DEP_2) | instskip(NEXT) | instid1(VALU_DEP_2)
	v_cmp_gt_u32_e32 vcc_lo, 0x7a, v99
	v_or_b32_e32 v96, 0x800000, v34
	v_sub_nc_u32_e32 v11, 0x79, v99
	s_delay_alu instid0(VALU_DEP_1) | instskip(SKIP_1) | instid1(VALU_DEP_2)
	v_cndmask_b32_e32 v11, 0, v11, vcc_lo
	v_cmp_eq_u32_e32 vcc_lo, 0, v99
	v_cndmask_b32_e64 v42, v11, 0x78, vcc_lo
	v_cndmask_b32_e32 v34, v96, v34, vcc_lo
	s_delay_alu instid0(VALU_DEP_2) | instskip(NEXT) | instid1(VALU_DEP_1)
	v_dual_add_nc_u32 v10, 20, v42 :: v_dual_add_nc_u32 v97, 19, v42
	v_lshlrev_b64_e64 v[10:11], v10, -1
	s_delay_alu instid0(VALU_DEP_2) | instskip(NEXT) | instid1(VALU_DEP_2)
	v_lshlrev_b64_e64 v[96:97], v97, 1
	v_bfi_b32 v59, v11, 0, 0
	s_delay_alu instid0(VALU_DEP_3) | instskip(SKIP_1) | instid1(VALU_DEP_2)
	v_bfi_b32 v58, v10, 0, v34
	v_lshrrev_b64 v[10:11], v42, v[34:35]
	v_cmp_eq_u64_e64 s10, v[58:59], v[96:97]
	s_delay_alu instid0(VALU_DEP_2)
	v_mov_b64_e32 v[96:97], v[10:11]
	s_and_saveexec_b32 s44, s10
; %bb.1267:                             ;   in Loop: Header=BB2_1013 Depth=2
	v_bfe_u32 v34, v10, 20, 1
	s_delay_alu instid0(VALU_DEP_1) | instskip(NEXT) | instid1(VALU_DEP_1)
	v_add_nc_u64_e32 v[96:97], v[10:11], v[34:35]
	v_add_nc_u64_e32 v[96:97], -1, v[96:97]
; %bb.1268:                             ;   in Loop: Header=BB2_1013 Depth=2
	s_or_b32 exec_lo, exec_lo, s44
	v_add_nc_u32_e32 v11, 0xffffff81, v99
	v_lshrrev_b32_e32 v34, 23, v10
	s_mov_b32 s10, exec_lo
	s_delay_alu instid0(VALU_DEP_2) | instskip(NEXT) | instid1(VALU_DEP_1)
	v_cndmask_b32_e64 v11, v11, 0xffffff82, vcc_lo
	v_add3_u32 v97, v42, v11, v34
	v_and_b32_e32 v11, 0xfffff, v96
                                        ; implicit-def: $vgpr96
	s_delay_alu instid0(VALU_DEP_1) | instskip(NEXT) | instid1(VALU_DEP_1)
	v_dual_add_nc_u32 v99, 6, v97 :: v_dual_add_nc_u32 v34, v11, v10
                                        ; implicit-def: $vgpr10_vgpr11
	v_cmpx_ne_u32_e32 0, v99
	s_xor_b32 s10, exec_lo, s10
; %bb.1269:                             ;   in Loop: Header=BB2_1013 Depth=2
	s_delay_alu instid0(VALU_DEP_2) | instskip(SKIP_1) | instid1(VALU_DEP_1)
	v_cmp_lt_u64_e32 vcc_lo, 0xffffff, v[34:35]
	v_add_nc_u32_e32 v10, 7, v97
	v_cndmask_b32_e32 v96, v99, v10, vcc_lo
	v_cndmask_b32_e64 v10, 0, 1, vcc_lo
	s_delay_alu instid0(VALU_DEP_1)
	v_lshrrev_b64 v[10:11], v10, v[34:35]
; %bb.1270:                             ;   in Loop: Header=BB2_1013 Depth=2
	s_and_not1_saveexec_b32 s10, s10
; %bb.1271:                             ;   in Loop: Header=BB2_1013 Depth=2
	v_mov_b64_e32 v[10:11], v[34:35]
	v_bfe_u32 v96, v34, 23, 1
; %bb.1272:                             ;   in Loop: Header=BB2_1013 Depth=2
	s_or_b32 exec_lo, exec_lo, s10
	s_delay_alu instid0(VALU_DEP_2) | instskip(NEXT) | instid1(VALU_DEP_2)
	v_lshrrev_b64 v[10:11], 20, v[10:11]
	v_cmp_gt_i32_e32 vcc_lo, 16, v96
	v_min_i32_e32 v34, 15, v96
	v_cmp_eq_u32_e64 s10, 0, v96
	s_delay_alu instid0(VALU_DEP_2) | instskip(SKIP_1) | instid1(VALU_DEP_2)
	v_dual_cndmask_b32 v11, 0, v11 :: v_dual_lshlrev_b32 v34, 3, v34
	v_cndmask_b32_e32 v10, 7, v10, vcc_lo
	v_and_b32_e32 v34, 0xf8, v34
	s_delay_alu instid0(VALU_DEP_2) | instskip(NEXT) | instid1(VALU_DEP_2)
	v_cmp_eq_u64_e32 vcc_lo, 0, v[10:11]
	v_and_or_b32 v10, v10, 7, v34
	s_and_b32 s10, s10, vcc_lo
	s_delay_alu instid0(VALU_DEP_1) | instid1(SALU_CYCLE_1)
	v_cndmask_b32_e64 v10, v10, 0, s10
	s_delay_alu instid0(VALU_DEP_1)
	v_or_b32_e32 v59, v10, v98
.LBB2_1273:                             ;   in Loop: Header=BB2_1013 Depth=2
	s_or_b32 exec_lo, exec_lo, s43
                                        ; implicit-def: $vgpr98
.LBB2_1274:                             ;   in Loop: Header=BB2_1013 Depth=2
	s_and_not1_saveexec_b32 s10, s42
; %bb.1275:                             ;   in Loop: Header=BB2_1013 Depth=2
	v_or_b32_e32 v59, 0x7e, v98
; %bb.1276:                             ;   in Loop: Header=BB2_1013 Depth=2
	s_or_b32 exec_lo, exec_lo, s10
                                        ; implicit-def: $vgpr11
.LBB2_1277:                             ;   in Loop: Header=BB2_1013 Depth=2
	s_and_not1_saveexec_b32 s10, s41
; %bb.1278:                             ;   in Loop: Header=BB2_1013 Depth=2
	v_or_b32_e32 v59, 0x7f, v11
; %bb.1279:                             ;   in Loop: Header=BB2_1013 Depth=2
	s_or_b32 exec_lo, exec_lo, s10
	v_mov_b32_e32 v11, 0
	s_mov_b32 s10, exec_lo
	v_cmpx_lt_u32_e32 0xffffff, v12
	s_cbranch_execz .LBB2_1287
; %bb.1280:                             ;   in Loop: Header=BB2_1013 Depth=2
	v_lshrrev_b32_e32 v10, 24, v12
	v_bfrev_b32_e32 v11, 1
	s_mov_b32 s41, exec_lo
	s_delay_alu instid0(VALU_DEP_2)
	v_cmpx_ne_u32_e32 0x80, v10
	s_cbranch_execz .LBB2_1286
; %bb.1281:                             ;   in Loop: Header=BB2_1013 Depth=2
	v_bfe_u32 v96, v12, 24, 7
	v_mov_b32_e32 v11, 0x7f800001
	s_mov_b32 s42, exec_lo
	s_delay_alu instid0(VALU_DEP_2)
	v_cmpx_ne_u32_e32 0x7f, v96
	s_cbranch_execz .LBB2_1285
; %bb.1282:                             ;   in Loop: Header=BB2_1013 Depth=2
	v_dual_lshrrev_b32 v11, 3, v96 :: v_dual_bitop2_b32 v34, 7, v10 bitop3:0x40
	s_mov_b32 s43, exec_lo
	v_cmpx_gt_u32_e32 8, v96
; %bb.1283:                             ;   in Loop: Header=BB2_1013 Depth=2
	s_delay_alu instid0(VALU_DEP_2) | instskip(NEXT) | instid1(VALU_DEP_1)
	v_clz_i32_u32_e32 v11, v34
	v_min_u32_e32 v11, 32, v11
	s_delay_alu instid0(VALU_DEP_1) | instskip(NEXT) | instid1(VALU_DEP_1)
	v_subrev_nc_u32_e32 v96, 28, v11
	v_lshlrev_b64_e32 v[96:97], v96, v[34:35]
	s_delay_alu instid0(VALU_DEP_1)
	v_dual_sub_nc_u32 v11, 29, v11 :: v_dual_bitop2_b32 v34, 7, v96 bitop3:0x40
; %bb.1284:                             ;   in Loop: Header=BB2_1013 Depth=2
	s_or_b32 exec_lo, exec_lo, s43
	v_lshlrev_b32_e32 v10, 24, v10
	s_delay_alu instid0(VALU_DEP_2) | instskip(NEXT) | instid1(VALU_DEP_3)
	v_lshlrev_b32_e32 v34, 20, v34
	v_lshl_add_u32 v11, v11, 23, 0x3c000000
	s_delay_alu instid0(VALU_DEP_3) | instskip(NEXT) | instid1(VALU_DEP_1)
	v_and_b32_e32 v10, 0x80000000, v10
	v_or3_b32 v11, v34, v10, v11
.LBB2_1285:                             ;   in Loop: Header=BB2_1013 Depth=2
	s_or_b32 exec_lo, exec_lo, s42
.LBB2_1286:                             ;   in Loop: Header=BB2_1013 Depth=2
	s_delay_alu instid0(SALU_CYCLE_1)
	s_or_b32 exec_lo, exec_lo, s41
.LBB2_1287:                             ;   in Loop: Header=BB2_1013 Depth=2
	s_delay_alu instid0(SALU_CYCLE_1) | instskip(NEXT) | instid1(VALU_DEP_1)
	s_or_b32 exec_lo, exec_lo, s10
	v_mul_f32_e32 v10, s11, v11
                                        ; implicit-def: $vgpr60
	s_mov_b32 s10, exec_lo
	s_delay_alu instid0(VALU_DEP_1) | instskip(SKIP_1) | instid1(VALU_DEP_2)
	v_and_b32_e32 v34, 0x7f800000, v10
	v_lshrrev_b32_e32 v11, 24, v10
	v_cmpx_ne_u64_e32 0x7f800000, v[34:35]
	s_xor_b32 s41, exec_lo, s10
	s_cbranch_execz .LBB2_1301
; %bb.1288:                             ;   in Loop: Header=BB2_1013 Depth=2
	v_and_b32_e32 v34, 0x7fffffff, v10
	v_and_b32_e32 v98, 0x80, v11
                                        ; implicit-def: $vgpr60
	s_mov_b32 s10, exec_lo
	s_delay_alu instid0(VALU_DEP_2)
	v_cmpx_gt_u64_e32 0x43e00001, v[34:35]
	s_xor_b32 s42, exec_lo, s10
	s_cbranch_execz .LBB2_1298
; %bb.1289:                             ;   in Loop: Header=BB2_1013 Depth=2
	v_mov_b32_e32 v60, 0
	s_mov_b32 s43, exec_lo
	v_cmpx_ne_u32_e32 0, v10
	s_cbranch_execz .LBB2_1297
; %bb.1290:                             ;   in Loop: Header=BB2_1013 Depth=2
	v_bfe_u32 v99, v10, 23, 8
	v_and_b32_e32 v34, 0x7fffff, v10
	s_delay_alu instid0(VALU_DEP_2) | instskip(NEXT) | instid1(VALU_DEP_2)
	v_cmp_gt_u32_e32 vcc_lo, 0x7a, v99
	v_or_b32_e32 v96, 0x800000, v34
	v_sub_nc_u32_e32 v11, 0x79, v99
	s_delay_alu instid0(VALU_DEP_1) | instskip(SKIP_1) | instid1(VALU_DEP_2)
	v_cndmask_b32_e32 v11, 0, v11, vcc_lo
	v_cmp_eq_u32_e32 vcc_lo, 0, v99
	v_cndmask_b32_e64 v42, v11, 0x78, vcc_lo
	v_cndmask_b32_e32 v34, v96, v34, vcc_lo
	s_delay_alu instid0(VALU_DEP_2) | instskip(NEXT) | instid1(VALU_DEP_1)
	v_dual_add_nc_u32 v10, 20, v42 :: v_dual_add_nc_u32 v97, 19, v42
	v_lshlrev_b64_e64 v[10:11], v10, -1
	s_delay_alu instid0(VALU_DEP_2) | instskip(NEXT) | instid1(VALU_DEP_2)
	v_lshlrev_b64_e64 v[96:97], v97, 1
	v_bfi_b32 v73, v11, 0, 0
	s_delay_alu instid0(VALU_DEP_3) | instskip(SKIP_1) | instid1(VALU_DEP_2)
	v_bfi_b32 v72, v10, 0, v34
	v_lshrrev_b64 v[10:11], v42, v[34:35]
	v_cmp_eq_u64_e64 s10, v[72:73], v[96:97]
	s_delay_alu instid0(VALU_DEP_2)
	v_mov_b64_e32 v[96:97], v[10:11]
	s_and_saveexec_b32 s44, s10
; %bb.1291:                             ;   in Loop: Header=BB2_1013 Depth=2
	v_bfe_u32 v34, v10, 20, 1
	s_delay_alu instid0(VALU_DEP_1) | instskip(NEXT) | instid1(VALU_DEP_1)
	v_add_nc_u64_e32 v[96:97], v[10:11], v[34:35]
	v_add_nc_u64_e32 v[96:97], -1, v[96:97]
; %bb.1292:                             ;   in Loop: Header=BB2_1013 Depth=2
	s_or_b32 exec_lo, exec_lo, s44
	v_add_nc_u32_e32 v11, 0xffffff81, v99
	v_lshrrev_b32_e32 v34, 23, v10
	s_mov_b32 s10, exec_lo
	s_delay_alu instid0(VALU_DEP_2) | instskip(NEXT) | instid1(VALU_DEP_1)
	v_cndmask_b32_e64 v11, v11, 0xffffff82, vcc_lo
	v_add3_u32 v97, v42, v11, v34
	v_and_b32_e32 v11, 0xfffff, v96
                                        ; implicit-def: $vgpr96
	s_delay_alu instid0(VALU_DEP_1) | instskip(NEXT) | instid1(VALU_DEP_1)
	v_dual_add_nc_u32 v99, 6, v97 :: v_dual_add_nc_u32 v34, v11, v10
                                        ; implicit-def: $vgpr10_vgpr11
	v_cmpx_ne_u32_e32 0, v99
	s_xor_b32 s10, exec_lo, s10
; %bb.1293:                             ;   in Loop: Header=BB2_1013 Depth=2
	s_delay_alu instid0(VALU_DEP_2) | instskip(SKIP_1) | instid1(VALU_DEP_1)
	v_cmp_lt_u64_e32 vcc_lo, 0xffffff, v[34:35]
	v_add_nc_u32_e32 v10, 7, v97
	v_cndmask_b32_e32 v96, v99, v10, vcc_lo
	v_cndmask_b32_e64 v10, 0, 1, vcc_lo
	s_delay_alu instid0(VALU_DEP_1)
	v_lshrrev_b64 v[10:11], v10, v[34:35]
; %bb.1294:                             ;   in Loop: Header=BB2_1013 Depth=2
	s_and_not1_saveexec_b32 s10, s10
; %bb.1295:                             ;   in Loop: Header=BB2_1013 Depth=2
	v_mov_b64_e32 v[10:11], v[34:35]
	v_bfe_u32 v96, v34, 23, 1
; %bb.1296:                             ;   in Loop: Header=BB2_1013 Depth=2
	s_or_b32 exec_lo, exec_lo, s10
	s_delay_alu instid0(VALU_DEP_2) | instskip(NEXT) | instid1(VALU_DEP_2)
	v_lshrrev_b64 v[10:11], 20, v[10:11]
	v_cmp_gt_i32_e32 vcc_lo, 16, v96
	v_min_i32_e32 v34, 15, v96
	v_cmp_eq_u32_e64 s10, 0, v96
	s_delay_alu instid0(VALU_DEP_2) | instskip(SKIP_1) | instid1(VALU_DEP_2)
	v_dual_cndmask_b32 v11, 0, v11 :: v_dual_lshlrev_b32 v34, 3, v34
	v_cndmask_b32_e32 v10, 7, v10, vcc_lo
	v_and_b32_e32 v34, 0xf8, v34
	s_delay_alu instid0(VALU_DEP_2) | instskip(NEXT) | instid1(VALU_DEP_2)
	v_cmp_eq_u64_e32 vcc_lo, 0, v[10:11]
	v_and_or_b32 v10, v10, 7, v34
	s_and_b32 s10, s10, vcc_lo
	s_delay_alu instid0(VALU_DEP_1) | instid1(SALU_CYCLE_1)
	v_cndmask_b32_e64 v10, v10, 0, s10
	s_delay_alu instid0(VALU_DEP_1)
	v_or_b32_e32 v60, v10, v98
.LBB2_1297:                             ;   in Loop: Header=BB2_1013 Depth=2
	s_or_b32 exec_lo, exec_lo, s43
                                        ; implicit-def: $vgpr98
.LBB2_1298:                             ;   in Loop: Header=BB2_1013 Depth=2
	s_and_not1_saveexec_b32 s10, s42
; %bb.1299:                             ;   in Loop: Header=BB2_1013 Depth=2
	v_or_b32_e32 v60, 0x7e, v98
; %bb.1300:                             ;   in Loop: Header=BB2_1013 Depth=2
	s_or_b32 exec_lo, exec_lo, s10
                                        ; implicit-def: $vgpr11
.LBB2_1301:                             ;   in Loop: Header=BB2_1013 Depth=2
	s_and_not1_saveexec_b32 s10, s41
; %bb.1302:                             ;   in Loop: Header=BB2_1013 Depth=2
	v_or_b32_e32 v60, 0x7f, v11
; %bb.1303:                             ;   in Loop: Header=BB2_1013 Depth=2
	s_or_b32 exec_lo, exec_lo, s10
	v_and_b32_e32 v11, 0xff, v13
	v_dual_mov_b32 v34, v13 :: v_dual_mov_b32 v10, 0
	s_mov_b32 s10, exec_lo
	s_delay_alu instid0(VALU_DEP_2)
	v_cmpx_ne_u16_e32 0, v11
	s_cbranch_execz .LBB2_1309
; %bb.1304:                             ;   in Loop: Header=BB2_1013 Depth=2
	v_bfrev_b32_e32 v10, 1
	s_mov_b32 s41, exec_lo
	v_cmpx_ne_u16_e32 0x80, v11
	s_cbranch_execz .LBB2_1308
; %bb.1305:                             ;   in Loop: Header=BB2_1013 Depth=2
	v_and_b32_e32 v11, 0x7f, v13
	v_mov_b32_e32 v10, 0x7f800001
	s_mov_b32 s42, exec_lo
	s_delay_alu instid0(VALU_DEP_2)
	v_cmpx_ne_u32_e32 0x7f, v11
	s_cbranch_execz .LBB2_1307
; %bb.1306:                             ;   in Loop: Header=BB2_1013 Depth=2
	v_dual_lshrrev_b32 v96, 3, v11 :: v_dual_bitop2_b32 v10, 7, v13 bitop3:0x40
	v_cmp_gt_u32_e32 vcc_lo, 8, v11
	s_delay_alu instid0(VALU_DEP_2) | instskip(NEXT) | instid1(VALU_DEP_1)
	v_clz_i32_u32_e32 v10, v10
	v_min_u32_e32 v10, 32, v10
	s_delay_alu instid0(VALU_DEP_1) | instskip(SKIP_1) | instid1(VALU_DEP_1)
	v_subrev_nc_u32_e32 v97, 28, v10
	v_sub_nc_u32_e32 v10, 29, v10
	v_dual_cndmask_b32 v96, v96, v10, vcc_lo :: v_dual_cndmask_b32 v10, 0, v97, vcc_lo
	s_delay_alu instid0(VALU_DEP_1) | instskip(NEXT) | instid1(VALU_DEP_2)
	v_lshl_add_u32 v96, v96, 23, 0x3c000000
	v_lshlrev_b64_e32 v[10:11], v10, v[34:35]
	v_lshlrev_b32_e32 v11, 24, v34
	s_delay_alu instid0(VALU_DEP_1) | instskip(NEXT) | instid1(VALU_DEP_3)
	v_and_b32_e32 v11, 0x80000000, v11
	v_lshlrev_b32_e32 v10, 20, v10
	s_delay_alu instid0(VALU_DEP_1) | instskip(NEXT) | instid1(VALU_DEP_1)
	v_and_b32_e32 v10, 0x700000, v10
	v_or3_b32 v10, v10, v11, v96
.LBB2_1307:                             ;   in Loop: Header=BB2_1013 Depth=2
	s_or_b32 exec_lo, exec_lo, s42
.LBB2_1308:                             ;   in Loop: Header=BB2_1013 Depth=2
	s_delay_alu instid0(SALU_CYCLE_1)
	s_or_b32 exec_lo, exec_lo, s41
.LBB2_1309:                             ;   in Loop: Header=BB2_1013 Depth=2
	s_delay_alu instid0(SALU_CYCLE_1) | instskip(NEXT) | instid1(VALU_DEP_1)
	s_or_b32 exec_lo, exec_lo, s10
	v_dual_mul_f32 v10, s11, v10 :: v_dual_mov_b32 v97, v35
                                        ; implicit-def: $vgpr42
	s_mov_b32 s10, exec_lo
	s_delay_alu instid0(VALU_DEP_1) | instskip(SKIP_1) | instid1(VALU_DEP_2)
	v_and_b32_e32 v96, 0x7f800000, v10
	v_lshrrev_b32_e32 v11, 24, v10
	v_cmpx_ne_u64_e32 0x7f800000, v[96:97]
	s_xor_b32 s41, exec_lo, s10
	s_cbranch_execz .LBB2_1323
; %bb.1310:                             ;   in Loop: Header=BB2_1013 Depth=2
	v_and_b32_e32 v96, 0x7fffffff, v10
	v_mov_b32_e32 v97, v35
	v_and_b32_e32 v98, 0x80, v11
                                        ; implicit-def: $vgpr42
	s_mov_b32 s10, exec_lo
	s_delay_alu instid0(VALU_DEP_2)
	v_cmpx_gt_u64_e32 0x43e00001, v[96:97]
	s_xor_b32 s42, exec_lo, s10
	s_cbranch_execz .LBB2_1320
; %bb.1311:                             ;   in Loop: Header=BB2_1013 Depth=2
	v_mov_b32_e32 v42, 0
	s_mov_b32 s43, exec_lo
	v_cmpx_ne_u32_e32 0, v10
	s_cbranch_execz .LBB2_1319
; %bb.1312:                             ;   in Loop: Header=BB2_1013 Depth=2
	v_bfe_u32 v99, v10, 23, 8
	v_and_b32_e32 v96, 0x7fffff, v10
	s_mov_b32 s44, exec_lo
	s_delay_alu instid0(VALU_DEP_2) | instskip(NEXT) | instid1(VALU_DEP_2)
	v_cmp_gt_u32_e32 vcc_lo, 0x7a, v99
	v_or_b32_e32 v97, 0x800000, v96
	v_sub_nc_u32_e32 v11, 0x79, v99
	s_delay_alu instid0(VALU_DEP_1) | instskip(SKIP_1) | instid1(VALU_DEP_2)
	v_cndmask_b32_e32 v11, 0, v11, vcc_lo
	v_cmp_eq_u32_e32 vcc_lo, 0, v99
	v_cndmask_b32_e64 v42, v11, 0x78, vcc_lo
	v_dual_cndmask_b32 v96, v97, v96 :: v_dual_mov_b32 v97, v35
	s_delay_alu instid0(VALU_DEP_2) | instskip(NEXT) | instid1(VALU_DEP_1)
	v_dual_add_nc_u32 v44, 19, v42 :: v_dual_add_nc_u32 v10, 20, v42
	v_lshlrev_b64_e64 v[72:73], v44, 1
	s_delay_alu instid0(VALU_DEP_2) | instskip(NEXT) | instid1(VALU_DEP_1)
	v_lshlrev_b64_e64 v[10:11], v10, -1
	v_bfi_b32 v75, v11, 0, 0
	s_delay_alu instid0(VALU_DEP_2) | instskip(SKIP_1) | instid1(VALU_DEP_1)
	v_bfi_b32 v74, v10, 0, v96
	v_lshrrev_b64 v[10:11], v42, v[96:97]
	v_mov_b64_e32 v[96:97], v[10:11]
	s_delay_alu instid0(VALU_DEP_3)
	v_cmpx_eq_u64_e64 v[74:75], v[72:73]
; %bb.1313:                             ;   in Loop: Header=BB2_1013 Depth=2
	v_bfe_u32 v96, v10, 20, 1
	v_mov_b32_e32 v97, v35
	s_delay_alu instid0(VALU_DEP_1) | instskip(NEXT) | instid1(VALU_DEP_1)
	v_add_nc_u64_e32 v[96:97], v[10:11], v[96:97]
	v_add_nc_u64_e32 v[96:97], -1, v[96:97]
; %bb.1314:                             ;   in Loop: Header=BB2_1013 Depth=2
	s_or_b32 exec_lo, exec_lo, s44
	v_add_nc_u32_e32 v11, 0xffffff81, v99
	v_lshrrev_b32_e32 v97, 23, v10
	s_mov_b32 s10, exec_lo
	s_delay_alu instid0(VALU_DEP_2) | instskip(NEXT) | instid1(VALU_DEP_1)
	v_cndmask_b32_e64 v11, v11, 0xffffff82, vcc_lo
	v_add3_u32 v97, v42, v11, v97
	v_and_b32_e32 v11, 0xfffff, v96
                                        ; implicit-def: $vgpr96
	s_delay_alu instid0(VALU_DEP_1) | instskip(SKIP_1) | instid1(VALU_DEP_2)
	v_dual_add_nc_u32 v99, 6, v97 :: v_dual_add_nc_u32 v10, v11, v10
	v_mov_b32_e32 v11, v35
	v_cmpx_ne_u32_e32 0, v99
	s_xor_b32 s10, exec_lo, s10
; %bb.1315:                             ;   in Loop: Header=BB2_1013 Depth=2
	s_delay_alu instid0(VALU_DEP_2) | instskip(SKIP_2) | instid1(VALU_DEP_2)
	v_cmp_lt_u64_e32 vcc_lo, 0xffffff, v[10:11]
	v_add_nc_u32_e32 v96, 7, v97
	v_cndmask_b32_e64 v97, 0, 1, vcc_lo
	v_cndmask_b32_e32 v96, v99, v96, vcc_lo
	s_delay_alu instid0(VALU_DEP_2)
	v_lshrrev_b64 v[10:11], v97, v[10:11]
; %bb.1316:                             ;   in Loop: Header=BB2_1013 Depth=2
	s_and_not1_saveexec_b32 s10, s10
; %bb.1317:                             ;   in Loop: Header=BB2_1013 Depth=2
	s_delay_alu instid0(VALU_DEP_1)
	v_bfe_u32 v96, v10, 23, 1
; %bb.1318:                             ;   in Loop: Header=BB2_1013 Depth=2
	s_or_b32 exec_lo, exec_lo, s10
	s_delay_alu instid0(VALU_DEP_2) | instskip(NEXT) | instid1(VALU_DEP_2)
	v_lshrrev_b64 v[10:11], 20, v[10:11]
	v_cmp_gt_i32_e32 vcc_lo, 16, v96
	v_min_i32_e32 v97, 15, v96
	v_cmp_eq_u32_e64 s10, 0, v96
	s_delay_alu instid0(VALU_DEP_2) | instskip(SKIP_1) | instid1(VALU_DEP_2)
	v_dual_cndmask_b32 v11, 0, v11, vcc_lo :: v_dual_lshlrev_b32 v97, 3, v97
	v_cndmask_b32_e32 v10, 7, v10, vcc_lo
	v_and_b32_e32 v97, 0xf8, v97
	s_delay_alu instid0(VALU_DEP_2) | instskip(NEXT) | instid1(VALU_DEP_2)
	v_cmp_eq_u64_e32 vcc_lo, 0, v[10:11]
	v_and_or_b32 v10, v10, 7, v97
	s_and_b32 s10, s10, vcc_lo
	s_delay_alu instid0(VALU_DEP_1) | instid1(SALU_CYCLE_1)
	v_cndmask_b32_e64 v10, v10, 0, s10
	s_delay_alu instid0(VALU_DEP_1)
	v_or_b32_e32 v42, v10, v98
.LBB2_1319:                             ;   in Loop: Header=BB2_1013 Depth=2
	s_or_b32 exec_lo, exec_lo, s43
                                        ; implicit-def: $vgpr98
.LBB2_1320:                             ;   in Loop: Header=BB2_1013 Depth=2
	s_and_not1_saveexec_b32 s10, s42
; %bb.1321:                             ;   in Loop: Header=BB2_1013 Depth=2
	v_or_b32_e32 v42, 0x7e, v98
; %bb.1322:                             ;   in Loop: Header=BB2_1013 Depth=2
	s_or_b32 exec_lo, exec_lo, s10
                                        ; implicit-def: $vgpr11
.LBB2_1323:                             ;   in Loop: Header=BB2_1013 Depth=2
	s_and_not1_saveexec_b32 s10, s41
; %bb.1324:                             ;   in Loop: Header=BB2_1013 Depth=2
	v_or_b32_e32 v42, 0x7f, v11
; %bb.1325:                             ;   in Loop: Header=BB2_1013 Depth=2
	s_or_b32 exec_lo, exec_lo, s10
	v_lshrrev_b16 v11, 8, v34
	v_mov_b32_e32 v10, 0
	s_mov_b32 s10, exec_lo
	s_delay_alu instid0(VALU_DEP_2)
	v_cmpx_ne_u16_e32 0, v11
	s_cbranch_execz .LBB2_1333
; %bb.1326:                             ;   in Loop: Header=BB2_1013 Depth=2
	v_bfrev_b32_e32 v10, 1
	s_mov_b32 s41, exec_lo
	v_cmpx_ne_u16_e32 0x80, v11
	s_cbranch_execz .LBB2_1332
; %bb.1327:                             ;   in Loop: Header=BB2_1013 Depth=2
	v_and_b32_e32 v11, 0xffff, v11
	v_mov_b32_e32 v10, 0x7f800001
	s_mov_b32 s42, exec_lo
	s_delay_alu instid0(VALU_DEP_2) | instskip(NEXT) | instid1(VALU_DEP_1)
	v_and_b32_e32 v97, 0x7f, v11
	v_cmpx_ne_u32_e32 0x7f, v97
	s_cbranch_execz .LBB2_1331
; %bb.1328:                             ;   in Loop: Header=BB2_1013 Depth=2
	v_dual_mov_b32 v11, v35 :: v_dual_bitop2_b32 v10, 7, v11 bitop3:0x40
	v_lshrrev_b32_e32 v96, 3, v97
	s_mov_b32 s43, exec_lo
	v_cmpx_gt_u32_e32 8, v97
; %bb.1329:                             ;   in Loop: Header=BB2_1013 Depth=2
	s_delay_alu instid0(VALU_DEP_3) | instskip(NEXT) | instid1(VALU_DEP_1)
	v_clz_i32_u32_e32 v96, v10
	v_min_u32_e32 v96, 32, v96
	s_delay_alu instid0(VALU_DEP_1) | instskip(NEXT) | instid1(VALU_DEP_1)
	v_subrev_nc_u32_e32 v97, 28, v96
	v_lshlrev_b64_e32 v[10:11], v97, v[10:11]
	s_delay_alu instid0(VALU_DEP_1)
	v_dual_sub_nc_u32 v96, 29, v96 :: v_dual_bitop2_b32 v10, 7, v10 bitop3:0x40
; %bb.1330:                             ;   in Loop: Header=BB2_1013 Depth=2
	s_or_b32 exec_lo, exec_lo, s43
	v_lshlrev_b32_e32 v11, 16, v34
	s_delay_alu instid0(VALU_DEP_2) | instskip(NEXT) | instid1(VALU_DEP_3)
	v_lshlrev_b32_e32 v10, 20, v10
	v_lshl_add_u32 v34, v96, 23, 0x3c000000
	s_delay_alu instid0(VALU_DEP_3) | instskip(NEXT) | instid1(VALU_DEP_1)
	v_and_b32_e32 v11, 0x80000000, v11
	v_or3_b32 v10, v10, v11, v34
.LBB2_1331:                             ;   in Loop: Header=BB2_1013 Depth=2
	s_or_b32 exec_lo, exec_lo, s42
.LBB2_1332:                             ;   in Loop: Header=BB2_1013 Depth=2
	s_delay_alu instid0(SALU_CYCLE_1)
	s_or_b32 exec_lo, exec_lo, s41
.LBB2_1333:                             ;   in Loop: Header=BB2_1013 Depth=2
	s_delay_alu instid0(SALU_CYCLE_1) | instskip(NEXT) | instid1(VALU_DEP_1)
	s_or_b32 exec_lo, exec_lo, s10
	v_mul_f32_e32 v10, s11, v10
                                        ; implicit-def: $vgpr44
	s_mov_b32 s10, exec_lo
	s_delay_alu instid0(VALU_DEP_1) | instskip(SKIP_1) | instid1(VALU_DEP_2)
	v_and_b32_e32 v34, 0x7f800000, v10
	v_lshrrev_b32_e32 v11, 24, v10
	v_cmpx_ne_u64_e32 0x7f800000, v[34:35]
	s_xor_b32 s41, exec_lo, s10
	s_cbranch_execz .LBB2_1347
; %bb.1334:                             ;   in Loop: Header=BB2_1013 Depth=2
	v_and_b32_e32 v34, 0x7fffffff, v10
	v_and_b32_e32 v98, 0x80, v11
                                        ; implicit-def: $vgpr44
	s_mov_b32 s10, exec_lo
	s_delay_alu instid0(VALU_DEP_2)
	v_cmpx_gt_u64_e32 0x43e00001, v[34:35]
	s_xor_b32 s42, exec_lo, s10
	s_cbranch_execz .LBB2_1344
; %bb.1335:                             ;   in Loop: Header=BB2_1013 Depth=2
	v_mov_b32_e32 v44, 0
	s_mov_b32 s43, exec_lo
	v_cmpx_ne_u32_e32 0, v10
	s_cbranch_execz .LBB2_1343
; %bb.1336:                             ;   in Loop: Header=BB2_1013 Depth=2
	v_bfe_u32 v99, v10, 23, 8
	v_and_b32_e32 v34, 0x7fffff, v10
	s_delay_alu instid0(VALU_DEP_2) | instskip(NEXT) | instid1(VALU_DEP_2)
	v_cmp_gt_u32_e32 vcc_lo, 0x7a, v99
	v_or_b32_e32 v96, 0x800000, v34
	v_sub_nc_u32_e32 v11, 0x79, v99
	s_delay_alu instid0(VALU_DEP_1) | instskip(SKIP_1) | instid1(VALU_DEP_2)
	v_cndmask_b32_e32 v11, 0, v11, vcc_lo
	v_cmp_eq_u32_e32 vcc_lo, 0, v99
	v_cndmask_b32_e64 v44, v11, 0x78, vcc_lo
	s_delay_alu instid0(VALU_DEP_1) | instskip(SKIP_1) | instid1(VALU_DEP_2)
	v_dual_cndmask_b32 v34, v96, v34, vcc_lo :: v_dual_add_nc_u32 v10, 20, v44
	v_add_nc_u32_e32 v97, 19, v44
	v_lshlrev_b64_e64 v[10:11], v10, -1
	s_delay_alu instid0(VALU_DEP_2) | instskip(NEXT) | instid1(VALU_DEP_2)
	v_lshlrev_b64_e64 v[96:97], v97, 1
	v_bfi_b32 v73, v11, 0, 0
	s_delay_alu instid0(VALU_DEP_3) | instskip(SKIP_1) | instid1(VALU_DEP_2)
	v_bfi_b32 v72, v10, 0, v34
	v_lshrrev_b64 v[10:11], v44, v[34:35]
	v_cmp_eq_u64_e64 s10, v[72:73], v[96:97]
	s_delay_alu instid0(VALU_DEP_2)
	v_mov_b64_e32 v[96:97], v[10:11]
	s_and_saveexec_b32 s44, s10
; %bb.1337:                             ;   in Loop: Header=BB2_1013 Depth=2
	v_bfe_u32 v34, v10, 20, 1
	s_delay_alu instid0(VALU_DEP_1) | instskip(NEXT) | instid1(VALU_DEP_1)
	v_add_nc_u64_e32 v[96:97], v[10:11], v[34:35]
	v_add_nc_u64_e32 v[96:97], -1, v[96:97]
; %bb.1338:                             ;   in Loop: Header=BB2_1013 Depth=2
	s_or_b32 exec_lo, exec_lo, s44
	v_add_nc_u32_e32 v11, 0xffffff81, v99
	v_lshrrev_b32_e32 v34, 23, v10
	s_mov_b32 s10, exec_lo
	s_delay_alu instid0(VALU_DEP_2) | instskip(NEXT) | instid1(VALU_DEP_1)
	v_cndmask_b32_e64 v11, v11, 0xffffff82, vcc_lo
	v_add3_u32 v97, v44, v11, v34
	v_and_b32_e32 v11, 0xfffff, v96
                                        ; implicit-def: $vgpr96
	s_delay_alu instid0(VALU_DEP_1) | instskip(NEXT) | instid1(VALU_DEP_1)
	v_dual_add_nc_u32 v99, 6, v97 :: v_dual_add_nc_u32 v34, v11, v10
                                        ; implicit-def: $vgpr10_vgpr11
	v_cmpx_ne_u32_e32 0, v99
	s_xor_b32 s10, exec_lo, s10
; %bb.1339:                             ;   in Loop: Header=BB2_1013 Depth=2
	s_delay_alu instid0(VALU_DEP_2) | instskip(SKIP_1) | instid1(VALU_DEP_1)
	v_cmp_lt_u64_e32 vcc_lo, 0xffffff, v[34:35]
	v_add_nc_u32_e32 v10, 7, v97
	v_cndmask_b32_e32 v96, v99, v10, vcc_lo
	v_cndmask_b32_e64 v10, 0, 1, vcc_lo
	s_delay_alu instid0(VALU_DEP_1)
	v_lshrrev_b64 v[10:11], v10, v[34:35]
; %bb.1340:                             ;   in Loop: Header=BB2_1013 Depth=2
	s_and_not1_saveexec_b32 s10, s10
; %bb.1341:                             ;   in Loop: Header=BB2_1013 Depth=2
	v_mov_b64_e32 v[10:11], v[34:35]
	v_bfe_u32 v96, v34, 23, 1
; %bb.1342:                             ;   in Loop: Header=BB2_1013 Depth=2
	s_or_b32 exec_lo, exec_lo, s10
	s_delay_alu instid0(VALU_DEP_2) | instskip(NEXT) | instid1(VALU_DEP_2)
	v_lshrrev_b64 v[10:11], 20, v[10:11]
	v_cmp_gt_i32_e32 vcc_lo, 16, v96
	v_min_i32_e32 v34, 15, v96
	v_cmp_eq_u32_e64 s10, 0, v96
	s_delay_alu instid0(VALU_DEP_2) | instskip(SKIP_1) | instid1(VALU_DEP_2)
	v_dual_cndmask_b32 v11, 0, v11 :: v_dual_lshlrev_b32 v34, 3, v34
	v_cndmask_b32_e32 v10, 7, v10, vcc_lo
	v_and_b32_e32 v34, 0xf8, v34
	s_delay_alu instid0(VALU_DEP_2) | instskip(NEXT) | instid1(VALU_DEP_2)
	v_cmp_eq_u64_e32 vcc_lo, 0, v[10:11]
	v_and_or_b32 v10, v10, 7, v34
	s_and_b32 s10, s10, vcc_lo
	s_delay_alu instid0(VALU_DEP_1) | instid1(SALU_CYCLE_1)
	v_cndmask_b32_e64 v10, v10, 0, s10
	s_delay_alu instid0(VALU_DEP_1)
	v_or_b32_e32 v44, v10, v98
.LBB2_1343:                             ;   in Loop: Header=BB2_1013 Depth=2
	s_or_b32 exec_lo, exec_lo, s43
                                        ; implicit-def: $vgpr98
.LBB2_1344:                             ;   in Loop: Header=BB2_1013 Depth=2
	s_and_not1_saveexec_b32 s10, s42
; %bb.1345:                             ;   in Loop: Header=BB2_1013 Depth=2
	v_or_b32_e32 v44, 0x7e, v98
; %bb.1346:                             ;   in Loop: Header=BB2_1013 Depth=2
	s_or_b32 exec_lo, exec_lo, s10
                                        ; implicit-def: $vgpr11
.LBB2_1347:                             ;   in Loop: Header=BB2_1013 Depth=2
	s_and_not1_saveexec_b32 s10, s41
; %bb.1348:                             ;   in Loop: Header=BB2_1013 Depth=2
	v_or_b32_e32 v44, 0x7f, v11
; %bb.1349:                             ;   in Loop: Header=BB2_1013 Depth=2
	s_or_b32 exec_lo, exec_lo, s10
	v_dual_mov_b32 v11, 0 :: v_dual_lshrrev_b32 v10, 16, v13
	s_mov_b32 s10, exec_lo
	s_delay_alu instid0(VALU_DEP_1) | instskip(NEXT) | instid1(VALU_DEP_1)
	v_and_b32_e32 v34, 0xff, v10
	v_cmpx_ne_u16_e32 0, v34
	s_cbranch_execz .LBB2_1357
; %bb.1350:                             ;   in Loop: Header=BB2_1013 Depth=2
	v_bfrev_b32_e32 v11, 1
	s_mov_b32 s41, exec_lo
	v_cmpx_ne_u16_e32 0x80, v34
	s_cbranch_execz .LBB2_1356
; %bb.1351:                             ;   in Loop: Header=BB2_1013 Depth=2
	v_bfe_u32 v96, v13, 16, 7
	v_mov_b32_e32 v11, 0x7f800001
	s_mov_b32 s42, exec_lo
	s_delay_alu instid0(VALU_DEP_2)
	v_cmpx_ne_u32_e32 0x7f, v96
	s_cbranch_execz .LBB2_1355
; %bb.1352:                             ;   in Loop: Header=BB2_1013 Depth=2
	v_dual_lshrrev_b32 v11, 3, v96 :: v_dual_bitop2_b32 v34, 7, v10 bitop3:0x40
	s_mov_b32 s43, exec_lo
	v_cmpx_gt_u32_e32 8, v96
; %bb.1353:                             ;   in Loop: Header=BB2_1013 Depth=2
	s_delay_alu instid0(VALU_DEP_2) | instskip(NEXT) | instid1(VALU_DEP_1)
	v_clz_i32_u32_e32 v11, v34
	v_min_u32_e32 v11, 32, v11
	s_delay_alu instid0(VALU_DEP_1) | instskip(NEXT) | instid1(VALU_DEP_1)
	v_subrev_nc_u32_e32 v96, 28, v11
	v_lshlrev_b64_e32 v[96:97], v96, v[34:35]
	s_delay_alu instid0(VALU_DEP_1)
	v_dual_sub_nc_u32 v11, 29, v11 :: v_dual_bitop2_b32 v34, 7, v96 bitop3:0x40
; %bb.1354:                             ;   in Loop: Header=BB2_1013 Depth=2
	s_or_b32 exec_lo, exec_lo, s43
	v_lshlrev_b32_e32 v10, 24, v10
	s_delay_alu instid0(VALU_DEP_2) | instskip(NEXT) | instid1(VALU_DEP_3)
	v_lshlrev_b32_e32 v34, 20, v34
	v_lshl_add_u32 v11, v11, 23, 0x3c000000
	s_delay_alu instid0(VALU_DEP_3) | instskip(NEXT) | instid1(VALU_DEP_1)
	v_and_b32_e32 v10, 0x80000000, v10
	v_or3_b32 v11, v34, v10, v11
.LBB2_1355:                             ;   in Loop: Header=BB2_1013 Depth=2
	s_or_b32 exec_lo, exec_lo, s42
.LBB2_1356:                             ;   in Loop: Header=BB2_1013 Depth=2
	s_delay_alu instid0(SALU_CYCLE_1)
	s_or_b32 exec_lo, exec_lo, s41
.LBB2_1357:                             ;   in Loop: Header=BB2_1013 Depth=2
	s_delay_alu instid0(SALU_CYCLE_1) | instskip(NEXT) | instid1(VALU_DEP_1)
	s_or_b32 exec_lo, exec_lo, s10
	v_mul_f32_e32 v10, s11, v11
                                        ; implicit-def: $vgpr47
	s_mov_b32 s10, exec_lo
	s_delay_alu instid0(VALU_DEP_1) | instskip(SKIP_1) | instid1(VALU_DEP_2)
	v_and_b32_e32 v34, 0x7f800000, v10
	v_lshrrev_b32_e32 v11, 24, v10
	v_cmpx_ne_u64_e32 0x7f800000, v[34:35]
	s_xor_b32 s41, exec_lo, s10
	s_cbranch_execz .LBB2_1371
; %bb.1358:                             ;   in Loop: Header=BB2_1013 Depth=2
	v_and_b32_e32 v34, 0x7fffffff, v10
	v_and_b32_e32 v98, 0x80, v11
                                        ; implicit-def: $vgpr47
	s_mov_b32 s10, exec_lo
	s_delay_alu instid0(VALU_DEP_2)
	v_cmpx_gt_u64_e32 0x43e00001, v[34:35]
	s_xor_b32 s42, exec_lo, s10
	s_cbranch_execz .LBB2_1368
; %bb.1359:                             ;   in Loop: Header=BB2_1013 Depth=2
	v_mov_b32_e32 v47, 0
	s_mov_b32 s43, exec_lo
	v_cmpx_ne_u32_e32 0, v10
	s_cbranch_execz .LBB2_1367
; %bb.1360:                             ;   in Loop: Header=BB2_1013 Depth=2
	v_bfe_u32 v99, v10, 23, 8
	v_and_b32_e32 v34, 0x7fffff, v10
	s_delay_alu instid0(VALU_DEP_2) | instskip(NEXT) | instid1(VALU_DEP_2)
	v_cmp_gt_u32_e32 vcc_lo, 0x7a, v99
	v_or_b32_e32 v96, 0x800000, v34
	v_sub_nc_u32_e32 v11, 0x79, v99
	s_delay_alu instid0(VALU_DEP_1) | instskip(SKIP_1) | instid1(VALU_DEP_2)
	v_cndmask_b32_e32 v11, 0, v11, vcc_lo
	v_cmp_eq_u32_e32 vcc_lo, 0, v99
	v_cndmask_b32_e64 v47, v11, 0x78, vcc_lo
	s_delay_alu instid0(VALU_DEP_1) | instskip(SKIP_1) | instid1(VALU_DEP_2)
	v_dual_cndmask_b32 v34, v96, v34, vcc_lo :: v_dual_add_nc_u32 v10, 20, v47
	v_add_nc_u32_e32 v97, 19, v47
	v_lshlrev_b64_e64 v[10:11], v10, -1
	s_delay_alu instid0(VALU_DEP_2) | instskip(NEXT) | instid1(VALU_DEP_2)
	v_lshlrev_b64_e64 v[96:97], v97, 1
	v_bfi_b32 v73, v11, 0, 0
	s_delay_alu instid0(VALU_DEP_3) | instskip(SKIP_1) | instid1(VALU_DEP_2)
	v_bfi_b32 v72, v10, 0, v34
	v_lshrrev_b64 v[10:11], v47, v[34:35]
	v_cmp_eq_u64_e64 s10, v[72:73], v[96:97]
	s_delay_alu instid0(VALU_DEP_2)
	v_mov_b64_e32 v[96:97], v[10:11]
	s_and_saveexec_b32 s44, s10
; %bb.1361:                             ;   in Loop: Header=BB2_1013 Depth=2
	v_bfe_u32 v34, v10, 20, 1
	s_delay_alu instid0(VALU_DEP_1) | instskip(NEXT) | instid1(VALU_DEP_1)
	v_add_nc_u64_e32 v[96:97], v[10:11], v[34:35]
	v_add_nc_u64_e32 v[96:97], -1, v[96:97]
; %bb.1362:                             ;   in Loop: Header=BB2_1013 Depth=2
	s_or_b32 exec_lo, exec_lo, s44
	v_add_nc_u32_e32 v11, 0xffffff81, v99
	v_lshrrev_b32_e32 v34, 23, v10
	s_mov_b32 s10, exec_lo
	s_delay_alu instid0(VALU_DEP_2) | instskip(NEXT) | instid1(VALU_DEP_1)
	v_cndmask_b32_e64 v11, v11, 0xffffff82, vcc_lo
	v_add3_u32 v97, v47, v11, v34
	v_and_b32_e32 v11, 0xfffff, v96
                                        ; implicit-def: $vgpr96
	s_delay_alu instid0(VALU_DEP_1) | instskip(NEXT) | instid1(VALU_DEP_1)
	v_dual_add_nc_u32 v99, 6, v97 :: v_dual_add_nc_u32 v34, v11, v10
                                        ; implicit-def: $vgpr10_vgpr11
	v_cmpx_ne_u32_e32 0, v99
	s_xor_b32 s10, exec_lo, s10
; %bb.1363:                             ;   in Loop: Header=BB2_1013 Depth=2
	s_delay_alu instid0(VALU_DEP_2) | instskip(SKIP_1) | instid1(VALU_DEP_1)
	v_cmp_lt_u64_e32 vcc_lo, 0xffffff, v[34:35]
	v_add_nc_u32_e32 v10, 7, v97
	v_cndmask_b32_e32 v96, v99, v10, vcc_lo
	v_cndmask_b32_e64 v10, 0, 1, vcc_lo
	s_delay_alu instid0(VALU_DEP_1)
	v_lshrrev_b64 v[10:11], v10, v[34:35]
; %bb.1364:                             ;   in Loop: Header=BB2_1013 Depth=2
	s_and_not1_saveexec_b32 s10, s10
; %bb.1365:                             ;   in Loop: Header=BB2_1013 Depth=2
	v_mov_b64_e32 v[10:11], v[34:35]
	v_bfe_u32 v96, v34, 23, 1
; %bb.1366:                             ;   in Loop: Header=BB2_1013 Depth=2
	s_or_b32 exec_lo, exec_lo, s10
	s_delay_alu instid0(VALU_DEP_2) | instskip(NEXT) | instid1(VALU_DEP_2)
	v_lshrrev_b64 v[10:11], 20, v[10:11]
	v_cmp_gt_i32_e32 vcc_lo, 16, v96
	v_min_i32_e32 v34, 15, v96
	v_cmp_eq_u32_e64 s10, 0, v96
	s_delay_alu instid0(VALU_DEP_2) | instskip(SKIP_1) | instid1(VALU_DEP_2)
	v_dual_cndmask_b32 v11, 0, v11 :: v_dual_lshlrev_b32 v34, 3, v34
	v_cndmask_b32_e32 v10, 7, v10, vcc_lo
	v_and_b32_e32 v34, 0xf8, v34
	s_delay_alu instid0(VALU_DEP_2) | instskip(NEXT) | instid1(VALU_DEP_2)
	v_cmp_eq_u64_e32 vcc_lo, 0, v[10:11]
	v_and_or_b32 v10, v10, 7, v34
	s_and_b32 s10, s10, vcc_lo
	s_delay_alu instid0(VALU_DEP_1) | instid1(SALU_CYCLE_1)
	v_cndmask_b32_e64 v10, v10, 0, s10
	s_delay_alu instid0(VALU_DEP_1)
	v_or_b32_e32 v47, v10, v98
.LBB2_1367:                             ;   in Loop: Header=BB2_1013 Depth=2
	s_or_b32 exec_lo, exec_lo, s43
                                        ; implicit-def: $vgpr98
.LBB2_1368:                             ;   in Loop: Header=BB2_1013 Depth=2
	s_and_not1_saveexec_b32 s10, s42
; %bb.1369:                             ;   in Loop: Header=BB2_1013 Depth=2
	v_or_b32_e32 v47, 0x7e, v98
; %bb.1370:                             ;   in Loop: Header=BB2_1013 Depth=2
	s_or_b32 exec_lo, exec_lo, s10
                                        ; implicit-def: $vgpr11
.LBB2_1371:                             ;   in Loop: Header=BB2_1013 Depth=2
	s_and_not1_saveexec_b32 s10, s41
; %bb.1372:                             ;   in Loop: Header=BB2_1013 Depth=2
	v_or_b32_e32 v47, 0x7f, v11
; %bb.1373:                             ;   in Loop: Header=BB2_1013 Depth=2
	s_or_b32 exec_lo, exec_lo, s10
	v_mov_b32_e32 v11, 0
	s_mov_b32 s10, exec_lo
	v_cmpx_lt_u64_e64 s[14:15], v[12:13]
	s_cbranch_execz .LBB2_1381
; %bb.1374:                             ;   in Loop: Header=BB2_1013 Depth=2
	v_lshrrev_b32_e32 v10, 24, v13
	v_bfrev_b32_e32 v11, 1
	s_mov_b32 s41, exec_lo
	s_delay_alu instid0(VALU_DEP_2)
	v_cmpx_ne_u32_e32 0x80, v10
	s_cbranch_execz .LBB2_1380
; %bb.1375:                             ;   in Loop: Header=BB2_1013 Depth=2
	v_bfe_u32 v12, v13, 24, 7
	v_mov_b32_e32 v11, 0x7f800001
	s_mov_b32 s42, exec_lo
	s_delay_alu instid0(VALU_DEP_2)
	v_cmpx_ne_u32_e32 0x7f, v12
	s_cbranch_execz .LBB2_1379
; %bb.1376:                             ;   in Loop: Header=BB2_1013 Depth=2
	v_dual_lshrrev_b32 v11, 3, v12 :: v_dual_bitop2_b32 v34, 7, v10 bitop3:0x40
	s_mov_b32 s43, exec_lo
	v_cmpx_gt_u32_e32 8, v12
; %bb.1377:                             ;   in Loop: Header=BB2_1013 Depth=2
	s_delay_alu instid0(VALU_DEP_2) | instskip(NEXT) | instid1(VALU_DEP_1)
	v_clz_i32_u32_e32 v11, v34
	v_min_u32_e32 v11, 32, v11
	s_delay_alu instid0(VALU_DEP_1) | instskip(NEXT) | instid1(VALU_DEP_1)
	v_subrev_nc_u32_e32 v12, 28, v11
	v_lshlrev_b64_e32 v[12:13], v12, v[34:35]
	s_delay_alu instid0(VALU_DEP_1)
	v_dual_sub_nc_u32 v11, 29, v11 :: v_dual_bitop2_b32 v34, 7, v12 bitop3:0x40
; %bb.1378:                             ;   in Loop: Header=BB2_1013 Depth=2
	s_or_b32 exec_lo, exec_lo, s43
	v_lshlrev_b32_e32 v10, 24, v10
	s_delay_alu instid0(VALU_DEP_2) | instskip(NEXT) | instid1(VALU_DEP_3)
	v_lshlrev_b32_e32 v12, 20, v34
	v_lshl_add_u32 v11, v11, 23, 0x3c000000
	s_delay_alu instid0(VALU_DEP_3) | instskip(NEXT) | instid1(VALU_DEP_1)
	v_and_b32_e32 v10, 0x80000000, v10
	v_or3_b32 v11, v12, v10, v11
.LBB2_1379:                             ;   in Loop: Header=BB2_1013 Depth=2
	s_or_b32 exec_lo, exec_lo, s42
.LBB2_1380:                             ;   in Loop: Header=BB2_1013 Depth=2
	s_delay_alu instid0(SALU_CYCLE_1)
	s_or_b32 exec_lo, exec_lo, s41
.LBB2_1381:                             ;   in Loop: Header=BB2_1013 Depth=2
	s_delay_alu instid0(SALU_CYCLE_1) | instskip(NEXT) | instid1(VALU_DEP_1)
	s_or_b32 exec_lo, exec_lo, s10
	v_mul_f32_e32 v10, s11, v11
                                        ; implicit-def: $vgpr58
	s_mov_b32 s10, exec_lo
	s_delay_alu instid0(VALU_DEP_1) | instskip(SKIP_1) | instid1(VALU_DEP_2)
	v_and_b32_e32 v34, 0x7f800000, v10
	v_lshrrev_b32_e32 v11, 24, v10
	v_cmpx_ne_u64_e32 0x7f800000, v[34:35]
	s_xor_b32 s11, exec_lo, s10
	s_cbranch_execz .LBB2_1395
; %bb.1382:                             ;   in Loop: Header=BB2_1013 Depth=2
	v_and_b32_e32 v34, 0x7fffffff, v10
	v_and_b32_e32 v96, 0x80, v11
                                        ; implicit-def: $vgpr58
	s_mov_b32 s10, exec_lo
	s_delay_alu instid0(VALU_DEP_2)
	v_cmpx_gt_u64_e32 0x43e00001, v[34:35]
	s_xor_b32 s41, exec_lo, s10
	s_cbranch_execz .LBB2_1392
; %bb.1383:                             ;   in Loop: Header=BB2_1013 Depth=2
	v_mov_b32_e32 v58, 0
	s_mov_b32 s42, exec_lo
	v_cmpx_ne_u32_e32 0, v10
	s_cbranch_execz .LBB2_1391
; %bb.1384:                             ;   in Loop: Header=BB2_1013 Depth=2
	v_bfe_u32 v97, v10, 23, 8
	v_and_b32_e32 v12, 0x7fffff, v10
	s_delay_alu instid0(VALU_DEP_2) | instskip(NEXT) | instid1(VALU_DEP_2)
	v_cmp_gt_u32_e32 vcc_lo, 0x7a, v97
	v_or_b32_e32 v13, 0x800000, v12
	v_sub_nc_u32_e32 v11, 0x79, v97
	s_delay_alu instid0(VALU_DEP_1) | instskip(SKIP_1) | instid1(VALU_DEP_2)
	v_cndmask_b32_e32 v11, 0, v11, vcc_lo
	v_cmp_eq_u32_e32 vcc_lo, 0, v97
	v_cndmask_b32_e64 v98, v11, 0x78, vcc_lo
	s_delay_alu instid0(VALU_DEP_1) | instskip(SKIP_1) | instid1(VALU_DEP_2)
	v_dual_cndmask_b32 v34, v13, v12, vcc_lo :: v_dual_add_nc_u32 v10, 20, v98
	v_add_nc_u32_e32 v99, 19, v98
	v_lshlrev_b64_e64 v[10:11], v10, -1
	s_delay_alu instid0(VALU_DEP_2) | instskip(NEXT) | instid1(VALU_DEP_2)
	v_lshlrev_b64_e64 v[12:13], v99, 1
	v_bfi_b32 v73, v11, 0, 0
	s_delay_alu instid0(VALU_DEP_3) | instskip(SKIP_1) | instid1(VALU_DEP_2)
	v_bfi_b32 v72, v10, 0, v34
	v_lshrrev_b64 v[10:11], v98, v[34:35]
	v_cmp_eq_u64_e64 s10, v[72:73], v[12:13]
	s_delay_alu instid0(VALU_DEP_2)
	v_mov_b64_e32 v[12:13], v[10:11]
	s_and_saveexec_b32 s43, s10
; %bb.1385:                             ;   in Loop: Header=BB2_1013 Depth=2
	v_bfe_u32 v34, v10, 20, 1
	s_delay_alu instid0(VALU_DEP_1) | instskip(NEXT) | instid1(VALU_DEP_1)
	v_add_nc_u64_e32 v[12:13], v[10:11], v[34:35]
	v_add_nc_u64_e32 v[12:13], -1, v[12:13]
; %bb.1386:                             ;   in Loop: Header=BB2_1013 Depth=2
	s_or_b32 exec_lo, exec_lo, s43
	v_add_nc_u32_e32 v11, 0xffffff81, v97
	v_lshrrev_b32_e32 v13, 23, v10
	s_mov_b32 s10, exec_lo
	s_delay_alu instid0(VALU_DEP_2) | instskip(NEXT) | instid1(VALU_DEP_1)
	v_cndmask_b32_e64 v11, v11, 0xffffff82, vcc_lo
	v_add3_u32 v13, v98, v11, v13
	v_and_b32_e32 v11, 0xfffff, v12
                                        ; implicit-def: $vgpr12
	s_delay_alu instid0(VALU_DEP_1) | instskip(NEXT) | instid1(VALU_DEP_1)
	v_dual_add_nc_u32 v97, 6, v13 :: v_dual_add_nc_u32 v34, v11, v10
                                        ; implicit-def: $vgpr10_vgpr11
	v_cmpx_ne_u32_e32 0, v97
	s_xor_b32 s10, exec_lo, s10
; %bb.1387:                             ;   in Loop: Header=BB2_1013 Depth=2
	s_delay_alu instid0(VALU_DEP_2) | instskip(SKIP_1) | instid1(VALU_DEP_1)
	v_cmp_lt_u64_e32 vcc_lo, 0xffffff, v[34:35]
	v_add_nc_u32_e32 v10, 7, v13
	v_cndmask_b32_e32 v12, v97, v10, vcc_lo
	v_cndmask_b32_e64 v10, 0, 1, vcc_lo
	s_delay_alu instid0(VALU_DEP_1)
	v_lshrrev_b64 v[10:11], v10, v[34:35]
; %bb.1388:                             ;   in Loop: Header=BB2_1013 Depth=2
	s_and_not1_saveexec_b32 s10, s10
; %bb.1389:                             ;   in Loop: Header=BB2_1013 Depth=2
	v_mov_b64_e32 v[10:11], v[34:35]
	v_bfe_u32 v12, v34, 23, 1
; %bb.1390:                             ;   in Loop: Header=BB2_1013 Depth=2
	s_or_b32 exec_lo, exec_lo, s10
	s_delay_alu instid0(VALU_DEP_2) | instskip(NEXT) | instid1(VALU_DEP_2)
	v_lshrrev_b64 v[10:11], 20, v[10:11]
	v_cmp_gt_i32_e32 vcc_lo, 16, v12
	v_min_i32_e32 v13, 15, v12
	v_cmp_eq_u32_e64 s10, 0, v12
	s_delay_alu instid0(VALU_DEP_2) | instskip(SKIP_1) | instid1(VALU_DEP_2)
	v_dual_cndmask_b32 v11, 0, v11, vcc_lo :: v_dual_lshlrev_b32 v13, 3, v13
	v_cndmask_b32_e32 v10, 7, v10, vcc_lo
	v_and_b32_e32 v13, 0xf8, v13
	s_delay_alu instid0(VALU_DEP_2) | instskip(NEXT) | instid1(VALU_DEP_2)
	v_cmp_eq_u64_e32 vcc_lo, 0, v[10:11]
	v_and_or_b32 v10, v10, 7, v13
	s_and_b32 s10, s10, vcc_lo
	s_delay_alu instid0(VALU_DEP_1) | instid1(SALU_CYCLE_1)
	v_cndmask_b32_e64 v10, v10, 0, s10
	s_delay_alu instid0(VALU_DEP_1)
	v_or_b32_e32 v58, v10, v96
.LBB2_1391:                             ;   in Loop: Header=BB2_1013 Depth=2
	s_or_b32 exec_lo, exec_lo, s42
                                        ; implicit-def: $vgpr96
.LBB2_1392:                             ;   in Loop: Header=BB2_1013 Depth=2
	s_and_not1_saveexec_b32 s10, s41
; %bb.1393:                             ;   in Loop: Header=BB2_1013 Depth=2
	v_or_b32_e32 v58, 0x7e, v96
; %bb.1394:                             ;   in Loop: Header=BB2_1013 Depth=2
	s_or_b32 exec_lo, exec_lo, s10
                                        ; implicit-def: $vgpr11
.LBB2_1395:                             ;   in Loop: Header=BB2_1013 Depth=2
	s_and_not1_saveexec_b32 s10, s11
; %bb.1396:                             ;   in Loop: Header=BB2_1013 Depth=2
	v_or_b32_e32 v58, 0x7f, v11
; %bb.1397:                             ;   in Loop: Header=BB2_1013 Depth=2
	s_or_b32 exec_lo, exec_lo, s10
	global_load_b128 v[10:13], v[86:87], off th:TH_LOAD_NT
	v_lshl_or_b32 v57, v41, 8, v30
	v_dual_lshlrev_b32 v34, 16, v43 :: v_dual_lshlrev_b32 v96, 24, v46
	s_mov_b32 s10, exec_lo
	s_delay_alu instid0(VALU_DEP_1)
	v_or3_b32 v34, v34, v96, v57
	v_mov_b32_e32 v96, 0
	s_wait_xcnt 0x0
	v_cmpx_ne_u32_e32 0, v30
	s_cbranch_execz .LBB2_1403
; %bb.1398:                             ;   in Loop: Header=BB2_1013 Depth=2
	v_bfrev_b32_e32 v96, 1
	s_mov_b32 s11, exec_lo
	v_cmpx_ne_u32_e32 0x80, v30
	s_cbranch_execz .LBB2_1402
; %bb.1399:                             ;   in Loop: Header=BB2_1013 Depth=2
	v_and_b32_e32 v97, 0x7f, v30
	v_mov_b32_e32 v96, 0x7f800001
	s_mov_b32 s41, exec_lo
	s_delay_alu instid0(VALU_DEP_2)
	v_cmpx_ne_u32_e32 0x7f, v97
	s_cbranch_execz .LBB2_1401
; %bb.1400:                             ;   in Loop: Header=BB2_1013 Depth=2
	v_dual_lshrrev_b32 v96, 3, v97 :: v_dual_bitop2_b32 v30, 7, v30 bitop3:0x40
	v_cmp_gt_u32_e32 vcc_lo, 8, v97
	s_delay_alu instid0(VALU_DEP_2) | instskip(NEXT) | instid1(VALU_DEP_1)
	v_clz_i32_u32_e32 v30, v30
	v_min_u32_e32 v30, 32, v30
	s_delay_alu instid0(VALU_DEP_1) | instskip(SKIP_1) | instid1(VALU_DEP_1)
	v_subrev_nc_u32_e32 v98, 28, v30
	v_sub_nc_u32_e32 v30, 29, v30
	v_cndmask_b32_e32 v30, v96, v30, vcc_lo
	s_delay_alu instid0(VALU_DEP_3) | instskip(NEXT) | instid1(VALU_DEP_2)
	v_cndmask_b32_e32 v96, 0, v98, vcc_lo
	v_lshl_add_u32 v30, v30, 23, 0x3c000000
	s_delay_alu instid0(VALU_DEP_2) | instskip(SKIP_1) | instid1(VALU_DEP_1)
	v_lshlrev_b64_e32 v[96:97], v96, v[34:35]
	v_lshlrev_b32_e32 v97, 24, v34
	v_and_b32_e32 v97, 0x80000000, v97
	s_delay_alu instid0(VALU_DEP_3) | instskip(NEXT) | instid1(VALU_DEP_1)
	v_lshlrev_b32_e32 v96, 20, v96
	v_and_b32_e32 v96, 0x700000, v96
	s_delay_alu instid0(VALU_DEP_1)
	v_or3_b32 v96, v96, v97, v30
.LBB2_1401:                             ;   in Loop: Header=BB2_1013 Depth=2
	s_or_b32 exec_lo, exec_lo, s41
.LBB2_1402:                             ;   in Loop: Header=BB2_1013 Depth=2
	s_delay_alu instid0(SALU_CYCLE_1)
	s_or_b32 exec_lo, exec_lo, s11
.LBB2_1403:                             ;   in Loop: Header=BB2_1013 Depth=2
	s_delay_alu instid0(SALU_CYCLE_1) | instskip(SKIP_4) | instid1(VALU_DEP_1)
	s_or_b32 exec_lo, exec_lo, s10
	s_wait_loadcnt 0x0
	v_and_b32_e32 v97, 0xff, v10
	s_mov_b32 s10, 0
	s_mov_b32 s11, exec_lo
	v_cmpx_lt_i16_e32 0x7f, v97
	s_xor_b32 s11, exec_lo, s11
	s_cbranch_execnz .LBB2_1434
; %bb.1404:                             ;   in Loop: Header=BB2_1013 Depth=2
	s_or_saveexec_b32 s11, s11
	v_bfrev_b32_e32 v30, 1
	s_xor_b32 exec_lo, exec_lo, s11
	s_cbranch_execnz .LBB2_1437
.LBB2_1405:                             ;   in Loop: Header=BB2_1013 Depth=2
	s_or_b32 exec_lo, exec_lo, s11
	s_and_saveexec_b32 s11, s10
	s_cbranch_execz .LBB2_1407
.LBB2_1406:                             ;   in Loop: Header=BB2_1013 Depth=2
	v_and_b32_e32 v97, 0x7f, v10
	v_bfe_u32 v98, v10, 3, 4
	s_delay_alu instid0(VALU_DEP_2) | instskip(SKIP_1) | instid1(VALU_DEP_1)
	v_cmp_gt_u32_e32 vcc_lo, 8, v97
	v_and_b32_e32 v30, 7, v10
	v_clz_i32_u32_e32 v30, v30
	s_delay_alu instid0(VALU_DEP_1) | instskip(NEXT) | instid1(VALU_DEP_1)
	v_min_u32_e32 v30, 32, v30
	v_subrev_nc_u32_e32 v99, 28, v30
	v_sub_nc_u32_e32 v30, 29, v30
	s_delay_alu instid0(VALU_DEP_1) | instskip(SKIP_1) | instid1(VALU_DEP_2)
	v_dual_cndmask_b32 v30, v98, v30, vcc_lo :: v_dual_cndmask_b32 v98, 0, v99, vcc_lo
	v_cmp_ne_u32_e32 vcc_lo, 0x7f, v97
	v_lshl_add_u32 v30, v30, 23, 0x3c000000
	s_delay_alu instid0(VALU_DEP_3) | instskip(SKIP_1) | instid1(VALU_DEP_1)
	v_lshlrev_b64_e32 v[98:99], v98, v[10:11]
	v_lshlrev_b32_e32 v99, 24, v10
	v_and_b32_e32 v99, 0x80000000, v99
	s_delay_alu instid0(VALU_DEP_3) | instskip(NEXT) | instid1(VALU_DEP_1)
	v_lshlrev_b32_e32 v98, 20, v98
	v_and_b32_e32 v98, 0x700000, v98
	s_delay_alu instid0(VALU_DEP_1) | instskip(NEXT) | instid1(VALU_DEP_1)
	v_or3_b32 v30, v98, v99, v30
	v_cndmask_b32_e32 v30, 0x7f800001, v30, vcc_lo
.LBB2_1407:                             ;   in Loop: Header=BB2_1013 Depth=2
	s_or_b32 exec_lo, exec_lo, s11
	s_delay_alu instid0(VALU_DEP_1) | instskip(SKIP_1) | instid1(VALU_DEP_1)
	v_dual_add_f32 v96, v96, v30 :: v_dual_mov_b32 v99, v35
                                        ; implicit-def: $vgpr41
	s_mov_b32 s10, exec_lo
	v_and_b32_e32 v98, 0x7f800000, v96
	v_lshrrev_b32_e32 v30, 24, v96
	s_delay_alu instid0(VALU_DEP_2)
	v_cmpx_ne_u64_e32 0x7f800000, v[98:99]
	s_xor_b32 s11, exec_lo, s10
	s_cbranch_execz .LBB2_1421
; %bb.1408:                             ;   in Loop: Header=BB2_1013 Depth=2
	v_and_b32_e32 v98, 0x7fffffff, v96
	v_mov_b32_e32 v99, v35
	v_and_b32_e32 v30, 0x80, v30
                                        ; implicit-def: $vgpr41
	s_mov_b32 s10, exec_lo
	s_delay_alu instid0(VALU_DEP_2)
	v_cmpx_gt_u64_e32 0x43e00001, v[98:99]
	s_xor_b32 s41, exec_lo, s10
	s_cbranch_execz .LBB2_1418
; %bb.1409:                             ;   in Loop: Header=BB2_1013 Depth=2
	v_mov_b32_e32 v41, 0
	s_mov_b32 s42, exec_lo
	v_cmpx_ne_u32_e32 0, v96
	s_cbranch_execz .LBB2_1417
; %bb.1410:                             ;   in Loop: Header=BB2_1013 Depth=2
	v_bfe_u32 v41, v96, 23, 8
	v_and_b32_e32 v98, 0x7fffff, v96
	s_mov_b32 s43, exec_lo
	s_delay_alu instid0(VALU_DEP_2) | instskip(NEXT) | instid1(VALU_DEP_2)
	v_cmp_gt_u32_e32 vcc_lo, 0x7a, v41
	v_or_b32_e32 v99, 0x800000, v98
	v_sub_nc_u32_e32 v97, 0x79, v41
	s_delay_alu instid0(VALU_DEP_1) | instskip(SKIP_1) | instid1(VALU_DEP_2)
	v_cndmask_b32_e32 v97, 0, v97, vcc_lo
	v_cmp_eq_u32_e32 vcc_lo, 0, v41
	v_cndmask_b32_e64 v43, v97, 0x78, vcc_lo
	v_cndmask_b32_e32 v98, v99, v98, vcc_lo
	s_delay_alu instid0(VALU_DEP_2) | instskip(SKIP_1) | instid1(VALU_DEP_2)
	v_dual_mov_b32 v99, v35 :: v_dual_add_nc_u32 v46, 19, v43
	v_add_nc_u32_e32 v96, 20, v43
	v_lshlrev_b64_e64 v[72:73], v46, 1
	s_delay_alu instid0(VALU_DEP_2) | instskip(NEXT) | instid1(VALU_DEP_1)
	v_lshlrev_b64_e64 v[96:97], v96, -1
	v_bfi_b32 v75, v97, 0, 0
	s_delay_alu instid0(VALU_DEP_2) | instskip(SKIP_1) | instid1(VALU_DEP_1)
	v_bfi_b32 v74, v96, 0, v98
	v_lshrrev_b64 v[96:97], v43, v[98:99]
	v_mov_b64_e32 v[98:99], v[96:97]
	s_delay_alu instid0(VALU_DEP_3)
	v_cmpx_eq_u64_e64 v[74:75], v[72:73]
; %bb.1411:                             ;   in Loop: Header=BB2_1013 Depth=2
	v_bfe_u32 v98, v96, 20, 1
	v_mov_b32_e32 v99, v35
	s_delay_alu instid0(VALU_DEP_1) | instskip(NEXT) | instid1(VALU_DEP_1)
	v_add_nc_u64_e32 v[98:99], v[96:97], v[98:99]
	v_add_nc_u64_e32 v[98:99], -1, v[98:99]
; %bb.1412:                             ;   in Loop: Header=BB2_1013 Depth=2
	s_or_b32 exec_lo, exec_lo, s43
	v_add_nc_u32_e32 v97, 0xffffff81, v41
	v_lshrrev_b32_e32 v99, 23, v96
	s_mov_b32 s10, exec_lo
	s_delay_alu instid0(VALU_DEP_2) | instskip(NEXT) | instid1(VALU_DEP_1)
	v_cndmask_b32_e64 v97, v97, 0xffffff82, vcc_lo
	v_add3_u32 v99, v43, v97, v99
	v_and_b32_e32 v97, 0xfffff, v98
                                        ; implicit-def: $vgpr98
	s_delay_alu instid0(VALU_DEP_1) | instskip(SKIP_1) | instid1(VALU_DEP_2)
	v_dual_add_nc_u32 v41, 6, v99 :: v_dual_add_nc_u32 v96, v97, v96
	v_mov_b32_e32 v97, v35
	v_cmpx_ne_u32_e32 0, v41
	s_xor_b32 s10, exec_lo, s10
; %bb.1413:                             ;   in Loop: Header=BB2_1013 Depth=2
	s_delay_alu instid0(VALU_DEP_2) | instskip(SKIP_2) | instid1(VALU_DEP_2)
	v_cmp_lt_u64_e32 vcc_lo, 0xffffff, v[96:97]
	v_add_nc_u32_e32 v98, 7, v99
	v_cndmask_b32_e64 v99, 0, 1, vcc_lo
	v_cndmask_b32_e32 v98, v41, v98, vcc_lo
	s_delay_alu instid0(VALU_DEP_2)
	v_lshrrev_b64 v[96:97], v99, v[96:97]
; %bb.1414:                             ;   in Loop: Header=BB2_1013 Depth=2
	s_and_not1_saveexec_b32 s10, s10
; %bb.1415:                             ;   in Loop: Header=BB2_1013 Depth=2
	s_delay_alu instid0(VALU_DEP_1)
	v_bfe_u32 v98, v96, 23, 1
; %bb.1416:                             ;   in Loop: Header=BB2_1013 Depth=2
	s_or_b32 exec_lo, exec_lo, s10
	s_delay_alu instid0(VALU_DEP_2) | instskip(NEXT) | instid1(VALU_DEP_2)
	v_lshrrev_b64 v[96:97], 20, v[96:97]
	v_cmp_gt_i32_e32 vcc_lo, 16, v98
	v_min_i32_e32 v99, 15, v98
	v_cmp_eq_u32_e64 s10, 0, v98
	s_delay_alu instid0(VALU_DEP_2) | instskip(SKIP_1) | instid1(VALU_DEP_2)
	v_dual_cndmask_b32 v97, 0, v97, vcc_lo :: v_dual_lshlrev_b32 v99, 3, v99
	v_cndmask_b32_e32 v96, 7, v96, vcc_lo
	v_and_b32_e32 v99, 0xf8, v99
	s_delay_alu instid0(VALU_DEP_2) | instskip(NEXT) | instid1(VALU_DEP_2)
	v_cmp_eq_u64_e32 vcc_lo, 0, v[96:97]
	v_and_or_b32 v96, v96, 7, v99
	s_and_b32 s10, s10, vcc_lo
	s_delay_alu instid0(VALU_DEP_1) | instid1(SALU_CYCLE_1)
	v_cndmask_b32_e64 v96, v96, 0, s10
	s_delay_alu instid0(VALU_DEP_1)
	v_or_b32_e32 v41, v96, v30
.LBB2_1417:                             ;   in Loop: Header=BB2_1013 Depth=2
	s_or_b32 exec_lo, exec_lo, s42
                                        ; implicit-def: $vgpr30
.LBB2_1418:                             ;   in Loop: Header=BB2_1013 Depth=2
	s_and_not1_saveexec_b32 s10, s41
; %bb.1419:                             ;   in Loop: Header=BB2_1013 Depth=2
	v_or_b32_e32 v41, 0x7e, v30
; %bb.1420:                             ;   in Loop: Header=BB2_1013 Depth=2
	s_or_b32 exec_lo, exec_lo, s10
                                        ; implicit-def: $vgpr30
.LBB2_1421:                             ;   in Loop: Header=BB2_1013 Depth=2
	s_and_not1_saveexec_b32 s10, s11
; %bb.1422:                             ;   in Loop: Header=BB2_1013 Depth=2
	v_or_b32_e32 v41, 0x7f, v30
; %bb.1423:                             ;   in Loop: Header=BB2_1013 Depth=2
	s_or_b32 exec_lo, exec_lo, s10
	v_lshrrev_b16 v30, 8, v57
	v_mov_b32_e32 v96, 0
	s_mov_b32 s10, exec_lo
	s_delay_alu instid0(VALU_DEP_2)
	v_cmpx_ne_u16_e32 0, v30
	s_cbranch_execz .LBB2_1431
; %bb.1424:                             ;   in Loop: Header=BB2_1013 Depth=2
	v_bfrev_b32_e32 v96, 1
	s_mov_b32 s11, exec_lo
	v_cmpx_ne_u16_e32 0x80, v30
	s_cbranch_execz .LBB2_1430
; %bb.1425:                             ;   in Loop: Header=BB2_1013 Depth=2
	v_and_b32_e32 v30, 0xffff, v30
	v_mov_b32_e32 v96, 0x7f800001
	s_mov_b32 s41, exec_lo
	s_delay_alu instid0(VALU_DEP_2) | instskip(NEXT) | instid1(VALU_DEP_1)
	v_and_b32_e32 v98, 0x7f, v30
	v_cmpx_ne_u32_e32 0x7f, v98
	s_cbranch_execz .LBB2_1429
; %bb.1426:                             ;   in Loop: Header=BB2_1013 Depth=2
	v_dual_mov_b32 v97, v35 :: v_dual_bitop2_b32 v96, 7, v30 bitop3:0x40
	v_lshrrev_b32_e32 v30, 3, v98
	s_mov_b32 s42, exec_lo
	v_cmpx_gt_u32_e32 8, v98
; %bb.1427:                             ;   in Loop: Header=BB2_1013 Depth=2
	s_delay_alu instid0(VALU_DEP_3) | instskip(NEXT) | instid1(VALU_DEP_1)
	v_clz_i32_u32_e32 v30, v96
	v_min_u32_e32 v30, 32, v30
	s_delay_alu instid0(VALU_DEP_1) | instskip(NEXT) | instid1(VALU_DEP_1)
	v_subrev_nc_u32_e32 v98, 28, v30
	v_lshlrev_b64_e32 v[96:97], v98, v[96:97]
	s_delay_alu instid0(VALU_DEP_1)
	v_dual_sub_nc_u32 v30, 29, v30 :: v_dual_bitop2_b32 v96, 7, v96 bitop3:0x40
; %bb.1428:                             ;   in Loop: Header=BB2_1013 Depth=2
	s_or_b32 exec_lo, exec_lo, s42
	s_delay_alu instid0(VALU_DEP_1) | instskip(NEXT) | instid1(VALU_DEP_2)
	v_dual_lshlrev_b32 v97, 16, v57 :: v_dual_lshlrev_b32 v96, 20, v96
	v_lshl_add_u32 v30, v30, 23, 0x3c000000
	s_delay_alu instid0(VALU_DEP_2) | instskip(NEXT) | instid1(VALU_DEP_1)
	v_and_b32_e32 v97, 0x80000000, v97
	v_or3_b32 v96, v96, v97, v30
.LBB2_1429:                             ;   in Loop: Header=BB2_1013 Depth=2
	s_or_b32 exec_lo, exec_lo, s41
.LBB2_1430:                             ;   in Loop: Header=BB2_1013 Depth=2
	s_delay_alu instid0(SALU_CYCLE_1)
	s_or_b32 exec_lo, exec_lo, s11
.LBB2_1431:                             ;   in Loop: Header=BB2_1013 Depth=2
	s_delay_alu instid0(SALU_CYCLE_1) | instskip(SKIP_3) | instid1(VALU_DEP_1)
	s_or_b32 exec_lo, exec_lo, s10
	v_lshrrev_b16 v97, 8, v10
	s_mov_b32 s11, 0
	s_mov_b32 s10, exec_lo
	v_cmpx_lt_i16_e32 0x7f, v97
	s_xor_b32 s10, exec_lo, s10
	s_cbranch_execnz .LBB2_1438
; %bb.1432:                             ;   in Loop: Header=BB2_1013 Depth=2
	s_or_saveexec_b32 s10, s10
	v_bfrev_b32_e32 v98, 1
	s_xor_b32 exec_lo, exec_lo, s10
	s_cbranch_execnz .LBB2_1441
.LBB2_1433:                             ;   in Loop: Header=BB2_1013 Depth=2
	s_or_b32 exec_lo, exec_lo, s10
	s_and_saveexec_b32 s10, s11
	s_cbranch_execnz .LBB2_1442
	s_branch .LBB2_1445
.LBB2_1434:                             ;   in Loop: Header=BB2_1013 Depth=2
	s_mov_b32 s10, -1
	s_mov_b32 s41, exec_lo
	v_cmpx_eq_u16_e32 0x80, v97
; %bb.1435:                             ;   in Loop: Header=BB2_1013 Depth=2
	s_xor_b32 s10, exec_lo, -1
; %bb.1436:                             ;   in Loop: Header=BB2_1013 Depth=2
	s_or_b32 exec_lo, exec_lo, s41
	s_delay_alu instid0(SALU_CYCLE_1)
	s_and_b32 s10, s10, exec_lo
                                        ; implicit-def: $vgpr97
	s_or_saveexec_b32 s11, s11
	v_bfrev_b32_e32 v30, 1
	s_xor_b32 exec_lo, exec_lo, s11
	s_cbranch_execz .LBB2_1405
.LBB2_1437:                             ;   in Loop: Header=BB2_1013 Depth=2
	v_cmp_ne_u16_e32 vcc_lo, 0, v97
	v_mov_b32_e32 v30, 0
	s_and_not1_b32 s10, s10, exec_lo
	s_and_b32 s41, vcc_lo, exec_lo
	s_delay_alu instid0(SALU_CYCLE_1)
	s_or_b32 s10, s10, s41
	s_or_b32 exec_lo, exec_lo, s11
	s_and_saveexec_b32 s11, s10
	s_cbranch_execnz .LBB2_1406
	s_branch .LBB2_1407
.LBB2_1438:                             ;   in Loop: Header=BB2_1013 Depth=2
	s_mov_b32 s11, -1
	s_mov_b32 s41, exec_lo
	v_cmpx_eq_u16_e32 0x80, v97
; %bb.1439:                             ;   in Loop: Header=BB2_1013 Depth=2
	s_xor_b32 s11, exec_lo, -1
; %bb.1440:                             ;   in Loop: Header=BB2_1013 Depth=2
	s_or_b32 exec_lo, exec_lo, s41
	s_delay_alu instid0(SALU_CYCLE_1)
	s_and_b32 s11, s11, exec_lo
	s_or_saveexec_b32 s10, s10
	v_bfrev_b32_e32 v98, 1
	s_xor_b32 exec_lo, exec_lo, s10
	s_cbranch_execz .LBB2_1433
.LBB2_1441:                             ;   in Loop: Header=BB2_1013 Depth=2
	v_cmp_ne_u16_e32 vcc_lo, 0, v97
	v_mov_b32_e32 v98, 0
	s_and_not1_b32 s11, s11, exec_lo
	s_and_b32 s41, vcc_lo, exec_lo
	s_delay_alu instid0(SALU_CYCLE_1)
	s_or_b32 s11, s11, s41
	s_or_b32 exec_lo, exec_lo, s10
	s_and_saveexec_b32 s10, s11
	s_cbranch_execz .LBB2_1445
.LBB2_1442:                             ;   in Loop: Header=BB2_1013 Depth=2
	v_and_b32_e32 v30, 0xffff, v97
	v_mov_b32_e32 v98, 0x7f800001
	s_mov_b32 s11, exec_lo
	s_delay_alu instid0(VALU_DEP_2) | instskip(NEXT) | instid1(VALU_DEP_1)
	v_and_b32_e32 v99, 0x7f, v30
	v_cmpx_ne_u32_e32 0x7f, v99
	s_cbranch_execz .LBB2_1444
; %bb.1443:                             ;   in Loop: Header=BB2_1013 Depth=2
	v_and_b32_e32 v98, 7, v30
	v_cmp_gt_u32_e32 vcc_lo, 8, v99
	s_delay_alu instid0(VALU_DEP_2) | instskip(NEXT) | instid1(VALU_DEP_1)
	v_clz_i32_u32_e32 v43, v98
	v_min_u32_e32 v43, 32, v43
	s_delay_alu instid0(VALU_DEP_1) | instskip(NEXT) | instid1(VALU_DEP_1)
	v_subrev_nc_u32_e32 v46, 28, v43
	v_lshlrev_b64_e32 v[72:73], v46, v[30:31]
	v_lshrrev_b32_e32 v30, 3, v99
	s_delay_alu instid0(VALU_DEP_2) | instskip(NEXT) | instid1(VALU_DEP_1)
	v_dual_sub_nc_u32 v43, 29, v43 :: v_dual_bitop2_b32 v99, 7, v72 bitop3:0x40
	v_dual_cndmask_b32 v30, v30, v43 :: v_dual_lshlrev_b32 v97, 24, v97
	s_delay_alu instid0(VALU_DEP_2) | instskip(NEXT) | instid1(VALU_DEP_2)
	v_cndmask_b32_e32 v98, v98, v99, vcc_lo
	v_and_b32_e32 v97, 0x80000000, v97
	s_delay_alu instid0(VALU_DEP_3) | instskip(NEXT) | instid1(VALU_DEP_3)
	v_lshl_add_u32 v30, v30, 23, 0x3c000000
	v_lshlrev_b32_e32 v98, 20, v98
	s_delay_alu instid0(VALU_DEP_1)
	v_or3_b32 v98, v98, v97, v30
.LBB2_1444:                             ;   in Loop: Header=BB2_1013 Depth=2
	s_or_b32 exec_lo, exec_lo, s11
.LBB2_1445:                             ;   in Loop: Header=BB2_1013 Depth=2
	s_delay_alu instid0(SALU_CYCLE_1) | instskip(NEXT) | instid1(VALU_DEP_1)
	s_or_b32 exec_lo, exec_lo, s10
	v_dual_add_f32 v96, v96, v98 :: v_dual_mov_b32 v99, v35
                                        ; implicit-def: $vgpr43
	s_mov_b32 s10, exec_lo
	s_delay_alu instid0(VALU_DEP_1) | instskip(SKIP_1) | instid1(VALU_DEP_2)
	v_and_b32_e32 v98, 0x7f800000, v96
	v_lshrrev_b32_e32 v30, 24, v96
	v_cmpx_ne_u64_e32 0x7f800000, v[98:99]
	s_xor_b32 s11, exec_lo, s10
	s_cbranch_execz .LBB2_1459
; %bb.1446:                             ;   in Loop: Header=BB2_1013 Depth=2
	v_and_b32_e32 v98, 0x7fffffff, v96
	v_mov_b32_e32 v99, v35
	v_and_b32_e32 v30, 0x80, v30
                                        ; implicit-def: $vgpr43
	s_mov_b32 s10, exec_lo
	s_delay_alu instid0(VALU_DEP_2)
	v_cmpx_gt_u64_e32 0x43e00001, v[98:99]
	s_xor_b32 s41, exec_lo, s10
	s_cbranch_execz .LBB2_1456
; %bb.1447:                             ;   in Loop: Header=BB2_1013 Depth=2
	v_mov_b32_e32 v43, 0
	s_mov_b32 s42, exec_lo
	v_cmpx_ne_u32_e32 0, v96
	s_cbranch_execz .LBB2_1455
; %bb.1448:                             ;   in Loop: Header=BB2_1013 Depth=2
	v_bfe_u32 v43, v96, 23, 8
	v_and_b32_e32 v98, 0x7fffff, v96
	s_mov_b32 s43, exec_lo
	s_delay_alu instid0(VALU_DEP_2) | instskip(NEXT) | instid1(VALU_DEP_2)
	v_cmp_gt_u32_e32 vcc_lo, 0x7a, v43
	v_or_b32_e32 v99, 0x800000, v98
	v_sub_nc_u32_e32 v97, 0x79, v43
	s_delay_alu instid0(VALU_DEP_1) | instskip(SKIP_1) | instid1(VALU_DEP_2)
	v_cndmask_b32_e32 v97, 0, v97, vcc_lo
	v_cmp_eq_u32_e32 vcc_lo, 0, v43
	v_cndmask_b32_e64 v46, v97, 0x78, vcc_lo
	v_cndmask_b32_e32 v98, v99, v98, vcc_lo
	s_delay_alu instid0(VALU_DEP_2) | instskip(SKIP_1) | instid1(VALU_DEP_2)
	v_dual_mov_b32 v99, v35 :: v_dual_add_nc_u32 v57, 19, v46
	v_add_nc_u32_e32 v96, 20, v46
	v_lshlrev_b64_e64 v[72:73], v57, 1
	s_delay_alu instid0(VALU_DEP_2) | instskip(NEXT) | instid1(VALU_DEP_1)
	v_lshlrev_b64_e64 v[96:97], v96, -1
	v_bfi_b32 v75, v97, 0, 0
	s_delay_alu instid0(VALU_DEP_2) | instskip(SKIP_1) | instid1(VALU_DEP_1)
	v_bfi_b32 v74, v96, 0, v98
	v_lshrrev_b64 v[96:97], v46, v[98:99]
	v_mov_b64_e32 v[98:99], v[96:97]
	s_delay_alu instid0(VALU_DEP_3)
	v_cmpx_eq_u64_e64 v[74:75], v[72:73]
; %bb.1449:                             ;   in Loop: Header=BB2_1013 Depth=2
	v_bfe_u32 v98, v96, 20, 1
	v_mov_b32_e32 v99, v35
	s_delay_alu instid0(VALU_DEP_1) | instskip(NEXT) | instid1(VALU_DEP_1)
	v_add_nc_u64_e32 v[98:99], v[96:97], v[98:99]
	v_add_nc_u64_e32 v[98:99], -1, v[98:99]
; %bb.1450:                             ;   in Loop: Header=BB2_1013 Depth=2
	s_or_b32 exec_lo, exec_lo, s43
	v_add_nc_u32_e32 v97, 0xffffff81, v43
	v_lshrrev_b32_e32 v99, 23, v96
	s_mov_b32 s10, exec_lo
	s_delay_alu instid0(VALU_DEP_2) | instskip(NEXT) | instid1(VALU_DEP_1)
	v_cndmask_b32_e64 v97, v97, 0xffffff82, vcc_lo
	v_add3_u32 v99, v46, v97, v99
	v_and_b32_e32 v97, 0xfffff, v98
                                        ; implicit-def: $vgpr98
	s_delay_alu instid0(VALU_DEP_1) | instskip(SKIP_1) | instid1(VALU_DEP_2)
	v_dual_add_nc_u32 v43, 6, v99 :: v_dual_add_nc_u32 v96, v97, v96
	v_mov_b32_e32 v97, v35
	v_cmpx_ne_u32_e32 0, v43
	s_xor_b32 s10, exec_lo, s10
; %bb.1451:                             ;   in Loop: Header=BB2_1013 Depth=2
	s_delay_alu instid0(VALU_DEP_2) | instskip(SKIP_2) | instid1(VALU_DEP_2)
	v_cmp_lt_u64_e32 vcc_lo, 0xffffff, v[96:97]
	v_add_nc_u32_e32 v98, 7, v99
	v_cndmask_b32_e64 v99, 0, 1, vcc_lo
	v_cndmask_b32_e32 v98, v43, v98, vcc_lo
	s_delay_alu instid0(VALU_DEP_2)
	v_lshrrev_b64 v[96:97], v99, v[96:97]
; %bb.1452:                             ;   in Loop: Header=BB2_1013 Depth=2
	s_and_not1_saveexec_b32 s10, s10
; %bb.1453:                             ;   in Loop: Header=BB2_1013 Depth=2
	s_delay_alu instid0(VALU_DEP_1)
	v_bfe_u32 v98, v96, 23, 1
; %bb.1454:                             ;   in Loop: Header=BB2_1013 Depth=2
	s_or_b32 exec_lo, exec_lo, s10
	s_delay_alu instid0(VALU_DEP_2) | instskip(NEXT) | instid1(VALU_DEP_2)
	v_lshrrev_b64 v[96:97], 20, v[96:97]
	v_cmp_gt_i32_e32 vcc_lo, 16, v98
	v_min_i32_e32 v99, 15, v98
	v_cmp_eq_u32_e64 s10, 0, v98
	s_delay_alu instid0(VALU_DEP_2) | instskip(SKIP_1) | instid1(VALU_DEP_2)
	v_dual_cndmask_b32 v97, 0, v97, vcc_lo :: v_dual_lshlrev_b32 v99, 3, v99
	v_cndmask_b32_e32 v96, 7, v96, vcc_lo
	v_and_b32_e32 v99, 0xf8, v99
	s_delay_alu instid0(VALU_DEP_2) | instskip(NEXT) | instid1(VALU_DEP_2)
	v_cmp_eq_u64_e32 vcc_lo, 0, v[96:97]
	v_and_or_b32 v96, v96, 7, v99
	s_and_b32 s10, s10, vcc_lo
	s_delay_alu instid0(VALU_DEP_1) | instid1(SALU_CYCLE_1)
	v_cndmask_b32_e64 v96, v96, 0, s10
	s_delay_alu instid0(VALU_DEP_1)
	v_or_b32_e32 v43, v96, v30
.LBB2_1455:                             ;   in Loop: Header=BB2_1013 Depth=2
	s_or_b32 exec_lo, exec_lo, s42
                                        ; implicit-def: $vgpr30
.LBB2_1456:                             ;   in Loop: Header=BB2_1013 Depth=2
	s_and_not1_saveexec_b32 s10, s41
; %bb.1457:                             ;   in Loop: Header=BB2_1013 Depth=2
	v_or_b32_e32 v43, 0x7e, v30
; %bb.1458:                             ;   in Loop: Header=BB2_1013 Depth=2
	s_or_b32 exec_lo, exec_lo, s10
                                        ; implicit-def: $vgpr30
.LBB2_1459:                             ;   in Loop: Header=BB2_1013 Depth=2
	s_and_not1_saveexec_b32 s10, s11
; %bb.1460:                             ;   in Loop: Header=BB2_1013 Depth=2
	v_or_b32_e32 v43, 0x7f, v30
; %bb.1461:                             ;   in Loop: Header=BB2_1013 Depth=2
	s_or_b32 exec_lo, exec_lo, s10
	v_dual_lshrrev_b32 v30, 16, v34 :: v_dual_mov_b32 v96, 0
	s_mov_b32 s10, exec_lo
	s_delay_alu instid0(VALU_DEP_1) | instskip(NEXT) | instid1(VALU_DEP_1)
	v_and_b32_e32 v97, 0xff, v30
	v_cmpx_ne_u16_e32 0, v97
	s_cbranch_execz .LBB2_1469
; %bb.1462:                             ;   in Loop: Header=BB2_1013 Depth=2
	v_bfrev_b32_e32 v96, 1
	s_mov_b32 s11, exec_lo
	v_cmpx_ne_u16_e32 0x80, v97
	s_cbranch_execz .LBB2_1468
; %bb.1463:                             ;   in Loop: Header=BB2_1013 Depth=2
	v_bfe_u32 v99, v34, 16, 7
	v_mov_b32_e32 v96, 0x7f800001
	s_mov_b32 s41, exec_lo
	s_delay_alu instid0(VALU_DEP_2)
	v_cmpx_ne_u32_e32 0x7f, v99
	s_cbranch_execz .LBB2_1467
; %bb.1464:                             ;   in Loop: Header=BB2_1013 Depth=2
	v_dual_mov_b32 v97, v35 :: v_dual_bitop2_b32 v96, 7, v30 bitop3:0x40
	v_lshrrev_b32_e32 v98, 3, v99
	s_mov_b32 s42, exec_lo
	v_cmpx_gt_u32_e32 8, v99
; %bb.1465:                             ;   in Loop: Header=BB2_1013 Depth=2
	s_delay_alu instid0(VALU_DEP_3) | instskip(NEXT) | instid1(VALU_DEP_1)
	v_clz_i32_u32_e32 v98, v96
	v_min_u32_e32 v98, 32, v98
	s_delay_alu instid0(VALU_DEP_1) | instskip(NEXT) | instid1(VALU_DEP_1)
	v_subrev_nc_u32_e32 v99, 28, v98
	v_lshlrev_b64_e32 v[96:97], v99, v[96:97]
	s_delay_alu instid0(VALU_DEP_1)
	v_dual_sub_nc_u32 v98, 29, v98 :: v_dual_bitop2_b32 v96, 7, v96 bitop3:0x40
; %bb.1466:                             ;   in Loop: Header=BB2_1013 Depth=2
	s_or_b32 exec_lo, exec_lo, s42
	s_delay_alu instid0(VALU_DEP_1) | instskip(NEXT) | instid1(VALU_DEP_2)
	v_dual_lshlrev_b32 v30, 24, v30 :: v_dual_lshlrev_b32 v96, 20, v96
	v_lshl_add_u32 v97, v98, 23, 0x3c000000
	s_delay_alu instid0(VALU_DEP_2) | instskip(NEXT) | instid1(VALU_DEP_1)
	v_and_b32_e32 v30, 0x80000000, v30
	v_or3_b32 v96, v96, v30, v97
.LBB2_1467:                             ;   in Loop: Header=BB2_1013 Depth=2
	s_or_b32 exec_lo, exec_lo, s41
.LBB2_1468:                             ;   in Loop: Header=BB2_1013 Depth=2
	s_delay_alu instid0(SALU_CYCLE_1)
	s_or_b32 exec_lo, exec_lo, s11
.LBB2_1469:                             ;   in Loop: Header=BB2_1013 Depth=2
	s_delay_alu instid0(SALU_CYCLE_1) | instskip(SKIP_3) | instid1(VALU_DEP_1)
	s_or_b32 exec_lo, exec_lo, s10
	v_lshrrev_b32_e32 v30, 16, v10
	s_mov_b32 s11, 0
	s_mov_b32 s10, exec_lo
	v_and_b32_e32 v98, 0xff, v30
	s_delay_alu instid0(VALU_DEP_1)
	v_cmpx_lt_i16_e32 0x7f, v98
	s_xor_b32 s10, exec_lo, s10
	s_cbranch_execnz .LBB2_1472
; %bb.1470:                             ;   in Loop: Header=BB2_1013 Depth=2
	s_or_saveexec_b32 s10, s10
	v_bfrev_b32_e32 v97, 1
	s_xor_b32 exec_lo, exec_lo, s10
	s_cbranch_execnz .LBB2_1475
.LBB2_1471:                             ;   in Loop: Header=BB2_1013 Depth=2
	s_or_b32 exec_lo, exec_lo, s10
	s_and_saveexec_b32 s10, s11
	s_cbranch_execnz .LBB2_1476
	s_branch .LBB2_1479
.LBB2_1472:                             ;   in Loop: Header=BB2_1013 Depth=2
	s_mov_b32 s11, -1
	s_mov_b32 s41, exec_lo
	v_cmpx_eq_u16_e32 0x80, v98
; %bb.1473:                             ;   in Loop: Header=BB2_1013 Depth=2
	s_xor_b32 s11, exec_lo, -1
; %bb.1474:                             ;   in Loop: Header=BB2_1013 Depth=2
	s_or_b32 exec_lo, exec_lo, s41
	s_delay_alu instid0(SALU_CYCLE_1)
	s_and_b32 s11, s11, exec_lo
                                        ; implicit-def: $vgpr98
	s_or_saveexec_b32 s10, s10
	v_bfrev_b32_e32 v97, 1
	s_xor_b32 exec_lo, exec_lo, s10
	s_cbranch_execz .LBB2_1471
.LBB2_1475:                             ;   in Loop: Header=BB2_1013 Depth=2
	v_cmp_ne_u16_e32 vcc_lo, 0, v98
	v_mov_b32_e32 v97, 0
	s_and_not1_b32 s11, s11, exec_lo
	s_and_b32 s41, vcc_lo, exec_lo
	s_delay_alu instid0(SALU_CYCLE_1)
	s_or_b32 s11, s11, s41
	s_or_b32 exec_lo, exec_lo, s10
	s_and_saveexec_b32 s10, s11
	s_cbranch_execz .LBB2_1479
.LBB2_1476:                             ;   in Loop: Header=BB2_1013 Depth=2
	v_and_b32_e32 v98, 0x7f, v30
	v_mov_b32_e32 v97, 0x7f800001
	s_mov_b32 s11, exec_lo
	s_delay_alu instid0(VALU_DEP_2)
	v_cmpx_ne_u32_e32 0x7f, v98
	s_cbranch_execz .LBB2_1478
; %bb.1477:                             ;   in Loop: Header=BB2_1013 Depth=2
	v_and_b32_e32 v97, 7, v30
	v_cmp_gt_u32_e32 vcc_lo, 8, v98
	s_delay_alu instid0(VALU_DEP_2) | instskip(NEXT) | instid1(VALU_DEP_1)
	v_clz_i32_u32_e32 v99, v97
	v_min_u32_e32 v99, 32, v99
	s_delay_alu instid0(VALU_DEP_1) | instskip(SKIP_1) | instid1(VALU_DEP_2)
	v_subrev_nc_u32_e32 v46, 28, v99
	v_sub_nc_u32_e32 v99, 29, v99
	v_lshlrev_b64_e32 v[72:73], v46, v[30:31]
	s_delay_alu instid0(VALU_DEP_1) | instskip(NEXT) | instid1(VALU_DEP_1)
	v_dual_lshrrev_b32 v46, 3, v98 :: v_dual_bitop2_b32 v98, 7, v72 bitop3:0x40
	v_dual_cndmask_b32 v99, v46, v99 :: v_dual_lshlrev_b32 v30, 24, v30
	s_delay_alu instid0(VALU_DEP_2) | instskip(NEXT) | instid1(VALU_DEP_2)
	v_cndmask_b32_e32 v97, v97, v98, vcc_lo
	v_and_b32_e32 v30, 0x80000000, v30
	s_delay_alu instid0(VALU_DEP_3) | instskip(NEXT) | instid1(VALU_DEP_3)
	v_lshl_add_u32 v98, v99, 23, 0x3c000000
	v_lshlrev_b32_e32 v97, 20, v97
	s_delay_alu instid0(VALU_DEP_1)
	v_or3_b32 v97, v97, v30, v98
.LBB2_1478:                             ;   in Loop: Header=BB2_1013 Depth=2
	s_or_b32 exec_lo, exec_lo, s11
.LBB2_1479:                             ;   in Loop: Header=BB2_1013 Depth=2
	s_delay_alu instid0(SALU_CYCLE_1) | instskip(NEXT) | instid1(VALU_DEP_1)
	s_or_b32 exec_lo, exec_lo, s10
	v_dual_add_f32 v96, v96, v97 :: v_dual_mov_b32 v99, v35
                                        ; implicit-def: $vgpr46
	s_mov_b32 s10, exec_lo
	s_delay_alu instid0(VALU_DEP_1) | instskip(SKIP_1) | instid1(VALU_DEP_2)
	v_and_b32_e32 v98, 0x7f800000, v96
	v_lshrrev_b32_e32 v30, 24, v96
	v_cmpx_ne_u64_e32 0x7f800000, v[98:99]
	s_xor_b32 s11, exec_lo, s10
	s_cbranch_execz .LBB2_1493
; %bb.1480:                             ;   in Loop: Header=BB2_1013 Depth=2
	v_and_b32_e32 v98, 0x7fffffff, v96
	v_mov_b32_e32 v99, v35
	v_and_b32_e32 v30, 0x80, v30
                                        ; implicit-def: $vgpr46
	s_mov_b32 s10, exec_lo
	s_delay_alu instid0(VALU_DEP_2)
	v_cmpx_gt_u64_e32 0x43e00001, v[98:99]
	s_xor_b32 s41, exec_lo, s10
	s_cbranch_execz .LBB2_1490
; %bb.1481:                             ;   in Loop: Header=BB2_1013 Depth=2
	v_mov_b32_e32 v46, 0
	s_mov_b32 s42, exec_lo
	v_cmpx_ne_u32_e32 0, v96
	s_cbranch_execz .LBB2_1489
; %bb.1482:                             ;   in Loop: Header=BB2_1013 Depth=2
	v_bfe_u32 v46, v96, 23, 8
	v_and_b32_e32 v98, 0x7fffff, v96
	s_mov_b32 s43, exec_lo
	s_delay_alu instid0(VALU_DEP_2) | instskip(SKIP_1) | instid1(VALU_DEP_3)
	v_sub_nc_u32_e32 v97, 0x79, v46
	v_cmp_gt_u32_e32 vcc_lo, 0x7a, v46
	v_or_b32_e32 v99, 0x800000, v98
	s_delay_alu instid0(VALU_DEP_3) | instskip(SKIP_1) | instid1(VALU_DEP_3)
	v_cndmask_b32_e32 v97, 0, v97, vcc_lo
	v_cmp_eq_u32_e32 vcc_lo, 0, v46
	v_cndmask_b32_e32 v98, v99, v98, vcc_lo
	s_delay_alu instid0(VALU_DEP_3) | instskip(NEXT) | instid1(VALU_DEP_1)
	v_cndmask_b32_e64 v57, v97, 0x78, vcc_lo
	v_dual_mov_b32 v99, v35 :: v_dual_add_nc_u32 v96, 20, v57
	v_add_nc_u32_e32 v63, 19, v57
	s_delay_alu instid0(VALU_DEP_2) | instskip(NEXT) | instid1(VALU_DEP_2)
	v_lshlrev_b64_e64 v[96:97], v96, -1
	v_lshlrev_b64_e64 v[72:73], v63, 1
	s_delay_alu instid0(VALU_DEP_2) | instskip(NEXT) | instid1(VALU_DEP_3)
	v_bfi_b32 v75, v97, 0, 0
	v_bfi_b32 v74, v96, 0, v98
	v_lshrrev_b64 v[96:97], v57, v[98:99]
	s_delay_alu instid0(VALU_DEP_1) | instskip(NEXT) | instid1(VALU_DEP_3)
	v_mov_b64_e32 v[98:99], v[96:97]
	v_cmpx_eq_u64_e64 v[74:75], v[72:73]
; %bb.1483:                             ;   in Loop: Header=BB2_1013 Depth=2
	v_bfe_u32 v98, v96, 20, 1
	v_mov_b32_e32 v99, v35
	s_delay_alu instid0(VALU_DEP_1) | instskip(NEXT) | instid1(VALU_DEP_1)
	v_add_nc_u64_e32 v[98:99], v[96:97], v[98:99]
	v_add_nc_u64_e32 v[98:99], -1, v[98:99]
; %bb.1484:                             ;   in Loop: Header=BB2_1013 Depth=2
	s_or_b32 exec_lo, exec_lo, s43
	v_add_nc_u32_e32 v97, 0xffffff81, v46
	v_lshrrev_b32_e32 v99, 23, v96
	s_mov_b32 s10, exec_lo
	s_delay_alu instid0(VALU_DEP_2) | instskip(NEXT) | instid1(VALU_DEP_1)
	v_cndmask_b32_e64 v97, v97, 0xffffff82, vcc_lo
	v_add3_u32 v99, v57, v97, v99
	v_and_b32_e32 v97, 0xfffff, v98
                                        ; implicit-def: $vgpr98
	s_delay_alu instid0(VALU_DEP_1) | instskip(SKIP_1) | instid1(VALU_DEP_2)
	v_dual_add_nc_u32 v46, 6, v99 :: v_dual_add_nc_u32 v96, v97, v96
	v_mov_b32_e32 v97, v35
	v_cmpx_ne_u32_e32 0, v46
	s_xor_b32 s10, exec_lo, s10
; %bb.1485:                             ;   in Loop: Header=BB2_1013 Depth=2
	s_delay_alu instid0(VALU_DEP_2) | instskip(SKIP_2) | instid1(VALU_DEP_2)
	v_cmp_lt_u64_e32 vcc_lo, 0xffffff, v[96:97]
	v_add_nc_u32_e32 v98, 7, v99
	v_cndmask_b32_e64 v99, 0, 1, vcc_lo
	v_cndmask_b32_e32 v98, v46, v98, vcc_lo
	s_delay_alu instid0(VALU_DEP_2)
	v_lshrrev_b64 v[96:97], v99, v[96:97]
; %bb.1486:                             ;   in Loop: Header=BB2_1013 Depth=2
	s_and_not1_saveexec_b32 s10, s10
; %bb.1487:                             ;   in Loop: Header=BB2_1013 Depth=2
	s_delay_alu instid0(VALU_DEP_1)
	v_bfe_u32 v98, v96, 23, 1
; %bb.1488:                             ;   in Loop: Header=BB2_1013 Depth=2
	s_or_b32 exec_lo, exec_lo, s10
	s_delay_alu instid0(VALU_DEP_2) | instskip(NEXT) | instid1(VALU_DEP_2)
	v_lshrrev_b64 v[96:97], 20, v[96:97]
	v_cmp_gt_i32_e32 vcc_lo, 16, v98
	v_min_i32_e32 v99, 15, v98
	v_cmp_eq_u32_e64 s10, 0, v98
	s_delay_alu instid0(VALU_DEP_2) | instskip(SKIP_1) | instid1(VALU_DEP_2)
	v_dual_cndmask_b32 v97, 0, v97, vcc_lo :: v_dual_lshlrev_b32 v99, 3, v99
	v_cndmask_b32_e32 v96, 7, v96, vcc_lo
	v_and_b32_e32 v99, 0xf8, v99
	s_delay_alu instid0(VALU_DEP_2) | instskip(NEXT) | instid1(VALU_DEP_2)
	v_cmp_eq_u64_e32 vcc_lo, 0, v[96:97]
	v_and_or_b32 v96, v96, 7, v99
	s_and_b32 s10, s10, vcc_lo
	s_delay_alu instid0(VALU_DEP_1) | instid1(SALU_CYCLE_1)
	v_cndmask_b32_e64 v96, v96, 0, s10
	s_delay_alu instid0(VALU_DEP_1)
	v_or_b32_e32 v46, v96, v30
.LBB2_1489:                             ;   in Loop: Header=BB2_1013 Depth=2
	s_or_b32 exec_lo, exec_lo, s42
                                        ; implicit-def: $vgpr30
.LBB2_1490:                             ;   in Loop: Header=BB2_1013 Depth=2
	s_and_not1_saveexec_b32 s10, s41
; %bb.1491:                             ;   in Loop: Header=BB2_1013 Depth=2
	v_or_b32_e32 v46, 0x7e, v30
; %bb.1492:                             ;   in Loop: Header=BB2_1013 Depth=2
	s_or_b32 exec_lo, exec_lo, s10
                                        ; implicit-def: $vgpr30
.LBB2_1493:                             ;   in Loop: Header=BB2_1013 Depth=2
	s_and_not1_saveexec_b32 s10, s11
; %bb.1494:                             ;   in Loop: Header=BB2_1013 Depth=2
	v_or_b32_e32 v46, 0x7f, v30
; %bb.1495:                             ;   in Loop: Header=BB2_1013 Depth=2
	s_or_b32 exec_lo, exec_lo, s10
	v_mov_b32_e32 v96, 0
	s_mov_b32 s10, exec_lo
	v_cmpx_lt_u32_e32 0xffffff, v34
	s_cbranch_execz .LBB2_1503
; %bb.1496:                             ;   in Loop: Header=BB2_1013 Depth=2
	v_lshrrev_b32_e32 v30, 24, v34
	v_bfrev_b32_e32 v96, 1
	s_mov_b32 s11, exec_lo
	s_delay_alu instid0(VALU_DEP_2)
	v_cmpx_ne_u32_e32 0x80, v30
	s_cbranch_execz .LBB2_1502
; %bb.1497:                             ;   in Loop: Header=BB2_1013 Depth=2
	v_bfe_u32 v97, v34, 24, 7
	v_mov_b32_e32 v96, 0x7f800001
	s_mov_b32 s41, exec_lo
	s_delay_alu instid0(VALU_DEP_2)
	v_cmpx_ne_u32_e32 0x7f, v97
	s_cbranch_execz .LBB2_1501
; %bb.1498:                             ;   in Loop: Header=BB2_1013 Depth=2
	v_dual_lshrrev_b32 v96, 3, v97 :: v_dual_bitop2_b32 v34, 7, v30 bitop3:0x40
	s_mov_b32 s42, exec_lo
	v_cmpx_gt_u32_e32 8, v97
; %bb.1499:                             ;   in Loop: Header=BB2_1013 Depth=2
	s_delay_alu instid0(VALU_DEP_2) | instskip(NEXT) | instid1(VALU_DEP_1)
	v_clz_i32_u32_e32 v96, v34
	v_min_u32_e32 v96, 32, v96
	s_delay_alu instid0(VALU_DEP_1) | instskip(NEXT) | instid1(VALU_DEP_1)
	v_subrev_nc_u32_e32 v97, 28, v96
	v_lshlrev_b64_e32 v[98:99], v97, v[34:35]
	s_delay_alu instid0(VALU_DEP_1)
	v_dual_sub_nc_u32 v96, 29, v96 :: v_dual_bitop2_b32 v34, 7, v98 bitop3:0x40
; %bb.1500:                             ;   in Loop: Header=BB2_1013 Depth=2
	s_or_b32 exec_lo, exec_lo, s42
	v_lshlrev_b32_e32 v30, 24, v30
	s_delay_alu instid0(VALU_DEP_2) | instskip(NEXT) | instid1(VALU_DEP_3)
	v_lshlrev_b32_e32 v34, 20, v34
	v_lshl_add_u32 v96, v96, 23, 0x3c000000
	s_delay_alu instid0(VALU_DEP_3) | instskip(NEXT) | instid1(VALU_DEP_1)
	v_and_b32_e32 v30, 0x80000000, v30
	v_or3_b32 v96, v34, v30, v96
.LBB2_1501:                             ;   in Loop: Header=BB2_1013 Depth=2
	s_or_b32 exec_lo, exec_lo, s41
.LBB2_1502:                             ;   in Loop: Header=BB2_1013 Depth=2
	s_delay_alu instid0(SALU_CYCLE_1)
	s_or_b32 exec_lo, exec_lo, s11
.LBB2_1503:                             ;   in Loop: Header=BB2_1013 Depth=2
	s_delay_alu instid0(SALU_CYCLE_1) | instskip(SKIP_3) | instid1(VALU_DEP_3)
	s_or_b32 exec_lo, exec_lo, s10
	v_lshrrev_b32_e32 v30, 24, v10
	v_bfe_u32 v34, v10, 24, 7
	v_cmp_gt_u32_e64 s11, 0x1000000, v10
	v_cmp_eq_u32_e32 vcc_lo, 0x80, v30
	s_delay_alu instid0(VALU_DEP_3) | instskip(SKIP_2) | instid1(VALU_DEP_1)
	v_cmp_eq_u32_e64 s10, 0x7f, v34
	v_cndmask_b32_e32 v97, 0x7f800001, v116, vcc_lo
	s_or_b32 s10, vcc_lo, s10
	v_cndmask_b32_e64 v97, v97, 0, s11
	s_nor_b32 s11, s11, s10
	s_delay_alu instid0(SALU_CYCLE_1)
	s_and_saveexec_b32 s10, s11
	s_cbranch_execz .LBB2_1505
; %bb.1504:                             ;   in Loop: Header=BB2_1013 Depth=2
	v_and_b32_e32 v97, 7, v30
	v_cmp_gt_u32_e32 vcc_lo, 8, v34
	s_delay_alu instid0(VALU_DEP_2) | instskip(NEXT) | instid1(VALU_DEP_1)
	v_clz_i32_u32_e32 v98, v97
	v_min_u32_e32 v57, 32, v98
	s_delay_alu instid0(VALU_DEP_1) | instskip(SKIP_1) | instid1(VALU_DEP_2)
	v_subrev_nc_u32_e32 v98, 28, v57
	v_sub_nc_u32_e32 v57, 29, v57
	v_lshlrev_b64_e32 v[98:99], v98, v[30:31]
	v_lshrrev_b32_e32 v99, 3, v34
	v_lshlrev_b32_e32 v30, 24, v30
	s_delay_alu instid0(VALU_DEP_1) | instskip(NEXT) | instid1(VALU_DEP_4)
	v_and_b32_e32 v30, 0x80000000, v30
	v_and_b32_e32 v34, 7, v98
	s_delay_alu instid0(VALU_DEP_1) | instskip(NEXT) | instid1(VALU_DEP_1)
	v_dual_cndmask_b32 v34, v97, v34, vcc_lo :: v_dual_cndmask_b32 v98, v99, v57, vcc_lo
	v_lshlrev_b32_e32 v34, 20, v34
	s_delay_alu instid0(VALU_DEP_2) | instskip(NEXT) | instid1(VALU_DEP_1)
	v_lshl_add_u32 v97, v98, 23, 0x3c000000
	v_or3_b32 v97, v34, v30, v97
.LBB2_1505:                             ;   in Loop: Header=BB2_1013 Depth=2
	s_or_b32 exec_lo, exec_lo, s10
	s_delay_alu instid0(VALU_DEP_1) | instskip(SKIP_1) | instid1(VALU_DEP_1)
	v_add_f32_e32 v96, v96, v97
                                        ; implicit-def: $vgpr57
	s_mov_b32 s10, exec_lo
	v_and_b32_e32 v34, 0x7f800000, v96
	v_lshrrev_b32_e32 v30, 24, v96
	s_delay_alu instid0(VALU_DEP_2)
	v_cmpx_ne_u64_e32 0x7f800000, v[34:35]
	s_xor_b32 s11, exec_lo, s10
	s_cbranch_execz .LBB2_1519
; %bb.1506:                             ;   in Loop: Header=BB2_1013 Depth=2
	v_and_b32_e32 v34, 0x7fffffff, v96
	v_and_b32_e32 v30, 0x80, v30
                                        ; implicit-def: $vgpr57
	s_mov_b32 s10, exec_lo
	s_delay_alu instid0(VALU_DEP_2)
	v_cmpx_gt_u64_e32 0x43e00001, v[34:35]
	s_xor_b32 s41, exec_lo, s10
	s_cbranch_execz .LBB2_1516
; %bb.1507:                             ;   in Loop: Header=BB2_1013 Depth=2
	v_mov_b32_e32 v57, 0
	s_mov_b32 s42, exec_lo
	v_cmpx_ne_u32_e32 0, v96
	s_cbranch_execz .LBB2_1515
; %bb.1508:                             ;   in Loop: Header=BB2_1013 Depth=2
	v_bfe_u32 v57, v96, 23, 8
	s_delay_alu instid0(VALU_DEP_1) | instskip(SKIP_1) | instid1(VALU_DEP_2)
	v_sub_nc_u32_e32 v34, 0x79, v57
	v_cmp_gt_u32_e32 vcc_lo, 0x7a, v57
	v_cndmask_b32_e32 v34, 0, v34, vcc_lo
	v_cmp_eq_u32_e32 vcc_lo, 0, v57
	s_delay_alu instid0(VALU_DEP_2) | instskip(SKIP_1) | instid1(VALU_DEP_2)
	v_cndmask_b32_e64 v63, v34, 0x78, vcc_lo
	v_and_b32_e32 v34, 0x7fffff, v96
	v_add_nc_u32_e32 v96, 20, v63
	s_delay_alu instid0(VALU_DEP_2) | instskip(SKIP_1) | instid1(VALU_DEP_3)
	v_or_b32_e32 v98, 0x800000, v34
	v_add_nc_u32_e32 v99, 19, v63
	v_lshlrev_b64_e64 v[96:97], v96, -1
	s_delay_alu instid0(VALU_DEP_3) | instskip(NEXT) | instid1(VALU_DEP_3)
	v_cndmask_b32_e32 v34, v98, v34, vcc_lo
	v_lshlrev_b64_e64 v[98:99], v99, 1
	s_delay_alu instid0(VALU_DEP_3) | instskip(NEXT) | instid1(VALU_DEP_3)
	v_bfi_b32 v73, v97, 0, 0
	v_bfi_b32 v72, v96, 0, v34
	v_lshrrev_b64 v[96:97], v63, v[34:35]
	s_delay_alu instid0(VALU_DEP_2) | instskip(NEXT) | instid1(VALU_DEP_2)
	v_cmp_eq_u64_e64 s10, v[72:73], v[98:99]
	v_mov_b64_e32 v[98:99], v[96:97]
	s_and_saveexec_b32 s43, s10
; %bb.1509:                             ;   in Loop: Header=BB2_1013 Depth=2
	v_bfe_u32 v34, v96, 20, 1
	s_delay_alu instid0(VALU_DEP_1) | instskip(NEXT) | instid1(VALU_DEP_1)
	v_add_nc_u64_e32 v[98:99], v[96:97], v[34:35]
	v_add_nc_u64_e32 v[98:99], -1, v[98:99]
; %bb.1510:                             ;   in Loop: Header=BB2_1013 Depth=2
	s_or_b32 exec_lo, exec_lo, s43
	v_add_nc_u32_e32 v34, 0xffffff81, v57
	v_lshrrev_b32_e32 v97, 23, v96
	s_mov_b32 s10, exec_lo
	s_delay_alu instid0(VALU_DEP_2) | instskip(NEXT) | instid1(VALU_DEP_1)
	v_cndmask_b32_e64 v34, v34, 0xffffff82, vcc_lo
	v_add3_u32 v99, v63, v34, v97
	v_and_b32_e32 v34, 0xfffff, v98
                                        ; implicit-def: $vgpr98
	s_delay_alu instid0(VALU_DEP_1) | instskip(NEXT) | instid1(VALU_DEP_1)
	v_dual_add_nc_u32 v57, 6, v99 :: v_dual_add_nc_u32 v34, v34, v96
                                        ; implicit-def: $vgpr96_vgpr97
	v_cmpx_ne_u32_e32 0, v57
	s_xor_b32 s10, exec_lo, s10
; %bb.1511:                             ;   in Loop: Header=BB2_1013 Depth=2
	s_delay_alu instid0(VALU_DEP_2) | instskip(SKIP_1) | instid1(VALU_DEP_1)
	v_cmp_lt_u64_e32 vcc_lo, 0xffffff, v[34:35]
	v_add_nc_u32_e32 v96, 7, v99
	v_cndmask_b32_e32 v98, v57, v96, vcc_lo
	v_cndmask_b32_e64 v96, 0, 1, vcc_lo
	s_delay_alu instid0(VALU_DEP_1)
	v_lshrrev_b64 v[96:97], v96, v[34:35]
; %bb.1512:                             ;   in Loop: Header=BB2_1013 Depth=2
	s_and_not1_saveexec_b32 s10, s10
; %bb.1513:                             ;   in Loop: Header=BB2_1013 Depth=2
	v_mov_b64_e32 v[96:97], v[34:35]
	v_bfe_u32 v98, v34, 23, 1
; %bb.1514:                             ;   in Loop: Header=BB2_1013 Depth=2
	s_or_b32 exec_lo, exec_lo, s10
	s_delay_alu instid0(VALU_DEP_2) | instskip(NEXT) | instid1(VALU_DEP_2)
	v_lshrrev_b64 v[96:97], 20, v[96:97]
	v_cmp_gt_i32_e32 vcc_lo, 16, v98
	v_min_i32_e32 v34, 15, v98
	v_cmp_eq_u32_e64 s10, 0, v98
	s_delay_alu instid0(VALU_DEP_2) | instskip(SKIP_1) | instid1(VALU_DEP_2)
	v_dual_cndmask_b32 v97, 0, v97 :: v_dual_lshlrev_b32 v34, 3, v34
	v_cndmask_b32_e32 v96, 7, v96, vcc_lo
	v_and_b32_e32 v34, 0xf8, v34
	s_delay_alu instid0(VALU_DEP_2) | instskip(NEXT) | instid1(VALU_DEP_2)
	v_cmp_eq_u64_e32 vcc_lo, 0, v[96:97]
	v_and_or_b32 v34, v96, 7, v34
	s_and_b32 s10, s10, vcc_lo
	s_delay_alu instid0(VALU_DEP_1) | instid1(SALU_CYCLE_1)
	v_cndmask_b32_e64 v34, v34, 0, s10
	s_delay_alu instid0(VALU_DEP_1)
	v_or_b32_e32 v57, v34, v30
.LBB2_1515:                             ;   in Loop: Header=BB2_1013 Depth=2
	s_or_b32 exec_lo, exec_lo, s42
                                        ; implicit-def: $vgpr30
.LBB2_1516:                             ;   in Loop: Header=BB2_1013 Depth=2
	s_and_not1_saveexec_b32 s10, s41
; %bb.1517:                             ;   in Loop: Header=BB2_1013 Depth=2
	v_or_b32_e32 v57, 0x7e, v30
; %bb.1518:                             ;   in Loop: Header=BB2_1013 Depth=2
	s_or_b32 exec_lo, exec_lo, s10
                                        ; implicit-def: $vgpr30
.LBB2_1519:                             ;   in Loop: Header=BB2_1013 Depth=2
	s_and_not1_saveexec_b32 s10, s11
; %bb.1520:                             ;   in Loop: Header=BB2_1013 Depth=2
	v_or_b32_e32 v57, 0x7f, v30
; %bb.1521:                             ;   in Loop: Header=BB2_1013 Depth=2
	s_or_b32 exec_lo, exec_lo, s10
	v_lshl_or_b32 v30, v101, 8, v100
	v_dual_lshlrev_b32 v34, 16, v61 :: v_dual_lshlrev_b32 v96, 24, v62
	v_mov_b32_e32 v98, 0
	s_mov_b32 s10, exec_lo
	s_delay_alu instid0(VALU_DEP_2)
	v_or3_b32 v34, v34, v96, v30
	v_cmpx_ne_u32_e32 0, v100
	s_cbranch_execz .LBB2_1527
; %bb.1522:                             ;   in Loop: Header=BB2_1013 Depth=2
	v_bfrev_b32_e32 v98, 1
	s_mov_b32 s11, exec_lo
	v_cmpx_ne_u32_e32 0x80, v100
	s_cbranch_execz .LBB2_1526
; %bb.1523:                             ;   in Loop: Header=BB2_1013 Depth=2
	v_and_b32_e32 v96, 0x7f, v100
	v_mov_b32_e32 v98, 0x7f800001
	s_mov_b32 s41, exec_lo
	s_delay_alu instid0(VALU_DEP_2)
	v_cmpx_ne_u32_e32 0x7f, v96
	s_cbranch_execz .LBB2_1525
; %bb.1524:                             ;   in Loop: Header=BB2_1013 Depth=2
	v_cmp_gt_u32_e32 vcc_lo, 8, v96
	v_and_b32_e32 v97, 7, v100
	s_delay_alu instid0(VALU_DEP_1) | instskip(NEXT) | instid1(VALU_DEP_1)
	v_clz_i32_u32_e32 v97, v97
	v_min_u32_e32 v97, 32, v97
	v_lshrrev_b32_e32 v98, 3, v96
	s_delay_alu instid0(VALU_DEP_2) | instskip(NEXT) | instid1(VALU_DEP_1)
	v_subrev_nc_u32_e32 v99, 28, v97
	v_dual_cndmask_b32 v96, 0, v99 :: v_dual_sub_nc_u32 v97, 29, v97
	s_delay_alu instid0(VALU_DEP_1) | instskip(NEXT) | instid1(VALU_DEP_2)
	v_cndmask_b32_e32 v98, v98, v97, vcc_lo
	v_lshlrev_b64_e32 v[96:97], v96, v[34:35]
	v_lshlrev_b32_e32 v97, 24, v34
	s_delay_alu instid0(VALU_DEP_3) | instskip(NEXT) | instid1(VALU_DEP_2)
	v_lshl_add_u32 v98, v98, 23, 0x3c000000
	v_and_b32_e32 v97, 0x80000000, v97
	s_delay_alu instid0(VALU_DEP_4) | instskip(NEXT) | instid1(VALU_DEP_1)
	v_lshlrev_b32_e32 v96, 20, v96
	v_and_b32_e32 v96, 0x700000, v96
	s_delay_alu instid0(VALU_DEP_1)
	v_or3_b32 v98, v96, v97, v98
.LBB2_1525:                             ;   in Loop: Header=BB2_1013 Depth=2
	s_or_b32 exec_lo, exec_lo, s41
.LBB2_1526:                             ;   in Loop: Header=BB2_1013 Depth=2
	s_delay_alu instid0(SALU_CYCLE_1)
	s_or_b32 exec_lo, exec_lo, s11
.LBB2_1527:                             ;   in Loop: Header=BB2_1013 Depth=2
	s_delay_alu instid0(SALU_CYCLE_1) | instskip(SKIP_4) | instid1(VALU_DEP_2)
	s_or_b32 exec_lo, exec_lo, s10
	v_and_b32_e32 v97, 0xff, v11
	v_mov_b32_e32 v96, v11
	s_mov_b32 s10, 0
	s_mov_b32 s11, exec_lo
	v_cmpx_lt_i16_e32 0x7f, v97
	s_xor_b32 s11, exec_lo, s11
	s_cbranch_execnz .LBB2_1558
; %bb.1528:                             ;   in Loop: Header=BB2_1013 Depth=2
	s_or_saveexec_b32 s11, s11
	v_bfrev_b32_e32 v99, 1
	s_xor_b32 exec_lo, exec_lo, s11
	s_cbranch_execnz .LBB2_1561
.LBB2_1529:                             ;   in Loop: Header=BB2_1013 Depth=2
	s_or_b32 exec_lo, exec_lo, s11
	v_mov_b32_e32 v97, v35
	s_and_saveexec_b32 s11, s10
	s_cbranch_execz .LBB2_1531
.LBB2_1530:                             ;   in Loop: Header=BB2_1013 Depth=2
	v_and_b32_e32 v61, 0x7f, v11
	v_bfe_u32 v100, v11, 3, 4
	s_delay_alu instid0(VALU_DEP_2) | instskip(SKIP_1) | instid1(VALU_DEP_1)
	v_cmp_gt_u32_e32 vcc_lo, 8, v61
	v_and_b32_e32 v99, 7, v11
	v_clz_i32_u32_e32 v99, v99
	s_delay_alu instid0(VALU_DEP_1) | instskip(NEXT) | instid1(VALU_DEP_1)
	v_min_u32_e32 v99, 32, v99
	v_subrev_nc_u32_e32 v101, 28, v99
	v_sub_nc_u32_e32 v99, 29, v99
	s_delay_alu instid0(VALU_DEP_1) | instskip(SKIP_1) | instid1(VALU_DEP_2)
	v_dual_cndmask_b32 v99, v100, v99 :: v_dual_cndmask_b32 v100, 0, v101
	v_cmp_ne_u32_e32 vcc_lo, 0x7f, v61
	v_lshlrev_b64_e32 v[100:101], v100, v[96:97]
	v_lshlrev_b32_e32 v97, 24, v96
	s_delay_alu instid0(VALU_DEP_1) | instskip(NEXT) | instid1(VALU_DEP_3)
	v_and_b32_e32 v97, 0x80000000, v97
	v_lshlrev_b32_e32 v100, 20, v100
	v_lshl_add_u32 v99, v99, 23, 0x3c000000
	s_delay_alu instid0(VALU_DEP_2) | instskip(NEXT) | instid1(VALU_DEP_1)
	v_and_b32_e32 v100, 0x700000, v100
	v_or3_b32 v97, v100, v97, v99
	s_delay_alu instid0(VALU_DEP_1)
	v_cndmask_b32_e32 v99, 0x7f800001, v97, vcc_lo
.LBB2_1531:                             ;   in Loop: Header=BB2_1013 Depth=2
	s_or_b32 exec_lo, exec_lo, s11
	s_delay_alu instid0(VALU_DEP_1) | instskip(NEXT) | instid1(VALU_DEP_1)
	v_dual_add_f32 v98, v98, v99 :: v_dual_mov_b32 v101, v35
	v_and_b32_e32 v100, 0x7f800000, v98
	v_lshrrev_b32_e32 v97, 24, v98
	s_delay_alu instid0(VALU_DEP_2) | instskip(SKIP_1) | instid1(SALU_CYCLE_1)
	v_cmp_ne_u64_e32 vcc_lo, 0x7f800000, v[100:101]
                                        ; implicit-def: $vgpr100
	s_and_saveexec_b32 s10, vcc_lo
	s_xor_b32 s11, exec_lo, s10
	s_cbranch_execz .LBB2_1545
; %bb.1532:                             ;   in Loop: Header=BB2_1013 Depth=2
	v_and_b32_e32 v100, 0x7fffffff, v98
	v_mov_b32_e32 v101, v35
	v_and_b32_e32 v97, 0x80, v97
	s_delay_alu instid0(VALU_DEP_2) | instskip(SKIP_1) | instid1(SALU_CYCLE_1)
	v_cmp_gt_u64_e32 vcc_lo, 0x43e00001, v[100:101]
                                        ; implicit-def: $vgpr100
	s_and_saveexec_b32 s10, vcc_lo
	s_xor_b32 s41, exec_lo, s10
	s_cbranch_execz .LBB2_1542
; %bb.1533:                             ;   in Loop: Header=BB2_1013 Depth=2
	v_mov_b32_e32 v100, 0
	s_mov_b32 s42, exec_lo
	v_cmpx_ne_u32_e32 0, v98
	s_cbranch_execz .LBB2_1541
; %bb.1534:                             ;   in Loop: Header=BB2_1013 Depth=2
	v_bfe_u32 v61, v98, 23, 8
	v_and_b32_e32 v100, 0x7fffff, v98
	s_mov_b32 s43, exec_lo
	s_delay_alu instid0(VALU_DEP_2) | instskip(NEXT) | instid1(VALU_DEP_2)
	v_cmp_gt_u32_e32 vcc_lo, 0x7a, v61
	v_or_b32_e32 v101, 0x800000, v100
	v_sub_nc_u32_e32 v99, 0x79, v61
	s_delay_alu instid0(VALU_DEP_1) | instskip(SKIP_1) | instid1(VALU_DEP_2)
	v_cndmask_b32_e32 v99, 0, v99, vcc_lo
	v_cmp_eq_u32_e32 vcc_lo, 0, v61
	v_cndmask_b32_e64 v62, v99, 0x78, vcc_lo
	v_dual_cndmask_b32 v100, v101, v100 :: v_dual_mov_b32 v101, v35
	s_delay_alu instid0(VALU_DEP_2) | instskip(NEXT) | instid1(VALU_DEP_1)
	v_dual_add_nc_u32 v63, 19, v62 :: v_dual_add_nc_u32 v98, 20, v62
	v_lshlrev_b64_e64 v[72:73], v63, 1
	s_delay_alu instid0(VALU_DEP_2) | instskip(NEXT) | instid1(VALU_DEP_1)
	v_lshlrev_b64_e64 v[98:99], v98, -1
	v_bfi_b32 v75, v99, 0, 0
	s_delay_alu instid0(VALU_DEP_2) | instskip(SKIP_1) | instid1(VALU_DEP_1)
	v_bfi_b32 v74, v98, 0, v100
	v_lshrrev_b64 v[98:99], v62, v[100:101]
	v_mov_b64_e32 v[100:101], v[98:99]
	s_delay_alu instid0(VALU_DEP_3)
	v_cmpx_eq_u64_e64 v[74:75], v[72:73]
; %bb.1535:                             ;   in Loop: Header=BB2_1013 Depth=2
	v_bfe_u32 v100, v98, 20, 1
	v_mov_b32_e32 v101, v35
	s_delay_alu instid0(VALU_DEP_1) | instskip(NEXT) | instid1(VALU_DEP_1)
	v_add_nc_u64_e32 v[100:101], v[98:99], v[100:101]
	v_add_nc_u64_e32 v[100:101], -1, v[100:101]
; %bb.1536:                             ;   in Loop: Header=BB2_1013 Depth=2
	s_or_b32 exec_lo, exec_lo, s43
	v_add_nc_u32_e32 v99, 0xffffff81, v61
	v_lshrrev_b32_e32 v101, 23, v98
	s_mov_b32 s10, exec_lo
	s_delay_alu instid0(VALU_DEP_2) | instskip(NEXT) | instid1(VALU_DEP_1)
	v_cndmask_b32_e64 v99, v99, 0xffffff82, vcc_lo
	v_add3_u32 v101, v62, v99, v101
	v_and_b32_e32 v99, 0xfffff, v100
                                        ; implicit-def: $vgpr100
	s_delay_alu instid0(VALU_DEP_1) | instskip(SKIP_1) | instid1(VALU_DEP_2)
	v_dual_add_nc_u32 v61, 6, v101 :: v_dual_add_nc_u32 v98, v99, v98
	v_mov_b32_e32 v99, v35
	v_cmpx_ne_u32_e32 0, v61
	s_xor_b32 s10, exec_lo, s10
; %bb.1537:                             ;   in Loop: Header=BB2_1013 Depth=2
	s_delay_alu instid0(VALU_DEP_2) | instskip(SKIP_2) | instid1(VALU_DEP_2)
	v_cmp_lt_u64_e32 vcc_lo, 0xffffff, v[98:99]
	v_add_nc_u32_e32 v100, 7, v101
	v_cndmask_b32_e64 v101, 0, 1, vcc_lo
	v_cndmask_b32_e32 v100, v61, v100, vcc_lo
	s_delay_alu instid0(VALU_DEP_2)
	v_lshrrev_b64 v[98:99], v101, v[98:99]
; %bb.1538:                             ;   in Loop: Header=BB2_1013 Depth=2
	s_and_not1_saveexec_b32 s10, s10
; %bb.1539:                             ;   in Loop: Header=BB2_1013 Depth=2
	s_delay_alu instid0(VALU_DEP_1)
	v_bfe_u32 v100, v98, 23, 1
; %bb.1540:                             ;   in Loop: Header=BB2_1013 Depth=2
	s_or_b32 exec_lo, exec_lo, s10
	s_delay_alu instid0(VALU_DEP_2) | instskip(NEXT) | instid1(VALU_DEP_2)
	v_lshrrev_b64 v[98:99], 20, v[98:99]
	v_cmp_gt_i32_e32 vcc_lo, 16, v100
	v_min_i32_e32 v101, 15, v100
	v_cmp_eq_u32_e64 s10, 0, v100
	s_delay_alu instid0(VALU_DEP_2) | instskip(SKIP_1) | instid1(VALU_DEP_2)
	v_dual_cndmask_b32 v99, 0, v99, vcc_lo :: v_dual_lshlrev_b32 v101, 3, v101
	v_cndmask_b32_e32 v98, 7, v98, vcc_lo
	v_and_b32_e32 v101, 0xf8, v101
	s_delay_alu instid0(VALU_DEP_2) | instskip(NEXT) | instid1(VALU_DEP_2)
	v_cmp_eq_u64_e32 vcc_lo, 0, v[98:99]
	v_and_or_b32 v98, v98, 7, v101
	s_and_b32 s10, s10, vcc_lo
	s_delay_alu instid0(VALU_DEP_1) | instid1(SALU_CYCLE_1)
	v_cndmask_b32_e64 v98, v98, 0, s10
	s_delay_alu instid0(VALU_DEP_1)
	v_or_b32_e32 v100, v98, v97
.LBB2_1541:                             ;   in Loop: Header=BB2_1013 Depth=2
	s_or_b32 exec_lo, exec_lo, s42
                                        ; implicit-def: $vgpr97
.LBB2_1542:                             ;   in Loop: Header=BB2_1013 Depth=2
	s_and_not1_saveexec_b32 s10, s41
; %bb.1543:                             ;   in Loop: Header=BB2_1013 Depth=2
	v_or_b32_e32 v100, 0x7e, v97
; %bb.1544:                             ;   in Loop: Header=BB2_1013 Depth=2
	s_or_b32 exec_lo, exec_lo, s10
                                        ; implicit-def: $vgpr97
.LBB2_1545:                             ;   in Loop: Header=BB2_1013 Depth=2
	s_and_not1_saveexec_b32 s10, s11
; %bb.1546:                             ;   in Loop: Header=BB2_1013 Depth=2
	v_or_b32_e32 v100, 0x7f, v97
; %bb.1547:                             ;   in Loop: Header=BB2_1013 Depth=2
	s_or_b32 exec_lo, exec_lo, s10
	v_lshrrev_b16 v98, 8, v30
	v_mov_b32_e32 v97, 0
	s_mov_b32 s10, exec_lo
	s_delay_alu instid0(VALU_DEP_2)
	v_cmpx_ne_u16_e32 0, v98
	s_cbranch_execz .LBB2_1555
; %bb.1548:                             ;   in Loop: Header=BB2_1013 Depth=2
	v_bfrev_b32_e32 v97, 1
	s_mov_b32 s11, exec_lo
	v_cmpx_ne_u16_e32 0x80, v98
	s_cbranch_execz .LBB2_1554
; %bb.1549:                             ;   in Loop: Header=BB2_1013 Depth=2
	v_and_b32_e32 v98, 0xffff, v98
	v_mov_b32_e32 v97, 0x7f800001
	s_mov_b32 s41, exec_lo
	s_delay_alu instid0(VALU_DEP_2) | instskip(NEXT) | instid1(VALU_DEP_1)
	v_and_b32_e32 v101, 0x7f, v98
	v_cmpx_ne_u32_e32 0x7f, v101
	s_cbranch_execz .LBB2_1553
; %bb.1550:                             ;   in Loop: Header=BB2_1013 Depth=2
	v_dual_mov_b32 v99, v35 :: v_dual_bitop2_b32 v98, 7, v98 bitop3:0x40
	v_lshrrev_b32_e32 v97, 3, v101
	s_mov_b32 s42, exec_lo
	v_cmpx_gt_u32_e32 8, v101
; %bb.1551:                             ;   in Loop: Header=BB2_1013 Depth=2
	s_delay_alu instid0(VALU_DEP_3) | instskip(NEXT) | instid1(VALU_DEP_1)
	v_clz_i32_u32_e32 v97, v98
	v_min_u32_e32 v97, 32, v97
	s_delay_alu instid0(VALU_DEP_1) | instskip(NEXT) | instid1(VALU_DEP_1)
	v_subrev_nc_u32_e32 v101, 28, v97
	v_lshlrev_b64_e32 v[98:99], v101, v[98:99]
	s_delay_alu instid0(VALU_DEP_1)
	v_dual_sub_nc_u32 v97, 29, v97 :: v_dual_bitop2_b32 v98, 7, v98 bitop3:0x40
; %bb.1552:                             ;   in Loop: Header=BB2_1013 Depth=2
	s_or_b32 exec_lo, exec_lo, s42
	v_lshlrev_b32_e32 v30, 16, v30
	s_delay_alu instid0(VALU_DEP_2) | instskip(NEXT) | instid1(VALU_DEP_3)
	v_lshlrev_b32_e32 v98, 20, v98
	v_lshl_add_u32 v97, v97, 23, 0x3c000000
	s_delay_alu instid0(VALU_DEP_3) | instskip(NEXT) | instid1(VALU_DEP_1)
	v_and_b32_e32 v30, 0x80000000, v30
	v_or3_b32 v97, v98, v30, v97
.LBB2_1553:                             ;   in Loop: Header=BB2_1013 Depth=2
	s_or_b32 exec_lo, exec_lo, s41
.LBB2_1554:                             ;   in Loop: Header=BB2_1013 Depth=2
	s_delay_alu instid0(SALU_CYCLE_1)
	s_or_b32 exec_lo, exec_lo, s11
.LBB2_1555:                             ;   in Loop: Header=BB2_1013 Depth=2
	s_delay_alu instid0(SALU_CYCLE_1) | instskip(SKIP_3) | instid1(VALU_DEP_1)
	s_or_b32 exec_lo, exec_lo, s10
	v_lshrrev_b16 v96, 8, v96
	s_mov_b32 s11, 0
	s_mov_b32 s10, exec_lo
	v_cmpx_lt_i16_e32 0x7f, v96
	s_xor_b32 s10, exec_lo, s10
	s_cbranch_execnz .LBB2_1562
; %bb.1556:                             ;   in Loop: Header=BB2_1013 Depth=2
	s_or_saveexec_b32 s10, s10
	v_bfrev_b32_e32 v98, 1
	s_xor_b32 exec_lo, exec_lo, s10
	s_cbranch_execnz .LBB2_1565
.LBB2_1557:                             ;   in Loop: Header=BB2_1013 Depth=2
	s_or_b32 exec_lo, exec_lo, s10
	s_and_saveexec_b32 s10, s11
	s_cbranch_execnz .LBB2_1566
	s_branch .LBB2_1569
.LBB2_1558:                             ;   in Loop: Header=BB2_1013 Depth=2
	s_mov_b32 s10, -1
	s_mov_b32 s41, exec_lo
	v_cmpx_eq_u16_e32 0x80, v97
; %bb.1559:                             ;   in Loop: Header=BB2_1013 Depth=2
	s_xor_b32 s10, exec_lo, -1
; %bb.1560:                             ;   in Loop: Header=BB2_1013 Depth=2
	s_or_b32 exec_lo, exec_lo, s41
	s_delay_alu instid0(SALU_CYCLE_1)
	s_and_b32 s10, s10, exec_lo
                                        ; implicit-def: $vgpr97
	s_or_saveexec_b32 s11, s11
	v_bfrev_b32_e32 v99, 1
	s_xor_b32 exec_lo, exec_lo, s11
	s_cbranch_execz .LBB2_1529
.LBB2_1561:                             ;   in Loop: Header=BB2_1013 Depth=2
	v_cmp_ne_u16_e32 vcc_lo, 0, v97
	v_mov_b32_e32 v99, 0
	s_and_not1_b32 s10, s10, exec_lo
	s_and_b32 s41, vcc_lo, exec_lo
	s_delay_alu instid0(SALU_CYCLE_1)
	s_or_b32 s10, s10, s41
	s_or_b32 exec_lo, exec_lo, s11
	v_mov_b32_e32 v97, v35
	s_and_saveexec_b32 s11, s10
	s_cbranch_execnz .LBB2_1530
	s_branch .LBB2_1531
.LBB2_1562:                             ;   in Loop: Header=BB2_1013 Depth=2
	s_mov_b32 s11, -1
	s_mov_b32 s41, exec_lo
	v_cmpx_eq_u16_e32 0x80, v96
; %bb.1563:                             ;   in Loop: Header=BB2_1013 Depth=2
	s_xor_b32 s11, exec_lo, -1
; %bb.1564:                             ;   in Loop: Header=BB2_1013 Depth=2
	s_or_b32 exec_lo, exec_lo, s41
	s_delay_alu instid0(SALU_CYCLE_1)
	s_and_b32 s11, s11, exec_lo
	s_or_saveexec_b32 s10, s10
	v_bfrev_b32_e32 v98, 1
	s_xor_b32 exec_lo, exec_lo, s10
	s_cbranch_execz .LBB2_1557
.LBB2_1565:                             ;   in Loop: Header=BB2_1013 Depth=2
	v_cmp_ne_u16_e32 vcc_lo, 0, v96
	v_mov_b32_e32 v98, 0
	s_and_not1_b32 s11, s11, exec_lo
	s_and_b32 s41, vcc_lo, exec_lo
	s_delay_alu instid0(SALU_CYCLE_1)
	s_or_b32 s11, s11, s41
	s_or_b32 exec_lo, exec_lo, s10
	s_and_saveexec_b32 s10, s11
	s_cbranch_execz .LBB2_1569
.LBB2_1566:                             ;   in Loop: Header=BB2_1013 Depth=2
	v_and_b32_e32 v30, 0xffff, v96
	v_mov_b32_e32 v98, 0x7f800001
	s_mov_b32 s11, exec_lo
	s_delay_alu instid0(VALU_DEP_2) | instskip(NEXT) | instid1(VALU_DEP_1)
	v_and_b32_e32 v99, 0x7f, v30
	v_cmpx_ne_u32_e32 0x7f, v99
	s_cbranch_execz .LBB2_1568
; %bb.1567:                             ;   in Loop: Header=BB2_1013 Depth=2
	v_and_b32_e32 v98, 7, v30
	v_cmp_gt_u32_e32 vcc_lo, 8, v99
	s_delay_alu instid0(VALU_DEP_2) | instskip(NEXT) | instid1(VALU_DEP_1)
	v_clz_i32_u32_e32 v101, v98
	v_min_u32_e32 v101, 32, v101
	s_delay_alu instid0(VALU_DEP_1) | instskip(NEXT) | instid1(VALU_DEP_1)
	v_subrev_nc_u32_e32 v61, 28, v101
	v_lshlrev_b64_e32 v[62:63], v61, v[30:31]
	v_dual_lshrrev_b32 v30, 3, v99 :: v_dual_sub_nc_u32 v101, 29, v101
	s_delay_alu instid0(VALU_DEP_2) | instskip(NEXT) | instid1(VALU_DEP_2)
	v_dual_lshlrev_b32 v96, 24, v96 :: v_dual_bitop2_b32 v99, 7, v62 bitop3:0x40
	v_cndmask_b32_e32 v30, v30, v101, vcc_lo
	s_delay_alu instid0(VALU_DEP_2) | instskip(NEXT) | instid1(VALU_DEP_3)
	v_cndmask_b32_e32 v98, v98, v99, vcc_lo
	v_and_b32_e32 v96, 0x80000000, v96
	s_delay_alu instid0(VALU_DEP_3) | instskip(NEXT) | instid1(VALU_DEP_3)
	v_lshl_add_u32 v30, v30, 23, 0x3c000000
	v_lshlrev_b32_e32 v98, 20, v98
	s_delay_alu instid0(VALU_DEP_1)
	v_or3_b32 v98, v98, v96, v30
.LBB2_1568:                             ;   in Loop: Header=BB2_1013 Depth=2
	s_or_b32 exec_lo, exec_lo, s11
.LBB2_1569:                             ;   in Loop: Header=BB2_1013 Depth=2
	s_delay_alu instid0(SALU_CYCLE_1) | instskip(NEXT) | instid1(VALU_DEP_1)
	s_or_b32 exec_lo, exec_lo, s10
	v_dual_add_f32 v96, v97, v98 :: v_dual_mov_b32 v99, v35
                                        ; implicit-def: $vgpr101
	s_mov_b32 s10, exec_lo
	s_delay_alu instid0(VALU_DEP_1) | instskip(SKIP_1) | instid1(VALU_DEP_2)
	v_and_b32_e32 v98, 0x7f800000, v96
	v_lshrrev_b32_e32 v30, 24, v96
	v_cmpx_ne_u64_e32 0x7f800000, v[98:99]
	s_xor_b32 s11, exec_lo, s10
	s_cbranch_execz .LBB2_1583
; %bb.1570:                             ;   in Loop: Header=BB2_1013 Depth=2
	v_and_b32_e32 v98, 0x7fffffff, v96
	v_mov_b32_e32 v99, v35
	v_and_b32_e32 v30, 0x80, v30
                                        ; implicit-def: $vgpr101
	s_mov_b32 s10, exec_lo
	s_delay_alu instid0(VALU_DEP_2)
	v_cmpx_gt_u64_e32 0x43e00001, v[98:99]
	s_xor_b32 s41, exec_lo, s10
	s_cbranch_execz .LBB2_1580
; %bb.1571:                             ;   in Loop: Header=BB2_1013 Depth=2
	v_mov_b32_e32 v101, 0
	s_mov_b32 s42, exec_lo
	v_cmpx_ne_u32_e32 0, v96
	s_cbranch_execz .LBB2_1579
; %bb.1572:                             ;   in Loop: Header=BB2_1013 Depth=2
	v_bfe_u32 v101, v96, 23, 8
	v_and_b32_e32 v98, 0x7fffff, v96
	s_mov_b32 s43, exec_lo
	s_delay_alu instid0(VALU_DEP_2) | instskip(NEXT) | instid1(VALU_DEP_2)
	v_cmp_gt_u32_e32 vcc_lo, 0x7a, v101
	v_or_b32_e32 v99, 0x800000, v98
	v_sub_nc_u32_e32 v97, 0x79, v101
	s_delay_alu instid0(VALU_DEP_1) | instskip(SKIP_1) | instid1(VALU_DEP_4)
	v_cndmask_b32_e32 v97, 0, v97, vcc_lo
	v_cmp_eq_u32_e32 vcc_lo, 0, v101
	v_cndmask_b32_e32 v98, v99, v98, vcc_lo
	v_mov_b32_e32 v99, v35
	s_delay_alu instid0(VALU_DEP_4) | instskip(NEXT) | instid1(VALU_DEP_1)
	v_cndmask_b32_e64 v61, v97, 0x78, vcc_lo
	v_dual_add_nc_u32 v96, 20, v61 :: v_dual_add_nc_u32 v62, 19, v61
	s_delay_alu instid0(VALU_DEP_1) | instskip(NEXT) | instid1(VALU_DEP_2)
	v_lshlrev_b64_e64 v[96:97], v96, -1
	v_lshlrev_b64_e64 v[62:63], v62, 1
	s_delay_alu instid0(VALU_DEP_2) | instskip(NEXT) | instid1(VALU_DEP_3)
	v_bfi_b32 v73, v97, 0, 0
	v_bfi_b32 v72, v96, 0, v98
	v_lshrrev_b64 v[96:97], v61, v[98:99]
	s_delay_alu instid0(VALU_DEP_1) | instskip(NEXT) | instid1(VALU_DEP_3)
	v_mov_b64_e32 v[98:99], v[96:97]
	v_cmpx_eq_u64_e64 v[72:73], v[62:63]
; %bb.1573:                             ;   in Loop: Header=BB2_1013 Depth=2
	v_bfe_u32 v98, v96, 20, 1
	v_mov_b32_e32 v99, v35
	s_delay_alu instid0(VALU_DEP_1) | instskip(NEXT) | instid1(VALU_DEP_1)
	v_add_nc_u64_e32 v[98:99], v[96:97], v[98:99]
	v_add_nc_u64_e32 v[98:99], -1, v[98:99]
; %bb.1574:                             ;   in Loop: Header=BB2_1013 Depth=2
	s_or_b32 exec_lo, exec_lo, s43
	v_add_nc_u32_e32 v97, 0xffffff81, v101
	v_lshrrev_b32_e32 v99, 23, v96
	s_mov_b32 s10, exec_lo
	s_delay_alu instid0(VALU_DEP_2) | instskip(NEXT) | instid1(VALU_DEP_1)
	v_cndmask_b32_e64 v97, v97, 0xffffff82, vcc_lo
	v_add3_u32 v99, v61, v97, v99
	v_and_b32_e32 v97, 0xfffff, v98
                                        ; implicit-def: $vgpr98
	s_delay_alu instid0(VALU_DEP_1) | instskip(SKIP_1) | instid1(VALU_DEP_2)
	v_dual_add_nc_u32 v101, 6, v99 :: v_dual_add_nc_u32 v96, v97, v96
	v_mov_b32_e32 v97, v35
	v_cmpx_ne_u32_e32 0, v101
	s_xor_b32 s10, exec_lo, s10
; %bb.1575:                             ;   in Loop: Header=BB2_1013 Depth=2
	s_delay_alu instid0(VALU_DEP_2) | instskip(SKIP_2) | instid1(VALU_DEP_2)
	v_cmp_lt_u64_e32 vcc_lo, 0xffffff, v[96:97]
	v_add_nc_u32_e32 v98, 7, v99
	v_cndmask_b32_e64 v99, 0, 1, vcc_lo
	v_cndmask_b32_e32 v98, v101, v98, vcc_lo
	s_delay_alu instid0(VALU_DEP_2)
	v_lshrrev_b64 v[96:97], v99, v[96:97]
; %bb.1576:                             ;   in Loop: Header=BB2_1013 Depth=2
	s_and_not1_saveexec_b32 s10, s10
; %bb.1577:                             ;   in Loop: Header=BB2_1013 Depth=2
	s_delay_alu instid0(VALU_DEP_1)
	v_bfe_u32 v98, v96, 23, 1
; %bb.1578:                             ;   in Loop: Header=BB2_1013 Depth=2
	s_or_b32 exec_lo, exec_lo, s10
	s_delay_alu instid0(VALU_DEP_2) | instskip(NEXT) | instid1(VALU_DEP_2)
	v_lshrrev_b64 v[96:97], 20, v[96:97]
	v_cmp_gt_i32_e32 vcc_lo, 16, v98
	v_min_i32_e32 v99, 15, v98
	v_cmp_eq_u32_e64 s10, 0, v98
	s_delay_alu instid0(VALU_DEP_2) | instskip(SKIP_1) | instid1(VALU_DEP_2)
	v_dual_cndmask_b32 v97, 0, v97, vcc_lo :: v_dual_lshlrev_b32 v99, 3, v99
	v_cndmask_b32_e32 v96, 7, v96, vcc_lo
	v_and_b32_e32 v99, 0xf8, v99
	s_delay_alu instid0(VALU_DEP_2) | instskip(NEXT) | instid1(VALU_DEP_2)
	v_cmp_eq_u64_e32 vcc_lo, 0, v[96:97]
	v_and_or_b32 v96, v96, 7, v99
	s_and_b32 s10, s10, vcc_lo
	s_delay_alu instid0(VALU_DEP_1) | instid1(SALU_CYCLE_1)
	v_cndmask_b32_e64 v96, v96, 0, s10
	s_delay_alu instid0(VALU_DEP_1)
	v_or_b32_e32 v101, v96, v30
.LBB2_1579:                             ;   in Loop: Header=BB2_1013 Depth=2
	s_or_b32 exec_lo, exec_lo, s42
                                        ; implicit-def: $vgpr30
.LBB2_1580:                             ;   in Loop: Header=BB2_1013 Depth=2
	s_and_not1_saveexec_b32 s10, s41
; %bb.1581:                             ;   in Loop: Header=BB2_1013 Depth=2
	v_or_b32_e32 v101, 0x7e, v30
; %bb.1582:                             ;   in Loop: Header=BB2_1013 Depth=2
	s_or_b32 exec_lo, exec_lo, s10
                                        ; implicit-def: $vgpr30
.LBB2_1583:                             ;   in Loop: Header=BB2_1013 Depth=2
	s_and_not1_saveexec_b32 s10, s11
; %bb.1584:                             ;   in Loop: Header=BB2_1013 Depth=2
	v_or_b32_e32 v101, 0x7f, v30
; %bb.1585:                             ;   in Loop: Header=BB2_1013 Depth=2
	s_or_b32 exec_lo, exec_lo, s10
	v_dual_lshrrev_b32 v30, 16, v34 :: v_dual_mov_b32 v96, 0
	s_mov_b32 s10, exec_lo
	s_delay_alu instid0(VALU_DEP_1) | instskip(NEXT) | instid1(VALU_DEP_1)
	v_and_b32_e32 v97, 0xff, v30
	v_cmpx_ne_u16_e32 0, v97
	s_cbranch_execz .LBB2_1593
; %bb.1586:                             ;   in Loop: Header=BB2_1013 Depth=2
	v_bfrev_b32_e32 v96, 1
	s_mov_b32 s11, exec_lo
	v_cmpx_ne_u16_e32 0x80, v97
	s_cbranch_execz .LBB2_1592
; %bb.1587:                             ;   in Loop: Header=BB2_1013 Depth=2
	v_bfe_u32 v99, v34, 16, 7
	v_mov_b32_e32 v96, 0x7f800001
	s_mov_b32 s41, exec_lo
	s_delay_alu instid0(VALU_DEP_2)
	v_cmpx_ne_u32_e32 0x7f, v99
	s_cbranch_execz .LBB2_1591
; %bb.1588:                             ;   in Loop: Header=BB2_1013 Depth=2
	v_dual_mov_b32 v97, v35 :: v_dual_bitop2_b32 v96, 7, v30 bitop3:0x40
	v_lshrrev_b32_e32 v98, 3, v99
	s_mov_b32 s42, exec_lo
	v_cmpx_gt_u32_e32 8, v99
; %bb.1589:                             ;   in Loop: Header=BB2_1013 Depth=2
	s_delay_alu instid0(VALU_DEP_3) | instskip(NEXT) | instid1(VALU_DEP_1)
	v_clz_i32_u32_e32 v98, v96
	v_min_u32_e32 v98, 32, v98
	s_delay_alu instid0(VALU_DEP_1) | instskip(NEXT) | instid1(VALU_DEP_1)
	v_subrev_nc_u32_e32 v99, 28, v98
	v_lshlrev_b64_e32 v[96:97], v99, v[96:97]
	s_delay_alu instid0(VALU_DEP_1)
	v_dual_sub_nc_u32 v98, 29, v98 :: v_dual_bitop2_b32 v96, 7, v96 bitop3:0x40
; %bb.1590:                             ;   in Loop: Header=BB2_1013 Depth=2
	s_or_b32 exec_lo, exec_lo, s42
	s_delay_alu instid0(VALU_DEP_1) | instskip(NEXT) | instid1(VALU_DEP_2)
	v_dual_lshlrev_b32 v30, 24, v30 :: v_dual_lshlrev_b32 v96, 20, v96
	v_lshl_add_u32 v97, v98, 23, 0x3c000000
	s_delay_alu instid0(VALU_DEP_2) | instskip(NEXT) | instid1(VALU_DEP_1)
	v_and_b32_e32 v30, 0x80000000, v30
	v_or3_b32 v96, v96, v30, v97
.LBB2_1591:                             ;   in Loop: Header=BB2_1013 Depth=2
	s_or_b32 exec_lo, exec_lo, s41
.LBB2_1592:                             ;   in Loop: Header=BB2_1013 Depth=2
	s_delay_alu instid0(SALU_CYCLE_1)
	s_or_b32 exec_lo, exec_lo, s11
.LBB2_1593:                             ;   in Loop: Header=BB2_1013 Depth=2
	s_delay_alu instid0(SALU_CYCLE_1) | instskip(SKIP_3) | instid1(VALU_DEP_1)
	s_or_b32 exec_lo, exec_lo, s10
	v_lshrrev_b32_e32 v30, 16, v11
	s_mov_b32 s11, 0
	s_mov_b32 s10, exec_lo
	v_and_b32_e32 v98, 0xff, v30
	s_delay_alu instid0(VALU_DEP_1)
	v_cmpx_lt_i16_e32 0x7f, v98
	s_xor_b32 s10, exec_lo, s10
	s_cbranch_execnz .LBB2_1596
; %bb.1594:                             ;   in Loop: Header=BB2_1013 Depth=2
	s_or_saveexec_b32 s10, s10
	v_bfrev_b32_e32 v97, 1
	s_xor_b32 exec_lo, exec_lo, s10
	s_cbranch_execnz .LBB2_1599
.LBB2_1595:                             ;   in Loop: Header=BB2_1013 Depth=2
	s_or_b32 exec_lo, exec_lo, s10
	s_and_saveexec_b32 s10, s11
	s_cbranch_execnz .LBB2_1600
	s_branch .LBB2_1603
.LBB2_1596:                             ;   in Loop: Header=BB2_1013 Depth=2
	s_mov_b32 s11, -1
	s_mov_b32 s41, exec_lo
	v_cmpx_eq_u16_e32 0x80, v98
; %bb.1597:                             ;   in Loop: Header=BB2_1013 Depth=2
	s_xor_b32 s11, exec_lo, -1
; %bb.1598:                             ;   in Loop: Header=BB2_1013 Depth=2
	s_or_b32 exec_lo, exec_lo, s41
	s_delay_alu instid0(SALU_CYCLE_1)
	s_and_b32 s11, s11, exec_lo
                                        ; implicit-def: $vgpr98
	s_or_saveexec_b32 s10, s10
	v_bfrev_b32_e32 v97, 1
	s_xor_b32 exec_lo, exec_lo, s10
	s_cbranch_execz .LBB2_1595
.LBB2_1599:                             ;   in Loop: Header=BB2_1013 Depth=2
	v_cmp_ne_u16_e32 vcc_lo, 0, v98
	v_mov_b32_e32 v97, 0
	s_and_not1_b32 s11, s11, exec_lo
	s_and_b32 s41, vcc_lo, exec_lo
	s_delay_alu instid0(SALU_CYCLE_1)
	s_or_b32 s11, s11, s41
	s_or_b32 exec_lo, exec_lo, s10
	s_and_saveexec_b32 s10, s11
	s_cbranch_execz .LBB2_1603
.LBB2_1600:                             ;   in Loop: Header=BB2_1013 Depth=2
	v_and_b32_e32 v98, 0x7f, v30
	v_mov_b32_e32 v97, 0x7f800001
	s_mov_b32 s11, exec_lo
	s_delay_alu instid0(VALU_DEP_2)
	v_cmpx_ne_u32_e32 0x7f, v98
	s_cbranch_execz .LBB2_1602
; %bb.1601:                             ;   in Loop: Header=BB2_1013 Depth=2
	v_and_b32_e32 v97, 7, v30
	v_cmp_gt_u32_e32 vcc_lo, 8, v98
	s_delay_alu instid0(VALU_DEP_2) | instskip(NEXT) | instid1(VALU_DEP_1)
	v_clz_i32_u32_e32 v99, v97
	v_min_u32_e32 v99, 32, v99
	s_delay_alu instid0(VALU_DEP_1) | instskip(SKIP_1) | instid1(VALU_DEP_2)
	v_subrev_nc_u32_e32 v61, 28, v99
	v_sub_nc_u32_e32 v99, 29, v99
	v_lshlrev_b64_e32 v[62:63], v61, v[30:31]
	v_lshrrev_b32_e32 v61, 3, v98
	s_delay_alu instid0(VALU_DEP_2) | instskip(NEXT) | instid1(VALU_DEP_1)
	v_and_b32_e32 v98, 7, v62
	v_cndmask_b32_e32 v97, v97, v98, vcc_lo
	s_delay_alu instid0(VALU_DEP_3) | instskip(NEXT) | instid1(VALU_DEP_2)
	v_dual_cndmask_b32 v99, v61, v99 :: v_dual_lshlrev_b32 v30, 24, v30
	v_lshlrev_b32_e32 v97, 20, v97
	s_delay_alu instid0(VALU_DEP_2) | instskip(NEXT) | instid1(VALU_DEP_3)
	v_and_b32_e32 v30, 0x80000000, v30
	v_lshl_add_u32 v98, v99, 23, 0x3c000000
	s_delay_alu instid0(VALU_DEP_1)
	v_or3_b32 v97, v97, v30, v98
.LBB2_1602:                             ;   in Loop: Header=BB2_1013 Depth=2
	s_or_b32 exec_lo, exec_lo, s11
.LBB2_1603:                             ;   in Loop: Header=BB2_1013 Depth=2
	s_delay_alu instid0(SALU_CYCLE_1) | instskip(NEXT) | instid1(VALU_DEP_1)
	s_or_b32 exec_lo, exec_lo, s10
	v_dual_add_f32 v96, v96, v97 :: v_dual_mov_b32 v99, v35
                                        ; implicit-def: $vgpr61
	s_mov_b32 s10, exec_lo
	s_delay_alu instid0(VALU_DEP_1) | instskip(SKIP_1) | instid1(VALU_DEP_2)
	v_and_b32_e32 v98, 0x7f800000, v96
	v_lshrrev_b32_e32 v30, 24, v96
	v_cmpx_ne_u64_e32 0x7f800000, v[98:99]
	s_xor_b32 s11, exec_lo, s10
	s_cbranch_execz .LBB2_1617
; %bb.1604:                             ;   in Loop: Header=BB2_1013 Depth=2
	v_and_b32_e32 v98, 0x7fffffff, v96
	v_mov_b32_e32 v99, v35
	v_and_b32_e32 v30, 0x80, v30
                                        ; implicit-def: $vgpr61
	s_mov_b32 s10, exec_lo
	s_delay_alu instid0(VALU_DEP_2)
	v_cmpx_gt_u64_e32 0x43e00001, v[98:99]
	s_xor_b32 s41, exec_lo, s10
	s_cbranch_execz .LBB2_1614
; %bb.1605:                             ;   in Loop: Header=BB2_1013 Depth=2
	v_mov_b32_e32 v61, 0
	s_mov_b32 s42, exec_lo
	v_cmpx_ne_u32_e32 0, v96
	s_cbranch_execz .LBB2_1613
; %bb.1606:                             ;   in Loop: Header=BB2_1013 Depth=2
	v_bfe_u32 v61, v96, 23, 8
	v_and_b32_e32 v98, 0x7fffff, v96
	s_mov_b32 s43, exec_lo
	s_delay_alu instid0(VALU_DEP_2) | instskip(NEXT) | instid1(VALU_DEP_2)
	v_cmp_gt_u32_e32 vcc_lo, 0x7a, v61
	v_or_b32_e32 v99, 0x800000, v98
	v_sub_nc_u32_e32 v97, 0x79, v61
	s_delay_alu instid0(VALU_DEP_1) | instskip(SKIP_1) | instid1(VALU_DEP_2)
	v_cndmask_b32_e32 v97, 0, v97, vcc_lo
	v_cmp_eq_u32_e32 vcc_lo, 0, v61
	v_cndmask_b32_e64 v62, v97, 0x78, vcc_lo
	v_cndmask_b32_e32 v98, v99, v98, vcc_lo
	s_delay_alu instid0(VALU_DEP_2) | instskip(SKIP_1) | instid1(VALU_DEP_2)
	v_dual_mov_b32 v99, v35 :: v_dual_add_nc_u32 v63, 19, v62
	v_add_nc_u32_e32 v96, 20, v62
	v_lshlrev_b64_e64 v[72:73], v63, 1
	s_delay_alu instid0(VALU_DEP_2) | instskip(NEXT) | instid1(VALU_DEP_1)
	v_lshlrev_b64_e64 v[96:97], v96, -1
	v_bfi_b32 v75, v97, 0, 0
	s_delay_alu instid0(VALU_DEP_2) | instskip(SKIP_1) | instid1(VALU_DEP_1)
	v_bfi_b32 v74, v96, 0, v98
	v_lshrrev_b64 v[96:97], v62, v[98:99]
	v_mov_b64_e32 v[98:99], v[96:97]
	s_delay_alu instid0(VALU_DEP_3)
	v_cmpx_eq_u64_e64 v[74:75], v[72:73]
; %bb.1607:                             ;   in Loop: Header=BB2_1013 Depth=2
	v_bfe_u32 v98, v96, 20, 1
	v_mov_b32_e32 v99, v35
	s_delay_alu instid0(VALU_DEP_1) | instskip(NEXT) | instid1(VALU_DEP_1)
	v_add_nc_u64_e32 v[98:99], v[96:97], v[98:99]
	v_add_nc_u64_e32 v[98:99], -1, v[98:99]
; %bb.1608:                             ;   in Loop: Header=BB2_1013 Depth=2
	s_or_b32 exec_lo, exec_lo, s43
	v_add_nc_u32_e32 v97, 0xffffff81, v61
	v_lshrrev_b32_e32 v99, 23, v96
	s_mov_b32 s10, exec_lo
	s_delay_alu instid0(VALU_DEP_2) | instskip(NEXT) | instid1(VALU_DEP_1)
	v_cndmask_b32_e64 v97, v97, 0xffffff82, vcc_lo
	v_add3_u32 v99, v62, v97, v99
	v_and_b32_e32 v97, 0xfffff, v98
                                        ; implicit-def: $vgpr98
	s_delay_alu instid0(VALU_DEP_1) | instskip(SKIP_1) | instid1(VALU_DEP_2)
	v_dual_add_nc_u32 v61, 6, v99 :: v_dual_add_nc_u32 v96, v97, v96
	v_mov_b32_e32 v97, v35
	v_cmpx_ne_u32_e32 0, v61
	s_xor_b32 s10, exec_lo, s10
; %bb.1609:                             ;   in Loop: Header=BB2_1013 Depth=2
	s_delay_alu instid0(VALU_DEP_2) | instskip(SKIP_2) | instid1(VALU_DEP_2)
	v_cmp_lt_u64_e32 vcc_lo, 0xffffff, v[96:97]
	v_add_nc_u32_e32 v98, 7, v99
	v_cndmask_b32_e64 v99, 0, 1, vcc_lo
	v_cndmask_b32_e32 v98, v61, v98, vcc_lo
	s_delay_alu instid0(VALU_DEP_2)
	v_lshrrev_b64 v[96:97], v99, v[96:97]
; %bb.1610:                             ;   in Loop: Header=BB2_1013 Depth=2
	s_and_not1_saveexec_b32 s10, s10
; %bb.1611:                             ;   in Loop: Header=BB2_1013 Depth=2
	s_delay_alu instid0(VALU_DEP_1)
	v_bfe_u32 v98, v96, 23, 1
; %bb.1612:                             ;   in Loop: Header=BB2_1013 Depth=2
	s_or_b32 exec_lo, exec_lo, s10
	s_delay_alu instid0(VALU_DEP_2) | instskip(NEXT) | instid1(VALU_DEP_2)
	v_lshrrev_b64 v[96:97], 20, v[96:97]
	v_cmp_gt_i32_e32 vcc_lo, 16, v98
	v_min_i32_e32 v99, 15, v98
	v_cmp_eq_u32_e64 s10, 0, v98
	s_delay_alu instid0(VALU_DEP_2) | instskip(SKIP_1) | instid1(VALU_DEP_2)
	v_dual_cndmask_b32 v97, 0, v97, vcc_lo :: v_dual_lshlrev_b32 v99, 3, v99
	v_cndmask_b32_e32 v96, 7, v96, vcc_lo
	v_and_b32_e32 v99, 0xf8, v99
	s_delay_alu instid0(VALU_DEP_2) | instskip(NEXT) | instid1(VALU_DEP_2)
	v_cmp_eq_u64_e32 vcc_lo, 0, v[96:97]
	v_and_or_b32 v96, v96, 7, v99
	s_and_b32 s10, s10, vcc_lo
	s_delay_alu instid0(VALU_DEP_1) | instid1(SALU_CYCLE_1)
	v_cndmask_b32_e64 v96, v96, 0, s10
	s_delay_alu instid0(VALU_DEP_1)
	v_or_b32_e32 v61, v96, v30
.LBB2_1613:                             ;   in Loop: Header=BB2_1013 Depth=2
	s_or_b32 exec_lo, exec_lo, s42
                                        ; implicit-def: $vgpr30
.LBB2_1614:                             ;   in Loop: Header=BB2_1013 Depth=2
	s_and_not1_saveexec_b32 s10, s41
; %bb.1615:                             ;   in Loop: Header=BB2_1013 Depth=2
	v_or_b32_e32 v61, 0x7e, v30
; %bb.1616:                             ;   in Loop: Header=BB2_1013 Depth=2
	s_or_b32 exec_lo, exec_lo, s10
                                        ; implicit-def: $vgpr30
.LBB2_1617:                             ;   in Loop: Header=BB2_1013 Depth=2
	s_and_not1_saveexec_b32 s10, s11
; %bb.1618:                             ;   in Loop: Header=BB2_1013 Depth=2
	v_or_b32_e32 v61, 0x7f, v30
; %bb.1619:                             ;   in Loop: Header=BB2_1013 Depth=2
	s_or_b32 exec_lo, exec_lo, s10
	v_mov_b32_e32 v96, 0
	s_mov_b32 s10, exec_lo
	v_cmpx_lt_u32_e32 0xffffff, v34
	s_cbranch_execz .LBB2_1627
; %bb.1620:                             ;   in Loop: Header=BB2_1013 Depth=2
	v_lshrrev_b32_e32 v30, 24, v34
	v_bfrev_b32_e32 v96, 1
	s_mov_b32 s11, exec_lo
	s_delay_alu instid0(VALU_DEP_2)
	v_cmpx_ne_u32_e32 0x80, v30
	s_cbranch_execz .LBB2_1626
; %bb.1621:                             ;   in Loop: Header=BB2_1013 Depth=2
	v_bfe_u32 v97, v34, 24, 7
	v_mov_b32_e32 v96, 0x7f800001
	s_mov_b32 s41, exec_lo
	s_delay_alu instid0(VALU_DEP_2)
	v_cmpx_ne_u32_e32 0x7f, v97
	s_cbranch_execz .LBB2_1625
; %bb.1622:                             ;   in Loop: Header=BB2_1013 Depth=2
	v_dual_lshrrev_b32 v96, 3, v97 :: v_dual_bitop2_b32 v34, 7, v30 bitop3:0x40
	s_mov_b32 s42, exec_lo
	v_cmpx_gt_u32_e32 8, v97
; %bb.1623:                             ;   in Loop: Header=BB2_1013 Depth=2
	s_delay_alu instid0(VALU_DEP_2) | instskip(NEXT) | instid1(VALU_DEP_1)
	v_clz_i32_u32_e32 v96, v34
	v_min_u32_e32 v96, 32, v96
	s_delay_alu instid0(VALU_DEP_1) | instskip(NEXT) | instid1(VALU_DEP_1)
	v_subrev_nc_u32_e32 v97, 28, v96
	v_lshlrev_b64_e32 v[98:99], v97, v[34:35]
	s_delay_alu instid0(VALU_DEP_1)
	v_dual_sub_nc_u32 v96, 29, v96 :: v_dual_bitop2_b32 v34, 7, v98 bitop3:0x40
; %bb.1624:                             ;   in Loop: Header=BB2_1013 Depth=2
	s_or_b32 exec_lo, exec_lo, s42
	v_lshlrev_b32_e32 v30, 24, v30
	s_delay_alu instid0(VALU_DEP_2) | instskip(NEXT) | instid1(VALU_DEP_3)
	v_lshlrev_b32_e32 v34, 20, v34
	v_lshl_add_u32 v96, v96, 23, 0x3c000000
	s_delay_alu instid0(VALU_DEP_3) | instskip(NEXT) | instid1(VALU_DEP_1)
	v_and_b32_e32 v30, 0x80000000, v30
	v_or3_b32 v96, v34, v30, v96
.LBB2_1625:                             ;   in Loop: Header=BB2_1013 Depth=2
	s_or_b32 exec_lo, exec_lo, s41
.LBB2_1626:                             ;   in Loop: Header=BB2_1013 Depth=2
	s_delay_alu instid0(SALU_CYCLE_1)
	s_or_b32 exec_lo, exec_lo, s11
.LBB2_1627:                             ;   in Loop: Header=BB2_1013 Depth=2
	s_delay_alu instid0(SALU_CYCLE_1) | instskip(SKIP_3) | instid1(VALU_DEP_3)
	s_or_b32 exec_lo, exec_lo, s10
	v_lshrrev_b32_e32 v30, 24, v11
	v_bfe_u32 v34, v11, 24, 7
	v_cmp_gt_u64_e64 s11, s[16:17], v[10:11]
	v_cmp_eq_u32_e64 s10, 0x80, v30
	s_delay_alu instid0(VALU_DEP_3) | instskip(NEXT) | instid1(VALU_DEP_2)
	v_cmp_eq_u32_e32 vcc_lo, 0x7f, v34
	v_cndmask_b32_e64 v97, 0x7f800001, v116, s10
	s_or_b32 s10, s10, vcc_lo
	s_delay_alu instid0(VALU_DEP_1) | instskip(SKIP_1) | instid1(SALU_CYCLE_1)
	v_cndmask_b32_e64 v10, v97, 0, s11
	s_nor_b32 s11, s11, s10
	s_and_saveexec_b32 s10, s11
	s_cbranch_execz .LBB2_1629
; %bb.1628:                             ;   in Loop: Header=BB2_1013 Depth=2
	v_and_b32_e32 v97, 7, v30
	v_cmp_gt_u32_e32 vcc_lo, 8, v34
	s_delay_alu instid0(VALU_DEP_2) | instskip(NEXT) | instid1(VALU_DEP_1)
	v_clz_i32_u32_e32 v10, v97
	v_min_u32_e32 v98, 32, v10
	s_delay_alu instid0(VALU_DEP_1) | instskip(SKIP_1) | instid1(VALU_DEP_2)
	v_subrev_nc_u32_e32 v10, 28, v98
	v_sub_nc_u32_e32 v98, 29, v98
	v_lshlrev_b64_e32 v[10:11], v10, v[30:31]
	v_lshrrev_b32_e32 v11, 3, v34
	v_lshlrev_b32_e32 v30, 24, v30
	s_delay_alu instid0(VALU_DEP_2) | instskip(NEXT) | instid1(VALU_DEP_4)
	v_cndmask_b32_e32 v11, v11, v98, vcc_lo
	v_and_b32_e32 v10, 7, v10
	s_delay_alu instid0(VALU_DEP_3) | instskip(NEXT) | instid1(VALU_DEP_3)
	v_and_b32_e32 v30, 0x80000000, v30
	v_lshl_add_u32 v11, v11, 23, 0x3c000000
	s_delay_alu instid0(VALU_DEP_3) | instskip(NEXT) | instid1(VALU_DEP_1)
	v_cndmask_b32_e32 v10, v97, v10, vcc_lo
	v_lshlrev_b32_e32 v10, 20, v10
	s_delay_alu instid0(VALU_DEP_1)
	v_or3_b32 v10, v10, v30, v11
.LBB2_1629:                             ;   in Loop: Header=BB2_1013 Depth=2
	s_or_b32 exec_lo, exec_lo, s10
	s_delay_alu instid0(VALU_DEP_1) | instskip(SKIP_1) | instid1(VALU_DEP_1)
	v_add_f32_e32 v10, v96, v10
                                        ; implicit-def: $vgpr30
	s_mov_b32 s10, exec_lo
	v_and_b32_e32 v34, 0x7f800000, v10
	v_lshrrev_b32_e32 v11, 24, v10
	s_delay_alu instid0(VALU_DEP_2)
	v_cmpx_ne_u64_e32 0x7f800000, v[34:35]
	s_xor_b32 s11, exec_lo, s10
	s_cbranch_execz .LBB2_1643
; %bb.1630:                             ;   in Loop: Header=BB2_1013 Depth=2
	v_and_b32_e32 v34, 0x7fffffff, v10
	v_and_b32_e32 v98, 0x80, v11
                                        ; implicit-def: $vgpr30
	s_mov_b32 s10, exec_lo
	s_delay_alu instid0(VALU_DEP_2)
	v_cmpx_gt_u64_e32 0x43e00001, v[34:35]
	s_xor_b32 s41, exec_lo, s10
	s_cbranch_execz .LBB2_1640
; %bb.1631:                             ;   in Loop: Header=BB2_1013 Depth=2
	v_mov_b32_e32 v30, 0
	s_mov_b32 s42, exec_lo
	v_cmpx_ne_u32_e32 0, v10
	s_cbranch_execz .LBB2_1639
; %bb.1632:                             ;   in Loop: Header=BB2_1013 Depth=2
	v_bfe_u32 v30, v10, 23, 8
	v_and_b32_e32 v34, 0x7fffff, v10
	s_delay_alu instid0(VALU_DEP_2) | instskip(SKIP_1) | instid1(VALU_DEP_3)
	v_sub_nc_u32_e32 v11, 0x79, v30
	v_cmp_gt_u32_e32 vcc_lo, 0x7a, v30
	v_or_b32_e32 v96, 0x800000, v34
	s_delay_alu instid0(VALU_DEP_3) | instskip(SKIP_1) | instid1(VALU_DEP_3)
	v_cndmask_b32_e32 v11, 0, v11, vcc_lo
	v_cmp_eq_u32_e32 vcc_lo, 0, v30
	v_cndmask_b32_e32 v34, v96, v34, vcc_lo
	s_delay_alu instid0(VALU_DEP_3) | instskip(NEXT) | instid1(VALU_DEP_1)
	v_cndmask_b32_e64 v99, v11, 0x78, vcc_lo
	v_dual_add_nc_u32 v10, 20, v99 :: v_dual_add_nc_u32 v97, 19, v99
	s_delay_alu instid0(VALU_DEP_1) | instskip(NEXT) | instid1(VALU_DEP_2)
	v_lshlrev_b64_e64 v[10:11], v10, -1
	v_lshlrev_b64_e64 v[96:97], v97, 1
	s_delay_alu instid0(VALU_DEP_2) | instskip(NEXT) | instid1(VALU_DEP_3)
	v_bfi_b32 v63, v11, 0, 0
	v_bfi_b32 v62, v10, 0, v34
	v_lshrrev_b64 v[10:11], v99, v[34:35]
	s_delay_alu instid0(VALU_DEP_2) | instskip(NEXT) | instid1(VALU_DEP_2)
	v_cmp_eq_u64_e64 s10, v[62:63], v[96:97]
	v_mov_b64_e32 v[96:97], v[10:11]
	s_and_saveexec_b32 s43, s10
; %bb.1633:                             ;   in Loop: Header=BB2_1013 Depth=2
	v_bfe_u32 v34, v10, 20, 1
	s_delay_alu instid0(VALU_DEP_1) | instskip(NEXT) | instid1(VALU_DEP_1)
	v_add_nc_u64_e32 v[96:97], v[10:11], v[34:35]
	v_add_nc_u64_e32 v[96:97], -1, v[96:97]
; %bb.1634:                             ;   in Loop: Header=BB2_1013 Depth=2
	s_or_b32 exec_lo, exec_lo, s43
	v_add_nc_u32_e32 v11, 0xffffff81, v30
	v_lshrrev_b32_e32 v30, 23, v10
	s_mov_b32 s10, exec_lo
	s_delay_alu instid0(VALU_DEP_2) | instskip(NEXT) | instid1(VALU_DEP_1)
	v_cndmask_b32_e64 v11, v11, 0xffffff82, vcc_lo
	v_add3_u32 v97, v99, v11, v30
	v_and_b32_e32 v11, 0xfffff, v96
                                        ; implicit-def: $vgpr30
	s_delay_alu instid0(VALU_DEP_1) | instskip(NEXT) | instid1(VALU_DEP_1)
	v_dual_add_nc_u32 v96, 6, v97 :: v_dual_add_nc_u32 v34, v11, v10
                                        ; implicit-def: $vgpr10_vgpr11
	v_cmpx_ne_u32_e32 0, v96
	s_xor_b32 s10, exec_lo, s10
; %bb.1635:                             ;   in Loop: Header=BB2_1013 Depth=2
	s_delay_alu instid0(VALU_DEP_2) | instskip(SKIP_1) | instid1(VALU_DEP_1)
	v_cmp_lt_u64_e32 vcc_lo, 0xffffff, v[34:35]
	v_add_nc_u32_e32 v10, 7, v97
	v_cndmask_b32_e32 v30, v96, v10, vcc_lo
	v_cndmask_b32_e64 v10, 0, 1, vcc_lo
	s_delay_alu instid0(VALU_DEP_1)
	v_lshrrev_b64 v[10:11], v10, v[34:35]
; %bb.1636:                             ;   in Loop: Header=BB2_1013 Depth=2
	s_and_not1_saveexec_b32 s10, s10
; %bb.1637:                             ;   in Loop: Header=BB2_1013 Depth=2
	v_mov_b64_e32 v[10:11], v[34:35]
	v_bfe_u32 v30, v34, 23, 1
; %bb.1638:                             ;   in Loop: Header=BB2_1013 Depth=2
	s_or_b32 exec_lo, exec_lo, s10
	s_delay_alu instid0(VALU_DEP_2) | instskip(NEXT) | instid1(VALU_DEP_2)
	v_lshrrev_b64 v[10:11], 20, v[10:11]
	v_cmp_gt_i32_e32 vcc_lo, 16, v30
	v_min_i32_e32 v34, 15, v30
	v_cmp_eq_u32_e64 s10, 0, v30
	s_delay_alu instid0(VALU_DEP_2) | instskip(SKIP_1) | instid1(VALU_DEP_2)
	v_dual_cndmask_b32 v11, 0, v11 :: v_dual_lshlrev_b32 v34, 3, v34
	v_cndmask_b32_e32 v10, 7, v10, vcc_lo
	v_and_b32_e32 v34, 0xf8, v34
	s_delay_alu instid0(VALU_DEP_2) | instskip(NEXT) | instid1(VALU_DEP_2)
	v_cmp_eq_u64_e32 vcc_lo, 0, v[10:11]
	v_and_or_b32 v10, v10, 7, v34
	s_and_b32 s10, s10, vcc_lo
	s_delay_alu instid0(VALU_DEP_1) | instid1(SALU_CYCLE_1)
	v_cndmask_b32_e64 v10, v10, 0, s10
	s_delay_alu instid0(VALU_DEP_1)
	v_or_b32_e32 v30, v10, v98
.LBB2_1639:                             ;   in Loop: Header=BB2_1013 Depth=2
	s_or_b32 exec_lo, exec_lo, s42
                                        ; implicit-def: $vgpr98
.LBB2_1640:                             ;   in Loop: Header=BB2_1013 Depth=2
	s_and_not1_saveexec_b32 s10, s41
; %bb.1641:                             ;   in Loop: Header=BB2_1013 Depth=2
	v_or_b32_e32 v30, 0x7e, v98
; %bb.1642:                             ;   in Loop: Header=BB2_1013 Depth=2
	s_or_b32 exec_lo, exec_lo, s10
                                        ; implicit-def: $vgpr11
.LBB2_1643:                             ;   in Loop: Header=BB2_1013 Depth=2
	s_and_not1_saveexec_b32 s10, s11
; %bb.1644:                             ;   in Loop: Header=BB2_1013 Depth=2
	v_or_b32_e32 v30, 0x7f, v11
; %bb.1645:                             ;   in Loop: Header=BB2_1013 Depth=2
	s_or_b32 exec_lo, exec_lo, s10
	v_lshl_or_b32 v98, v56, 8, v45
	v_dual_lshlrev_b32 v10, 16, v59 :: v_dual_lshlrev_b32 v11, 24, v60
	s_mov_b32 s10, exec_lo
	s_delay_alu instid0(VALU_DEP_1)
	v_or3_b32 v34, v10, v11, v98
	v_mov_b32_e32 v10, 0
	v_cmpx_ne_u32_e32 0, v45
	s_cbranch_execz .LBB2_1651
; %bb.1646:                             ;   in Loop: Header=BB2_1013 Depth=2
	v_bfrev_b32_e32 v10, 1
	s_mov_b32 s11, exec_lo
	v_cmpx_ne_u32_e32 0x80, v45
	s_cbranch_execz .LBB2_1650
; %bb.1647:                             ;   in Loop: Header=BB2_1013 Depth=2
	v_and_b32_e32 v11, 0x7f, v45
	v_mov_b32_e32 v10, 0x7f800001
	s_mov_b32 s41, exec_lo
	s_delay_alu instid0(VALU_DEP_2)
	v_cmpx_ne_u32_e32 0x7f, v11
	s_cbranch_execz .LBB2_1649
; %bb.1648:                             ;   in Loop: Header=BB2_1013 Depth=2
	v_dual_lshrrev_b32 v96, 3, v11 :: v_dual_bitop2_b32 v10, 7, v45 bitop3:0x40
	v_cmp_gt_u32_e32 vcc_lo, 8, v11
	s_delay_alu instid0(VALU_DEP_2) | instskip(NEXT) | instid1(VALU_DEP_1)
	v_clz_i32_u32_e32 v10, v10
	v_min_u32_e32 v10, 32, v10
	s_delay_alu instid0(VALU_DEP_1) | instskip(SKIP_1) | instid1(VALU_DEP_1)
	v_subrev_nc_u32_e32 v97, 28, v10
	v_sub_nc_u32_e32 v10, 29, v10
	v_dual_cndmask_b32 v96, v96, v10, vcc_lo :: v_dual_cndmask_b32 v10, 0, v97, vcc_lo
	s_delay_alu instid0(VALU_DEP_1) | instskip(NEXT) | instid1(VALU_DEP_2)
	v_lshl_add_u32 v96, v96, 23, 0x3c000000
	v_lshlrev_b64_e32 v[10:11], v10, v[34:35]
	v_lshlrev_b32_e32 v11, 24, v34
	s_delay_alu instid0(VALU_DEP_1) | instskip(NEXT) | instid1(VALU_DEP_3)
	v_and_b32_e32 v11, 0x80000000, v11
	v_lshlrev_b32_e32 v10, 20, v10
	s_delay_alu instid0(VALU_DEP_1) | instskip(NEXT) | instid1(VALU_DEP_1)
	v_and_b32_e32 v10, 0x700000, v10
	v_or3_b32 v10, v10, v11, v96
.LBB2_1649:                             ;   in Loop: Header=BB2_1013 Depth=2
	s_or_b32 exec_lo, exec_lo, s41
.LBB2_1650:                             ;   in Loop: Header=BB2_1013 Depth=2
	s_delay_alu instid0(SALU_CYCLE_1)
	s_or_b32 exec_lo, exec_lo, s11
.LBB2_1651:                             ;   in Loop: Header=BB2_1013 Depth=2
	s_delay_alu instid0(SALU_CYCLE_1) | instskip(SKIP_3) | instid1(VALU_DEP_1)
	s_or_b32 exec_lo, exec_lo, s10
	v_and_b32_e32 v96, 0xff, v12
	s_mov_b32 s10, 0
	s_mov_b32 s11, exec_lo
	v_cmpx_lt_i16_e32 0x7f, v96
	s_xor_b32 s11, exec_lo, s11
	s_cbranch_execnz .LBB2_1682
; %bb.1652:                             ;   in Loop: Header=BB2_1013 Depth=2
	s_or_saveexec_b32 s11, s11
	v_bfrev_b32_e32 v11, 1
	s_xor_b32 exec_lo, exec_lo, s11
	s_cbranch_execnz .LBB2_1685
.LBB2_1653:                             ;   in Loop: Header=BB2_1013 Depth=2
	s_or_b32 exec_lo, exec_lo, s11
	s_and_saveexec_b32 s11, s10
	s_cbranch_execz .LBB2_1655
.LBB2_1654:                             ;   in Loop: Header=BB2_1013 Depth=2
	v_and_b32_e32 v99, 0x7f, v12
	v_bfe_u32 v96, v12, 3, 4
	s_delay_alu instid0(VALU_DEP_2) | instskip(SKIP_1) | instid1(VALU_DEP_1)
	v_cmp_gt_u32_e32 vcc_lo, 8, v99
	v_and_b32_e32 v11, 7, v12
	v_clz_i32_u32_e32 v11, v11
	s_delay_alu instid0(VALU_DEP_1) | instskip(NEXT) | instid1(VALU_DEP_1)
	v_min_u32_e32 v11, 32, v11
	v_subrev_nc_u32_e32 v97, 28, v11
	v_sub_nc_u32_e32 v11, 29, v11
	s_delay_alu instid0(VALU_DEP_1) | instskip(SKIP_1) | instid1(VALU_DEP_2)
	v_dual_cndmask_b32 v11, v96, v11 :: v_dual_cndmask_b32 v96, 0, v97
	v_cmp_ne_u32_e32 vcc_lo, 0x7f, v99
	v_lshlrev_b64_e32 v[96:97], v96, v[12:13]
	v_lshlrev_b32_e32 v97, 24, v12
	s_delay_alu instid0(VALU_DEP_1) | instskip(NEXT) | instid1(VALU_DEP_3)
	v_and_b32_e32 v97, 0x80000000, v97
	v_lshlrev_b32_e32 v96, 20, v96
	v_lshl_add_u32 v11, v11, 23, 0x3c000000
	s_delay_alu instid0(VALU_DEP_2) | instskip(NEXT) | instid1(VALU_DEP_1)
	v_and_b32_e32 v96, 0x700000, v96
	v_or3_b32 v11, v96, v97, v11
	s_delay_alu instid0(VALU_DEP_1)
	v_cndmask_b32_e32 v11, 0x7f800001, v11, vcc_lo
.LBB2_1655:                             ;   in Loop: Header=BB2_1013 Depth=2
	s_or_b32 exec_lo, exec_lo, s11
	s_delay_alu instid0(VALU_DEP_1) | instskip(SKIP_1) | instid1(VALU_DEP_1)
	v_dual_add_f32 v10, v10, v11 :: v_dual_mov_b32 v97, v35
                                        ; implicit-def: $vgpr45
	s_mov_b32 s10, exec_lo
	v_and_b32_e32 v96, 0x7f800000, v10
	v_lshrrev_b32_e32 v11, 24, v10
	s_delay_alu instid0(VALU_DEP_2)
	v_cmpx_ne_u64_e32 0x7f800000, v[96:97]
	s_xor_b32 s11, exec_lo, s10
	s_cbranch_execz .LBB2_1669
; %bb.1656:                             ;   in Loop: Header=BB2_1013 Depth=2
	v_and_b32_e32 v96, 0x7fffffff, v10
	v_mov_b32_e32 v97, v35
	v_and_b32_e32 v99, 0x80, v11
                                        ; implicit-def: $vgpr45
	s_mov_b32 s10, exec_lo
	s_delay_alu instid0(VALU_DEP_2)
	v_cmpx_gt_u64_e32 0x43e00001, v[96:97]
	s_xor_b32 s41, exec_lo, s10
	s_cbranch_execz .LBB2_1666
; %bb.1657:                             ;   in Loop: Header=BB2_1013 Depth=2
	v_mov_b32_e32 v45, 0
	s_mov_b32 s42, exec_lo
	v_cmpx_ne_u32_e32 0, v10
	s_cbranch_execz .LBB2_1665
; %bb.1658:                             ;   in Loop: Header=BB2_1013 Depth=2
	v_bfe_u32 v45, v10, 23, 8
	v_and_b32_e32 v96, 0x7fffff, v10
	s_mov_b32 s43, exec_lo
	s_delay_alu instid0(VALU_DEP_2) | instskip(NEXT) | instid1(VALU_DEP_2)
	v_cmp_gt_u32_e32 vcc_lo, 0x7a, v45
	v_or_b32_e32 v97, 0x800000, v96
	v_sub_nc_u32_e32 v11, 0x79, v45
	s_delay_alu instid0(VALU_DEP_1) | instskip(SKIP_1) | instid1(VALU_DEP_2)
	v_cndmask_b32_e32 v11, 0, v11, vcc_lo
	v_cmp_eq_u32_e32 vcc_lo, 0, v45
	v_cndmask_b32_e64 v56, v11, 0x78, vcc_lo
	v_dual_cndmask_b32 v96, v97, v96 :: v_dual_mov_b32 v97, v35
	s_delay_alu instid0(VALU_DEP_2) | instskip(NEXT) | instid1(VALU_DEP_1)
	v_dual_add_nc_u32 v59, 19, v56 :: v_dual_add_nc_u32 v10, 20, v56
	v_lshlrev_b64_e64 v[62:63], v59, 1
	s_delay_alu instid0(VALU_DEP_2) | instskip(NEXT) | instid1(VALU_DEP_1)
	v_lshlrev_b64_e64 v[10:11], v10, -1
	v_bfi_b32 v73, v11, 0, 0
	s_delay_alu instid0(VALU_DEP_2) | instskip(SKIP_1) | instid1(VALU_DEP_1)
	v_bfi_b32 v72, v10, 0, v96
	v_lshrrev_b64 v[10:11], v56, v[96:97]
	v_mov_b64_e32 v[96:97], v[10:11]
	s_delay_alu instid0(VALU_DEP_3)
	v_cmpx_eq_u64_e64 v[72:73], v[62:63]
; %bb.1659:                             ;   in Loop: Header=BB2_1013 Depth=2
	v_bfe_u32 v96, v10, 20, 1
	v_mov_b32_e32 v97, v35
	s_delay_alu instid0(VALU_DEP_1) | instskip(NEXT) | instid1(VALU_DEP_1)
	v_add_nc_u64_e32 v[96:97], v[10:11], v[96:97]
	v_add_nc_u64_e32 v[96:97], -1, v[96:97]
; %bb.1660:                             ;   in Loop: Header=BB2_1013 Depth=2
	s_or_b32 exec_lo, exec_lo, s43
	v_add_nc_u32_e32 v11, 0xffffff81, v45
	v_lshrrev_b32_e32 v97, 23, v10
	s_mov_b32 s10, exec_lo
	s_delay_alu instid0(VALU_DEP_2) | instskip(NEXT) | instid1(VALU_DEP_1)
	v_cndmask_b32_e64 v11, v11, 0xffffff82, vcc_lo
	v_add3_u32 v97, v56, v11, v97
	v_and_b32_e32 v11, 0xfffff, v96
                                        ; implicit-def: $vgpr96
	s_delay_alu instid0(VALU_DEP_1) | instskip(SKIP_1) | instid1(VALU_DEP_2)
	v_dual_add_nc_u32 v45, 6, v97 :: v_dual_add_nc_u32 v10, v11, v10
	v_mov_b32_e32 v11, v35
	v_cmpx_ne_u32_e32 0, v45
	s_xor_b32 s10, exec_lo, s10
; %bb.1661:                             ;   in Loop: Header=BB2_1013 Depth=2
	s_delay_alu instid0(VALU_DEP_2) | instskip(SKIP_2) | instid1(VALU_DEP_2)
	v_cmp_lt_u64_e32 vcc_lo, 0xffffff, v[10:11]
	v_add_nc_u32_e32 v96, 7, v97
	v_cndmask_b32_e64 v97, 0, 1, vcc_lo
	v_cndmask_b32_e32 v96, v45, v96, vcc_lo
	s_delay_alu instid0(VALU_DEP_2)
	v_lshrrev_b64 v[10:11], v97, v[10:11]
; %bb.1662:                             ;   in Loop: Header=BB2_1013 Depth=2
	s_and_not1_saveexec_b32 s10, s10
; %bb.1663:                             ;   in Loop: Header=BB2_1013 Depth=2
	s_delay_alu instid0(VALU_DEP_1)
	v_bfe_u32 v96, v10, 23, 1
; %bb.1664:                             ;   in Loop: Header=BB2_1013 Depth=2
	s_or_b32 exec_lo, exec_lo, s10
	s_delay_alu instid0(VALU_DEP_2) | instskip(NEXT) | instid1(VALU_DEP_2)
	v_lshrrev_b64 v[10:11], 20, v[10:11]
	v_cmp_gt_i32_e32 vcc_lo, 16, v96
	v_min_i32_e32 v97, 15, v96
	v_cmp_eq_u32_e64 s10, 0, v96
	s_delay_alu instid0(VALU_DEP_2) | instskip(SKIP_1) | instid1(VALU_DEP_2)
	v_dual_cndmask_b32 v11, 0, v11, vcc_lo :: v_dual_lshlrev_b32 v97, 3, v97
	v_cndmask_b32_e32 v10, 7, v10, vcc_lo
	v_and_b32_e32 v97, 0xf8, v97
	s_delay_alu instid0(VALU_DEP_2) | instskip(NEXT) | instid1(VALU_DEP_2)
	v_cmp_eq_u64_e32 vcc_lo, 0, v[10:11]
	v_and_or_b32 v10, v10, 7, v97
	s_and_b32 s10, s10, vcc_lo
	s_delay_alu instid0(VALU_DEP_1) | instid1(SALU_CYCLE_1)
	v_cndmask_b32_e64 v10, v10, 0, s10
	s_delay_alu instid0(VALU_DEP_1)
	v_or_b32_e32 v45, v10, v99
.LBB2_1665:                             ;   in Loop: Header=BB2_1013 Depth=2
	s_or_b32 exec_lo, exec_lo, s42
                                        ; implicit-def: $vgpr99
.LBB2_1666:                             ;   in Loop: Header=BB2_1013 Depth=2
	s_and_not1_saveexec_b32 s10, s41
; %bb.1667:                             ;   in Loop: Header=BB2_1013 Depth=2
	v_or_b32_e32 v45, 0x7e, v99
; %bb.1668:                             ;   in Loop: Header=BB2_1013 Depth=2
	s_or_b32 exec_lo, exec_lo, s10
                                        ; implicit-def: $vgpr11
.LBB2_1669:                             ;   in Loop: Header=BB2_1013 Depth=2
	s_and_not1_saveexec_b32 s10, s11
; %bb.1670:                             ;   in Loop: Header=BB2_1013 Depth=2
	v_or_b32_e32 v45, 0x7f, v11
; %bb.1671:                             ;   in Loop: Header=BB2_1013 Depth=2
	s_or_b32 exec_lo, exec_lo, s10
	v_lshrrev_b16 v10, 8, v98
	v_mov_b32_e32 v11, 0
	s_mov_b32 s10, exec_lo
	s_delay_alu instid0(VALU_DEP_2)
	v_cmpx_ne_u16_e32 0, v10
	s_cbranch_execz .LBB2_1679
; %bb.1672:                             ;   in Loop: Header=BB2_1013 Depth=2
	v_bfrev_b32_e32 v11, 1
	s_mov_b32 s11, exec_lo
	v_cmpx_ne_u16_e32 0x80, v10
	s_cbranch_execz .LBB2_1678
; %bb.1673:                             ;   in Loop: Header=BB2_1013 Depth=2
	v_and_b32_e32 v10, 0xffff, v10
	v_mov_b32_e32 v11, 0x7f800001
	s_mov_b32 s41, exec_lo
	s_delay_alu instid0(VALU_DEP_2) | instskip(NEXT) | instid1(VALU_DEP_1)
	v_and_b32_e32 v97, 0x7f, v10
	v_cmpx_ne_u32_e32 0x7f, v97
	s_cbranch_execz .LBB2_1677
; %bb.1674:                             ;   in Loop: Header=BB2_1013 Depth=2
	v_dual_mov_b32 v11, v35 :: v_dual_bitop2_b32 v10, 7, v10 bitop3:0x40
	v_lshrrev_b32_e32 v96, 3, v97
	s_mov_b32 s42, exec_lo
	v_cmpx_gt_u32_e32 8, v97
; %bb.1675:                             ;   in Loop: Header=BB2_1013 Depth=2
	s_delay_alu instid0(VALU_DEP_3) | instskip(NEXT) | instid1(VALU_DEP_1)
	v_clz_i32_u32_e32 v96, v10
	v_min_u32_e32 v96, 32, v96
	s_delay_alu instid0(VALU_DEP_1) | instskip(NEXT) | instid1(VALU_DEP_1)
	v_subrev_nc_u32_e32 v97, 28, v96
	v_lshlrev_b64_e32 v[10:11], v97, v[10:11]
	s_delay_alu instid0(VALU_DEP_1)
	v_dual_sub_nc_u32 v96, 29, v96 :: v_dual_bitop2_b32 v10, 7, v10 bitop3:0x40
; %bb.1676:                             ;   in Loop: Header=BB2_1013 Depth=2
	s_or_b32 exec_lo, exec_lo, s42
	v_lshlrev_b32_e32 v11, 16, v98
	s_delay_alu instid0(VALU_DEP_2) | instskip(NEXT) | instid1(VALU_DEP_3)
	v_lshlrev_b32_e32 v10, 20, v10
	v_lshl_add_u32 v96, v96, 23, 0x3c000000
	s_delay_alu instid0(VALU_DEP_3) | instskip(NEXT) | instid1(VALU_DEP_1)
	v_and_b32_e32 v11, 0x80000000, v11
	v_or3_b32 v11, v10, v11, v96
.LBB2_1677:                             ;   in Loop: Header=BB2_1013 Depth=2
	s_or_b32 exec_lo, exec_lo, s41
.LBB2_1678:                             ;   in Loop: Header=BB2_1013 Depth=2
	s_delay_alu instid0(SALU_CYCLE_1)
	s_or_b32 exec_lo, exec_lo, s11
.LBB2_1679:                             ;   in Loop: Header=BB2_1013 Depth=2
	s_delay_alu instid0(SALU_CYCLE_1) | instskip(SKIP_3) | instid1(VALU_DEP_1)
	s_or_b32 exec_lo, exec_lo, s10
	v_lshrrev_b16 v96, 8, v12
	s_mov_b32 s11, 0
	s_mov_b32 s10, exec_lo
	v_cmpx_lt_i16_e32 0x7f, v96
	s_xor_b32 s10, exec_lo, s10
	s_cbranch_execnz .LBB2_1686
; %bb.1680:                             ;   in Loop: Header=BB2_1013 Depth=2
	s_or_saveexec_b32 s10, s10
	v_bfrev_b32_e32 v97, 1
	s_xor_b32 exec_lo, exec_lo, s10
	s_cbranch_execnz .LBB2_1689
.LBB2_1681:                             ;   in Loop: Header=BB2_1013 Depth=2
	s_or_b32 exec_lo, exec_lo, s10
	s_and_saveexec_b32 s10, s11
	s_cbranch_execnz .LBB2_1690
	s_branch .LBB2_1693
.LBB2_1682:                             ;   in Loop: Header=BB2_1013 Depth=2
	s_mov_b32 s10, -1
	s_mov_b32 s41, exec_lo
	v_cmpx_eq_u16_e32 0x80, v96
; %bb.1683:                             ;   in Loop: Header=BB2_1013 Depth=2
	s_xor_b32 s10, exec_lo, -1
; %bb.1684:                             ;   in Loop: Header=BB2_1013 Depth=2
	s_or_b32 exec_lo, exec_lo, s41
	s_delay_alu instid0(SALU_CYCLE_1)
	s_and_b32 s10, s10, exec_lo
                                        ; implicit-def: $vgpr96
	s_or_saveexec_b32 s11, s11
	v_bfrev_b32_e32 v11, 1
	s_xor_b32 exec_lo, exec_lo, s11
	s_cbranch_execz .LBB2_1653
.LBB2_1685:                             ;   in Loop: Header=BB2_1013 Depth=2
	v_cmp_ne_u16_e32 vcc_lo, 0, v96
	v_mov_b32_e32 v11, 0
	s_and_not1_b32 s10, s10, exec_lo
	s_and_b32 s41, vcc_lo, exec_lo
	s_delay_alu instid0(SALU_CYCLE_1)
	s_or_b32 s10, s10, s41
	s_or_b32 exec_lo, exec_lo, s11
	s_and_saveexec_b32 s11, s10
	s_cbranch_execnz .LBB2_1654
	s_branch .LBB2_1655
.LBB2_1686:                             ;   in Loop: Header=BB2_1013 Depth=2
	s_mov_b32 s11, -1
	s_mov_b32 s41, exec_lo
	v_cmpx_eq_u16_e32 0x80, v96
; %bb.1687:                             ;   in Loop: Header=BB2_1013 Depth=2
	s_xor_b32 s11, exec_lo, -1
; %bb.1688:                             ;   in Loop: Header=BB2_1013 Depth=2
	s_or_b32 exec_lo, exec_lo, s41
	s_delay_alu instid0(SALU_CYCLE_1)
	s_and_b32 s11, s11, exec_lo
	s_or_saveexec_b32 s10, s10
	v_bfrev_b32_e32 v97, 1
	s_xor_b32 exec_lo, exec_lo, s10
	s_cbranch_execz .LBB2_1681
.LBB2_1689:                             ;   in Loop: Header=BB2_1013 Depth=2
	v_cmp_ne_u16_e32 vcc_lo, 0, v96
	v_mov_b32_e32 v97, 0
	s_and_not1_b32 s11, s11, exec_lo
	s_and_b32 s41, vcc_lo, exec_lo
	s_delay_alu instid0(SALU_CYCLE_1)
	s_or_b32 s11, s11, s41
	s_or_b32 exec_lo, exec_lo, s10
	s_and_saveexec_b32 s10, s11
	s_cbranch_execz .LBB2_1693
.LBB2_1690:                             ;   in Loop: Header=BB2_1013 Depth=2
	v_and_b32_e32 v10, 0xffff, v96
	v_mov_b32_e32 v97, 0x7f800001
	s_mov_b32 s11, exec_lo
	s_delay_alu instid0(VALU_DEP_2) | instskip(NEXT) | instid1(VALU_DEP_1)
	v_and_b32_e32 v98, 0x7f, v10
	v_cmpx_ne_u32_e32 0x7f, v98
	s_cbranch_execz .LBB2_1692
; %bb.1691:                             ;   in Loop: Header=BB2_1013 Depth=2
	v_and_b32_e32 v97, 7, v10
	v_cmp_gt_u32_e32 vcc_lo, 8, v98
	v_lshlrev_b32_e32 v96, 24, v96
	s_delay_alu instid0(VALU_DEP_3) | instskip(NEXT) | instid1(VALU_DEP_2)
	v_clz_i32_u32_e32 v99, v97
	v_and_b32_e32 v96, 0x80000000, v96
	s_delay_alu instid0(VALU_DEP_2) | instskip(NEXT) | instid1(VALU_DEP_1)
	v_min_u32_e32 v99, 32, v99
	v_subrev_nc_u32_e32 v56, 28, v99
	v_sub_nc_u32_e32 v99, 29, v99
	s_delay_alu instid0(VALU_DEP_2) | instskip(SKIP_1) | instid1(VALU_DEP_1)
	v_lshlrev_b64_e32 v[62:63], v56, v[10:11]
	v_lshrrev_b32_e32 v10, 3, v98
	v_dual_cndmask_b32 v10, v10, v99, vcc_lo :: v_dual_bitop2_b32 v98, 7, v62 bitop3:0x40
	s_delay_alu instid0(VALU_DEP_1) | instskip(NEXT) | instid1(VALU_DEP_2)
	v_lshl_add_u32 v10, v10, 23, 0x3c000000
	v_cndmask_b32_e32 v97, v97, v98, vcc_lo
	s_delay_alu instid0(VALU_DEP_1) | instskip(NEXT) | instid1(VALU_DEP_1)
	v_lshlrev_b32_e32 v97, 20, v97
	v_or3_b32 v97, v97, v96, v10
.LBB2_1692:                             ;   in Loop: Header=BB2_1013 Depth=2
	s_or_b32 exec_lo, exec_lo, s11
.LBB2_1693:                             ;   in Loop: Header=BB2_1013 Depth=2
	s_delay_alu instid0(SALU_CYCLE_1) | instskip(NEXT) | instid1(VALU_DEP_1)
	s_or_b32 exec_lo, exec_lo, s10
	v_add_f32_e32 v10, v11, v97
	v_mov_b32_e32 v97, v35
                                        ; implicit-def: $vgpr56
	s_mov_b32 s10, exec_lo
	s_delay_alu instid0(VALU_DEP_2) | instskip(SKIP_1) | instid1(VALU_DEP_2)
	v_and_b32_e32 v96, 0x7f800000, v10
	v_lshrrev_b32_e32 v11, 24, v10
	v_cmpx_ne_u64_e32 0x7f800000, v[96:97]
	s_xor_b32 s11, exec_lo, s10
	s_cbranch_execz .LBB2_1707
; %bb.1694:                             ;   in Loop: Header=BB2_1013 Depth=2
	v_and_b32_e32 v96, 0x7fffffff, v10
	v_mov_b32_e32 v97, v35
	v_and_b32_e32 v98, 0x80, v11
                                        ; implicit-def: $vgpr56
	s_mov_b32 s10, exec_lo
	s_delay_alu instid0(VALU_DEP_2)
	v_cmpx_gt_u64_e32 0x43e00001, v[96:97]
	s_xor_b32 s41, exec_lo, s10
	s_cbranch_execz .LBB2_1704
; %bb.1695:                             ;   in Loop: Header=BB2_1013 Depth=2
	v_mov_b32_e32 v56, 0
	s_mov_b32 s42, exec_lo
	v_cmpx_ne_u32_e32 0, v10
	s_cbranch_execz .LBB2_1703
; %bb.1696:                             ;   in Loop: Header=BB2_1013 Depth=2
	v_bfe_u32 v99, v10, 23, 8
	v_and_b32_e32 v96, 0x7fffff, v10
	s_mov_b32 s43, exec_lo
	s_delay_alu instid0(VALU_DEP_2) | instskip(NEXT) | instid1(VALU_DEP_2)
	v_cmp_gt_u32_e32 vcc_lo, 0x7a, v99
	v_or_b32_e32 v97, 0x800000, v96
	v_sub_nc_u32_e32 v11, 0x79, v99
	s_delay_alu instid0(VALU_DEP_1) | instskip(SKIP_1) | instid1(VALU_DEP_2)
	v_cndmask_b32_e32 v11, 0, v11, vcc_lo
	v_cmp_eq_u32_e32 vcc_lo, 0, v99
	v_cndmask_b32_e64 v56, v11, 0x78, vcc_lo
	v_dual_cndmask_b32 v96, v97, v96 :: v_dual_mov_b32 v97, v35
	s_delay_alu instid0(VALU_DEP_2) | instskip(NEXT) | instid1(VALU_DEP_1)
	v_dual_add_nc_u32 v59, 19, v56 :: v_dual_add_nc_u32 v10, 20, v56
	v_lshlrev_b64_e64 v[62:63], v59, 1
	s_delay_alu instid0(VALU_DEP_2) | instskip(NEXT) | instid1(VALU_DEP_1)
	v_lshlrev_b64_e64 v[10:11], v10, -1
	v_bfi_b32 v73, v11, 0, 0
	s_delay_alu instid0(VALU_DEP_2) | instskip(SKIP_1) | instid1(VALU_DEP_1)
	v_bfi_b32 v72, v10, 0, v96
	v_lshrrev_b64 v[10:11], v56, v[96:97]
	v_mov_b64_e32 v[96:97], v[10:11]
	s_delay_alu instid0(VALU_DEP_3)
	v_cmpx_eq_u64_e64 v[72:73], v[62:63]
; %bb.1697:                             ;   in Loop: Header=BB2_1013 Depth=2
	v_bfe_u32 v96, v10, 20, 1
	v_mov_b32_e32 v97, v35
	s_delay_alu instid0(VALU_DEP_1) | instskip(NEXT) | instid1(VALU_DEP_1)
	v_add_nc_u64_e32 v[96:97], v[10:11], v[96:97]
	v_add_nc_u64_e32 v[96:97], -1, v[96:97]
; %bb.1698:                             ;   in Loop: Header=BB2_1013 Depth=2
	s_or_b32 exec_lo, exec_lo, s43
	v_add_nc_u32_e32 v11, 0xffffff81, v99
	v_lshrrev_b32_e32 v97, 23, v10
	s_mov_b32 s10, exec_lo
	s_delay_alu instid0(VALU_DEP_2) | instskip(NEXT) | instid1(VALU_DEP_1)
	v_cndmask_b32_e64 v11, v11, 0xffffff82, vcc_lo
	v_add3_u32 v97, v56, v11, v97
	v_and_b32_e32 v11, 0xfffff, v96
                                        ; implicit-def: $vgpr96
	s_delay_alu instid0(VALU_DEP_1) | instskip(SKIP_1) | instid1(VALU_DEP_2)
	v_dual_add_nc_u32 v99, 6, v97 :: v_dual_add_nc_u32 v10, v11, v10
	v_mov_b32_e32 v11, v35
	v_cmpx_ne_u32_e32 0, v99
	s_xor_b32 s10, exec_lo, s10
; %bb.1699:                             ;   in Loop: Header=BB2_1013 Depth=2
	s_delay_alu instid0(VALU_DEP_2) | instskip(SKIP_2) | instid1(VALU_DEP_2)
	v_cmp_lt_u64_e32 vcc_lo, 0xffffff, v[10:11]
	v_add_nc_u32_e32 v96, 7, v97
	v_cndmask_b32_e64 v97, 0, 1, vcc_lo
	v_cndmask_b32_e32 v96, v99, v96, vcc_lo
	s_delay_alu instid0(VALU_DEP_2)
	v_lshrrev_b64 v[10:11], v97, v[10:11]
; %bb.1700:                             ;   in Loop: Header=BB2_1013 Depth=2
	s_and_not1_saveexec_b32 s10, s10
; %bb.1701:                             ;   in Loop: Header=BB2_1013 Depth=2
	s_delay_alu instid0(VALU_DEP_1)
	v_bfe_u32 v96, v10, 23, 1
; %bb.1702:                             ;   in Loop: Header=BB2_1013 Depth=2
	s_or_b32 exec_lo, exec_lo, s10
	s_delay_alu instid0(VALU_DEP_2) | instskip(NEXT) | instid1(VALU_DEP_2)
	v_lshrrev_b64 v[10:11], 20, v[10:11]
	v_cmp_gt_i32_e32 vcc_lo, 16, v96
	v_min_i32_e32 v97, 15, v96
	v_cmp_eq_u32_e64 s10, 0, v96
	s_delay_alu instid0(VALU_DEP_2) | instskip(SKIP_1) | instid1(VALU_DEP_2)
	v_dual_cndmask_b32 v11, 0, v11, vcc_lo :: v_dual_lshlrev_b32 v97, 3, v97
	v_cndmask_b32_e32 v10, 7, v10, vcc_lo
	v_and_b32_e32 v97, 0xf8, v97
	s_delay_alu instid0(VALU_DEP_2) | instskip(NEXT) | instid1(VALU_DEP_2)
	v_cmp_eq_u64_e32 vcc_lo, 0, v[10:11]
	v_and_or_b32 v10, v10, 7, v97
	s_and_b32 s10, s10, vcc_lo
	s_delay_alu instid0(VALU_DEP_1) | instid1(SALU_CYCLE_1)
	v_cndmask_b32_e64 v10, v10, 0, s10
	s_delay_alu instid0(VALU_DEP_1)
	v_or_b32_e32 v56, v10, v98
.LBB2_1703:                             ;   in Loop: Header=BB2_1013 Depth=2
	s_or_b32 exec_lo, exec_lo, s42
                                        ; implicit-def: $vgpr98
.LBB2_1704:                             ;   in Loop: Header=BB2_1013 Depth=2
	s_and_not1_saveexec_b32 s10, s41
; %bb.1705:                             ;   in Loop: Header=BB2_1013 Depth=2
	v_or_b32_e32 v56, 0x7e, v98
; %bb.1706:                             ;   in Loop: Header=BB2_1013 Depth=2
	s_or_b32 exec_lo, exec_lo, s10
                                        ; implicit-def: $vgpr11
.LBB2_1707:                             ;   in Loop: Header=BB2_1013 Depth=2
	s_and_not1_saveexec_b32 s10, s11
; %bb.1708:                             ;   in Loop: Header=BB2_1013 Depth=2
	v_or_b32_e32 v56, 0x7f, v11
; %bb.1709:                             ;   in Loop: Header=BB2_1013 Depth=2
	s_or_b32 exec_lo, exec_lo, s10
	v_dual_mov_b32 v11, 0 :: v_dual_lshrrev_b32 v96, 16, v34
	s_mov_b32 s10, exec_lo
	s_delay_alu instid0(VALU_DEP_1) | instskip(NEXT) | instid1(VALU_DEP_1)
	v_and_b32_e32 v10, 0xff, v96
	v_cmpx_ne_u16_e32 0, v10
	s_cbranch_execz .LBB2_1717
; %bb.1710:                             ;   in Loop: Header=BB2_1013 Depth=2
	v_bfrev_b32_e32 v11, 1
	s_mov_b32 s11, exec_lo
	v_cmpx_ne_u16_e32 0x80, v10
	s_cbranch_execz .LBB2_1716
; %bb.1711:                             ;   in Loop: Header=BB2_1013 Depth=2
	v_bfe_u32 v98, v34, 16, 7
	v_mov_b32_e32 v11, 0x7f800001
	s_mov_b32 s41, exec_lo
	s_delay_alu instid0(VALU_DEP_2)
	v_cmpx_ne_u32_e32 0x7f, v98
	s_cbranch_execz .LBB2_1715
; %bb.1712:                             ;   in Loop: Header=BB2_1013 Depth=2
	v_dual_mov_b32 v11, v35 :: v_dual_bitop2_b32 v10, 7, v96 bitop3:0x40
	v_lshrrev_b32_e32 v97, 3, v98
	s_mov_b32 s42, exec_lo
	v_cmpx_gt_u32_e32 8, v98
; %bb.1713:                             ;   in Loop: Header=BB2_1013 Depth=2
	s_delay_alu instid0(VALU_DEP_3) | instskip(NEXT) | instid1(VALU_DEP_1)
	v_clz_i32_u32_e32 v97, v10
	v_min_u32_e32 v97, 32, v97
	s_delay_alu instid0(VALU_DEP_1) | instskip(NEXT) | instid1(VALU_DEP_1)
	v_subrev_nc_u32_e32 v98, 28, v97
	v_lshlrev_b64_e32 v[10:11], v98, v[10:11]
	s_delay_alu instid0(VALU_DEP_1)
	v_dual_sub_nc_u32 v97, 29, v97 :: v_dual_bitop2_b32 v10, 7, v10 bitop3:0x40
; %bb.1714:                             ;   in Loop: Header=BB2_1013 Depth=2
	s_or_b32 exec_lo, exec_lo, s42
	s_delay_alu instid0(VALU_DEP_1) | instskip(NEXT) | instid1(VALU_DEP_2)
	v_dual_lshlrev_b32 v11, 24, v96 :: v_dual_lshlrev_b32 v10, 20, v10
	v_lshl_add_u32 v96, v97, 23, 0x3c000000
	s_delay_alu instid0(VALU_DEP_2) | instskip(NEXT) | instid1(VALU_DEP_1)
	v_and_b32_e32 v11, 0x80000000, v11
	v_or3_b32 v11, v10, v11, v96
.LBB2_1715:                             ;   in Loop: Header=BB2_1013 Depth=2
	s_or_b32 exec_lo, exec_lo, s41
.LBB2_1716:                             ;   in Loop: Header=BB2_1013 Depth=2
	s_delay_alu instid0(SALU_CYCLE_1)
	s_or_b32 exec_lo, exec_lo, s11
.LBB2_1717:                             ;   in Loop: Header=BB2_1013 Depth=2
	s_delay_alu instid0(SALU_CYCLE_1) | instskip(SKIP_3) | instid1(VALU_DEP_1)
	s_or_b32 exec_lo, exec_lo, s10
	v_lshrrev_b32_e32 v10, 16, v12
	s_mov_b32 s11, 0
	s_mov_b32 s10, exec_lo
	v_and_b32_e32 v97, 0xff, v10
	s_delay_alu instid0(VALU_DEP_1)
	v_cmpx_lt_i16_e32 0x7f, v97
	s_xor_b32 s10, exec_lo, s10
	s_cbranch_execnz .LBB2_1720
; %bb.1718:                             ;   in Loop: Header=BB2_1013 Depth=2
	s_or_saveexec_b32 s10, s10
	v_bfrev_b32_e32 v96, 1
	s_xor_b32 exec_lo, exec_lo, s10
	s_cbranch_execnz .LBB2_1723
.LBB2_1719:                             ;   in Loop: Header=BB2_1013 Depth=2
	s_or_b32 exec_lo, exec_lo, s10
	s_and_saveexec_b32 s10, s11
	s_cbranch_execnz .LBB2_1724
	s_branch .LBB2_1727
.LBB2_1720:                             ;   in Loop: Header=BB2_1013 Depth=2
	s_mov_b32 s11, -1
	s_mov_b32 s41, exec_lo
	v_cmpx_eq_u16_e32 0x80, v97
; %bb.1721:                             ;   in Loop: Header=BB2_1013 Depth=2
	s_xor_b32 s11, exec_lo, -1
; %bb.1722:                             ;   in Loop: Header=BB2_1013 Depth=2
	s_or_b32 exec_lo, exec_lo, s41
	s_delay_alu instid0(SALU_CYCLE_1)
	s_and_b32 s11, s11, exec_lo
                                        ; implicit-def: $vgpr97
	s_or_saveexec_b32 s10, s10
	v_bfrev_b32_e32 v96, 1
	s_xor_b32 exec_lo, exec_lo, s10
	s_cbranch_execz .LBB2_1719
.LBB2_1723:                             ;   in Loop: Header=BB2_1013 Depth=2
	v_cmp_ne_u16_e32 vcc_lo, 0, v97
	v_mov_b32_e32 v96, 0
	s_and_not1_b32 s11, s11, exec_lo
	s_and_b32 s41, vcc_lo, exec_lo
	s_delay_alu instid0(SALU_CYCLE_1)
	s_or_b32 s11, s11, s41
	s_or_b32 exec_lo, exec_lo, s10
	s_and_saveexec_b32 s10, s11
	s_cbranch_execz .LBB2_1727
.LBB2_1724:                             ;   in Loop: Header=BB2_1013 Depth=2
	v_and_b32_e32 v97, 0x7f, v10
	v_mov_b32_e32 v96, 0x7f800001
	s_mov_b32 s11, exec_lo
	s_delay_alu instid0(VALU_DEP_2)
	v_cmpx_ne_u32_e32 0x7f, v97
	s_cbranch_execz .LBB2_1726
; %bb.1725:                             ;   in Loop: Header=BB2_1013 Depth=2
	v_and_b32_e32 v96, 7, v10
	v_cmp_gt_u32_e32 vcc_lo, 8, v97
	s_delay_alu instid0(VALU_DEP_2) | instskip(NEXT) | instid1(VALU_DEP_1)
	v_clz_i32_u32_e32 v98, v96
	v_min_u32_e32 v59, 32, v98
	s_delay_alu instid0(VALU_DEP_1) | instskip(NEXT) | instid1(VALU_DEP_1)
	v_subrev_nc_u32_e32 v98, 28, v59
	v_lshlrev_b64_e32 v[98:99], v98, v[10:11]
	v_dual_lshrrev_b32 v99, 3, v97 :: v_dual_sub_nc_u32 v59, 29, v59
	v_lshlrev_b32_e32 v10, 24, v10
	s_delay_alu instid0(VALU_DEP_2) | instskip(NEXT) | instid1(VALU_DEP_2)
	v_dual_cndmask_b32 v98, v99, v59, vcc_lo :: v_dual_bitop2_b32 v97, 7, v98 bitop3:0x40
	v_and_b32_e32 v10, 0x80000000, v10
	s_delay_alu instid0(VALU_DEP_2) | instskip(NEXT) | instid1(VALU_DEP_3)
	v_cndmask_b32_e32 v96, v96, v97, vcc_lo
	v_lshl_add_u32 v97, v98, 23, 0x3c000000
	s_delay_alu instid0(VALU_DEP_2) | instskip(NEXT) | instid1(VALU_DEP_1)
	v_lshlrev_b32_e32 v96, 20, v96
	v_or3_b32 v96, v96, v10, v97
.LBB2_1726:                             ;   in Loop: Header=BB2_1013 Depth=2
	s_or_b32 exec_lo, exec_lo, s11
.LBB2_1727:                             ;   in Loop: Header=BB2_1013 Depth=2
	s_delay_alu instid0(SALU_CYCLE_1) | instskip(NEXT) | instid1(VALU_DEP_1)
	s_or_b32 exec_lo, exec_lo, s10
	v_add_f32_e32 v10, v11, v96
	v_mov_b32_e32 v97, v35
                                        ; implicit-def: $vgpr59
	s_mov_b32 s10, exec_lo
	s_delay_alu instid0(VALU_DEP_2) | instskip(SKIP_1) | instid1(VALU_DEP_2)
	v_and_b32_e32 v96, 0x7f800000, v10
	v_lshrrev_b32_e32 v11, 24, v10
	v_cmpx_ne_u64_e32 0x7f800000, v[96:97]
	s_xor_b32 s11, exec_lo, s10
	s_cbranch_execz .LBB2_1741
; %bb.1728:                             ;   in Loop: Header=BB2_1013 Depth=2
	v_and_b32_e32 v96, 0x7fffffff, v10
	v_mov_b32_e32 v97, v35
	v_and_b32_e32 v98, 0x80, v11
                                        ; implicit-def: $vgpr59
	s_mov_b32 s10, exec_lo
	s_delay_alu instid0(VALU_DEP_2)
	v_cmpx_gt_u64_e32 0x43e00001, v[96:97]
	s_xor_b32 s41, exec_lo, s10
	s_cbranch_execz .LBB2_1738
; %bb.1729:                             ;   in Loop: Header=BB2_1013 Depth=2
	v_mov_b32_e32 v59, 0
	s_mov_b32 s42, exec_lo
	v_cmpx_ne_u32_e32 0, v10
	s_cbranch_execz .LBB2_1737
; %bb.1730:                             ;   in Loop: Header=BB2_1013 Depth=2
	v_bfe_u32 v99, v10, 23, 8
	v_and_b32_e32 v96, 0x7fffff, v10
	s_mov_b32 s43, exec_lo
	s_delay_alu instid0(VALU_DEP_2) | instskip(NEXT) | instid1(VALU_DEP_2)
	v_cmp_gt_u32_e32 vcc_lo, 0x7a, v99
	v_or_b32_e32 v97, 0x800000, v96
	v_sub_nc_u32_e32 v11, 0x79, v99
	s_delay_alu instid0(VALU_DEP_1) | instskip(SKIP_1) | instid1(VALU_DEP_4)
	v_cndmask_b32_e32 v11, 0, v11, vcc_lo
	v_cmp_eq_u32_e32 vcc_lo, 0, v99
	v_dual_cndmask_b32 v96, v97, v96 :: v_dual_mov_b32 v97, v35
	s_delay_alu instid0(VALU_DEP_3) | instskip(NEXT) | instid1(VALU_DEP_1)
	v_cndmask_b32_e64 v59, v11, 0x78, vcc_lo
	v_dual_add_nc_u32 v10, 20, v59 :: v_dual_add_nc_u32 v60, 19, v59
	s_delay_alu instid0(VALU_DEP_1) | instskip(NEXT) | instid1(VALU_DEP_2)
	v_lshlrev_b64_e64 v[10:11], v10, -1
	v_lshlrev_b64_e64 v[62:63], v60, 1
	s_delay_alu instid0(VALU_DEP_2) | instskip(NEXT) | instid1(VALU_DEP_3)
	v_bfi_b32 v73, v11, 0, 0
	v_bfi_b32 v72, v10, 0, v96
	v_lshrrev_b64 v[10:11], v59, v[96:97]
	s_delay_alu instid0(VALU_DEP_1) | instskip(NEXT) | instid1(VALU_DEP_3)
	v_mov_b64_e32 v[96:97], v[10:11]
	v_cmpx_eq_u64_e64 v[72:73], v[62:63]
; %bb.1731:                             ;   in Loop: Header=BB2_1013 Depth=2
	v_bfe_u32 v96, v10, 20, 1
	v_mov_b32_e32 v97, v35
	s_delay_alu instid0(VALU_DEP_1) | instskip(NEXT) | instid1(VALU_DEP_1)
	v_add_nc_u64_e32 v[96:97], v[10:11], v[96:97]
	v_add_nc_u64_e32 v[96:97], -1, v[96:97]
; %bb.1732:                             ;   in Loop: Header=BB2_1013 Depth=2
	s_or_b32 exec_lo, exec_lo, s43
	v_add_nc_u32_e32 v11, 0xffffff81, v99
	v_lshrrev_b32_e32 v97, 23, v10
	s_mov_b32 s10, exec_lo
	s_delay_alu instid0(VALU_DEP_2) | instskip(NEXT) | instid1(VALU_DEP_1)
	v_cndmask_b32_e64 v11, v11, 0xffffff82, vcc_lo
	v_add3_u32 v97, v59, v11, v97
	v_and_b32_e32 v11, 0xfffff, v96
                                        ; implicit-def: $vgpr96
	s_delay_alu instid0(VALU_DEP_1) | instskip(SKIP_1) | instid1(VALU_DEP_2)
	v_dual_add_nc_u32 v99, 6, v97 :: v_dual_add_nc_u32 v10, v11, v10
	v_mov_b32_e32 v11, v35
	v_cmpx_ne_u32_e32 0, v99
	s_xor_b32 s10, exec_lo, s10
; %bb.1733:                             ;   in Loop: Header=BB2_1013 Depth=2
	s_delay_alu instid0(VALU_DEP_2) | instskip(SKIP_2) | instid1(VALU_DEP_2)
	v_cmp_lt_u64_e32 vcc_lo, 0xffffff, v[10:11]
	v_add_nc_u32_e32 v96, 7, v97
	v_cndmask_b32_e64 v97, 0, 1, vcc_lo
	v_cndmask_b32_e32 v96, v99, v96, vcc_lo
	s_delay_alu instid0(VALU_DEP_2)
	v_lshrrev_b64 v[10:11], v97, v[10:11]
; %bb.1734:                             ;   in Loop: Header=BB2_1013 Depth=2
	s_and_not1_saveexec_b32 s10, s10
; %bb.1735:                             ;   in Loop: Header=BB2_1013 Depth=2
	s_delay_alu instid0(VALU_DEP_1)
	v_bfe_u32 v96, v10, 23, 1
; %bb.1736:                             ;   in Loop: Header=BB2_1013 Depth=2
	s_or_b32 exec_lo, exec_lo, s10
	s_delay_alu instid0(VALU_DEP_2) | instskip(NEXT) | instid1(VALU_DEP_2)
	v_lshrrev_b64 v[10:11], 20, v[10:11]
	v_cmp_gt_i32_e32 vcc_lo, 16, v96
	v_min_i32_e32 v97, 15, v96
	v_cmp_eq_u32_e64 s10, 0, v96
	s_delay_alu instid0(VALU_DEP_2) | instskip(SKIP_1) | instid1(VALU_DEP_2)
	v_dual_cndmask_b32 v11, 0, v11, vcc_lo :: v_dual_lshlrev_b32 v97, 3, v97
	v_cndmask_b32_e32 v10, 7, v10, vcc_lo
	v_and_b32_e32 v97, 0xf8, v97
	s_delay_alu instid0(VALU_DEP_2) | instskip(NEXT) | instid1(VALU_DEP_2)
	v_cmp_eq_u64_e32 vcc_lo, 0, v[10:11]
	v_and_or_b32 v10, v10, 7, v97
	s_and_b32 s10, s10, vcc_lo
	s_delay_alu instid0(VALU_DEP_1) | instid1(SALU_CYCLE_1)
	v_cndmask_b32_e64 v10, v10, 0, s10
	s_delay_alu instid0(VALU_DEP_1)
	v_or_b32_e32 v59, v10, v98
.LBB2_1737:                             ;   in Loop: Header=BB2_1013 Depth=2
	s_or_b32 exec_lo, exec_lo, s42
                                        ; implicit-def: $vgpr98
.LBB2_1738:                             ;   in Loop: Header=BB2_1013 Depth=2
	s_and_not1_saveexec_b32 s10, s41
; %bb.1739:                             ;   in Loop: Header=BB2_1013 Depth=2
	v_or_b32_e32 v59, 0x7e, v98
; %bb.1740:                             ;   in Loop: Header=BB2_1013 Depth=2
	s_or_b32 exec_lo, exec_lo, s10
                                        ; implicit-def: $vgpr11
.LBB2_1741:                             ;   in Loop: Header=BB2_1013 Depth=2
	s_and_not1_saveexec_b32 s10, s11
; %bb.1742:                             ;   in Loop: Header=BB2_1013 Depth=2
	v_or_b32_e32 v59, 0x7f, v11
; %bb.1743:                             ;   in Loop: Header=BB2_1013 Depth=2
	s_or_b32 exec_lo, exec_lo, s10
	v_mov_b32_e32 v11, 0
	s_mov_b32 s10, exec_lo
	v_cmpx_lt_u32_e32 0xffffff, v34
	s_cbranch_execz .LBB2_1751
; %bb.1744:                             ;   in Loop: Header=BB2_1013 Depth=2
	v_lshrrev_b32_e32 v10, 24, v34
	v_bfrev_b32_e32 v11, 1
	s_mov_b32 s11, exec_lo
	s_delay_alu instid0(VALU_DEP_2)
	v_cmpx_ne_u32_e32 0x80, v10
	s_cbranch_execz .LBB2_1750
; %bb.1745:                             ;   in Loop: Header=BB2_1013 Depth=2
	v_bfe_u32 v96, v34, 24, 7
	v_mov_b32_e32 v11, 0x7f800001
	s_mov_b32 s41, exec_lo
	s_delay_alu instid0(VALU_DEP_2)
	v_cmpx_ne_u32_e32 0x7f, v96
	s_cbranch_execz .LBB2_1749
; %bb.1746:                             ;   in Loop: Header=BB2_1013 Depth=2
	v_dual_lshrrev_b32 v11, 3, v96 :: v_dual_bitop2_b32 v34, 7, v10 bitop3:0x40
	s_mov_b32 s42, exec_lo
	v_cmpx_gt_u32_e32 8, v96
; %bb.1747:                             ;   in Loop: Header=BB2_1013 Depth=2
	s_delay_alu instid0(VALU_DEP_2) | instskip(NEXT) | instid1(VALU_DEP_1)
	v_clz_i32_u32_e32 v11, v34
	v_min_u32_e32 v11, 32, v11
	s_delay_alu instid0(VALU_DEP_1) | instskip(NEXT) | instid1(VALU_DEP_1)
	v_subrev_nc_u32_e32 v96, 28, v11
	v_lshlrev_b64_e32 v[96:97], v96, v[34:35]
	s_delay_alu instid0(VALU_DEP_1)
	v_dual_sub_nc_u32 v11, 29, v11 :: v_dual_bitop2_b32 v34, 7, v96 bitop3:0x40
; %bb.1748:                             ;   in Loop: Header=BB2_1013 Depth=2
	s_or_b32 exec_lo, exec_lo, s42
	v_lshlrev_b32_e32 v10, 24, v10
	s_delay_alu instid0(VALU_DEP_2) | instskip(NEXT) | instid1(VALU_DEP_3)
	v_lshlrev_b32_e32 v34, 20, v34
	v_lshl_add_u32 v11, v11, 23, 0x3c000000
	s_delay_alu instid0(VALU_DEP_3) | instskip(NEXT) | instid1(VALU_DEP_1)
	v_and_b32_e32 v10, 0x80000000, v10
	v_or3_b32 v11, v34, v10, v11
.LBB2_1749:                             ;   in Loop: Header=BB2_1013 Depth=2
	s_or_b32 exec_lo, exec_lo, s41
.LBB2_1750:                             ;   in Loop: Header=BB2_1013 Depth=2
	s_delay_alu instid0(SALU_CYCLE_1)
	s_or_b32 exec_lo, exec_lo, s11
.LBB2_1751:                             ;   in Loop: Header=BB2_1013 Depth=2
	s_delay_alu instid0(SALU_CYCLE_1) | instskip(SKIP_3) | instid1(VALU_DEP_3)
	s_or_b32 exec_lo, exec_lo, s10
	v_lshrrev_b32_e32 v10, 24, v12
	v_bfe_u32 v34, v12, 24, 7
	v_cmp_gt_u32_e64 s11, 0x1000000, v12
	v_cmp_eq_u32_e32 vcc_lo, 0x80, v10
	s_delay_alu instid0(VALU_DEP_3) | instskip(SKIP_2) | instid1(VALU_DEP_1)
	v_cmp_eq_u32_e64 s10, 0x7f, v34
	v_cndmask_b32_e32 v96, 0x7f800001, v116, vcc_lo
	s_or_b32 s10, vcc_lo, s10
	v_cndmask_b32_e64 v96, v96, 0, s11
	s_nor_b32 s11, s11, s10
	s_delay_alu instid0(SALU_CYCLE_1)
	s_and_saveexec_b32 s10, s11
	s_cbranch_execz .LBB2_1753
; %bb.1752:                             ;   in Loop: Header=BB2_1013 Depth=2
	v_and_b32_e32 v98, 7, v10
	v_cmp_gt_u32_e32 vcc_lo, 8, v34
	s_delay_alu instid0(VALU_DEP_2) | instskip(NEXT) | instid1(VALU_DEP_1)
	v_clz_i32_u32_e32 v96, v98
	v_min_u32_e32 v99, 32, v96
	s_delay_alu instid0(VALU_DEP_1) | instskip(SKIP_1) | instid1(VALU_DEP_2)
	v_subrev_nc_u32_e32 v96, 28, v99
	v_sub_nc_u32_e32 v99, 29, v99
	v_lshlrev_b64_e32 v[96:97], v96, v[10:11]
	v_lshrrev_b32_e32 v97, 3, v34
	s_delay_alu instid0(VALU_DEP_2) | instskip(NEXT) | instid1(VALU_DEP_2)
	v_dual_lshlrev_b32 v10, 24, v10 :: v_dual_bitop2_b32 v34, 7, v96 bitop3:0x40
	v_cndmask_b32_e32 v96, v97, v99, vcc_lo
	s_delay_alu instid0(VALU_DEP_2) | instskip(NEXT) | instid1(VALU_DEP_3)
	v_and_b32_e32 v10, 0x80000000, v10
	v_cndmask_b32_e32 v34, v98, v34, vcc_lo
	s_delay_alu instid0(VALU_DEP_3) | instskip(NEXT) | instid1(VALU_DEP_2)
	v_lshl_add_u32 v96, v96, 23, 0x3c000000
	v_lshlrev_b32_e32 v34, 20, v34
	s_delay_alu instid0(VALU_DEP_1)
	v_or3_b32 v96, v34, v10, v96
.LBB2_1753:                             ;   in Loop: Header=BB2_1013 Depth=2
	s_or_b32 exec_lo, exec_lo, s10
	s_delay_alu instid0(VALU_DEP_1) | instskip(SKIP_1) | instid1(VALU_DEP_1)
	v_add_f32_e32 v10, v11, v96
                                        ; implicit-def: $vgpr60
	s_mov_b32 s10, exec_lo
	v_and_b32_e32 v34, 0x7f800000, v10
	v_lshrrev_b32_e32 v11, 24, v10
	s_delay_alu instid0(VALU_DEP_2)
	v_cmpx_ne_u64_e32 0x7f800000, v[34:35]
	s_xor_b32 s11, exec_lo, s10
	s_cbranch_execz .LBB2_1767
; %bb.1754:                             ;   in Loop: Header=BB2_1013 Depth=2
	v_and_b32_e32 v34, 0x7fffffff, v10
	v_and_b32_e32 v98, 0x80, v11
                                        ; implicit-def: $vgpr60
	s_mov_b32 s10, exec_lo
	s_delay_alu instid0(VALU_DEP_2)
	v_cmpx_gt_u64_e32 0x43e00001, v[34:35]
	s_xor_b32 s41, exec_lo, s10
	s_cbranch_execz .LBB2_1764
; %bb.1755:                             ;   in Loop: Header=BB2_1013 Depth=2
	v_mov_b32_e32 v60, 0
	s_mov_b32 s42, exec_lo
	v_cmpx_ne_u32_e32 0, v10
	s_cbranch_execz .LBB2_1763
; %bb.1756:                             ;   in Loop: Header=BB2_1013 Depth=2
	v_bfe_u32 v99, v10, 23, 8
	v_and_b32_e32 v34, 0x7fffff, v10
	s_delay_alu instid0(VALU_DEP_2) | instskip(NEXT) | instid1(VALU_DEP_2)
	v_cmp_gt_u32_e32 vcc_lo, 0x7a, v99
	v_or_b32_e32 v96, 0x800000, v34
	v_sub_nc_u32_e32 v11, 0x79, v99
	s_delay_alu instid0(VALU_DEP_1) | instskip(SKIP_1) | instid1(VALU_DEP_2)
	v_cndmask_b32_e32 v11, 0, v11, vcc_lo
	v_cmp_eq_u32_e32 vcc_lo, 0, v99
	v_cndmask_b32_e64 v60, v11, 0x78, vcc_lo
	s_delay_alu instid0(VALU_DEP_1) | instskip(SKIP_1) | instid1(VALU_DEP_2)
	v_dual_cndmask_b32 v34, v96, v34, vcc_lo :: v_dual_add_nc_u32 v10, 20, v60
	v_add_nc_u32_e32 v97, 19, v60
	v_lshlrev_b64_e64 v[10:11], v10, -1
	s_delay_alu instid0(VALU_DEP_2) | instskip(NEXT) | instid1(VALU_DEP_2)
	v_lshlrev_b64_e64 v[96:97], v97, 1
	v_bfi_b32 v63, v11, 0, 0
	s_delay_alu instid0(VALU_DEP_3) | instskip(SKIP_1) | instid1(VALU_DEP_2)
	v_bfi_b32 v62, v10, 0, v34
	v_lshrrev_b64 v[10:11], v60, v[34:35]
	v_cmp_eq_u64_e64 s10, v[62:63], v[96:97]
	s_delay_alu instid0(VALU_DEP_2)
	v_mov_b64_e32 v[96:97], v[10:11]
	s_and_saveexec_b32 s43, s10
; %bb.1757:                             ;   in Loop: Header=BB2_1013 Depth=2
	v_bfe_u32 v34, v10, 20, 1
	s_delay_alu instid0(VALU_DEP_1) | instskip(NEXT) | instid1(VALU_DEP_1)
	v_add_nc_u64_e32 v[96:97], v[10:11], v[34:35]
	v_add_nc_u64_e32 v[96:97], -1, v[96:97]
; %bb.1758:                             ;   in Loop: Header=BB2_1013 Depth=2
	s_or_b32 exec_lo, exec_lo, s43
	v_add_nc_u32_e32 v11, 0xffffff81, v99
	v_lshrrev_b32_e32 v34, 23, v10
	s_mov_b32 s10, exec_lo
	s_delay_alu instid0(VALU_DEP_2) | instskip(NEXT) | instid1(VALU_DEP_1)
	v_cndmask_b32_e64 v11, v11, 0xffffff82, vcc_lo
	v_add3_u32 v97, v60, v11, v34
	v_and_b32_e32 v11, 0xfffff, v96
                                        ; implicit-def: $vgpr96
	s_delay_alu instid0(VALU_DEP_1) | instskip(NEXT) | instid1(VALU_DEP_1)
	v_dual_add_nc_u32 v99, 6, v97 :: v_dual_add_nc_u32 v34, v11, v10
                                        ; implicit-def: $vgpr10_vgpr11
	v_cmpx_ne_u32_e32 0, v99
	s_xor_b32 s10, exec_lo, s10
; %bb.1759:                             ;   in Loop: Header=BB2_1013 Depth=2
	s_delay_alu instid0(VALU_DEP_2) | instskip(SKIP_1) | instid1(VALU_DEP_1)
	v_cmp_lt_u64_e32 vcc_lo, 0xffffff, v[34:35]
	v_add_nc_u32_e32 v10, 7, v97
	v_cndmask_b32_e32 v96, v99, v10, vcc_lo
	v_cndmask_b32_e64 v10, 0, 1, vcc_lo
	s_delay_alu instid0(VALU_DEP_1)
	v_lshrrev_b64 v[10:11], v10, v[34:35]
; %bb.1760:                             ;   in Loop: Header=BB2_1013 Depth=2
	s_and_not1_saveexec_b32 s10, s10
; %bb.1761:                             ;   in Loop: Header=BB2_1013 Depth=2
	v_mov_b64_e32 v[10:11], v[34:35]
	v_bfe_u32 v96, v34, 23, 1
; %bb.1762:                             ;   in Loop: Header=BB2_1013 Depth=2
	s_or_b32 exec_lo, exec_lo, s10
	s_delay_alu instid0(VALU_DEP_2) | instskip(NEXT) | instid1(VALU_DEP_2)
	v_lshrrev_b64 v[10:11], 20, v[10:11]
	v_cmp_gt_i32_e32 vcc_lo, 16, v96
	v_min_i32_e32 v34, 15, v96
	v_cmp_eq_u32_e64 s10, 0, v96
	s_delay_alu instid0(VALU_DEP_2) | instskip(SKIP_1) | instid1(VALU_DEP_2)
	v_dual_cndmask_b32 v11, 0, v11 :: v_dual_lshlrev_b32 v34, 3, v34
	v_cndmask_b32_e32 v10, 7, v10, vcc_lo
	v_and_b32_e32 v34, 0xf8, v34
	s_delay_alu instid0(VALU_DEP_2) | instskip(NEXT) | instid1(VALU_DEP_2)
	v_cmp_eq_u64_e32 vcc_lo, 0, v[10:11]
	v_and_or_b32 v10, v10, 7, v34
	s_and_b32 s10, s10, vcc_lo
	s_delay_alu instid0(VALU_DEP_1) | instid1(SALU_CYCLE_1)
	v_cndmask_b32_e64 v10, v10, 0, s10
	s_delay_alu instid0(VALU_DEP_1)
	v_or_b32_e32 v60, v10, v98
.LBB2_1763:                             ;   in Loop: Header=BB2_1013 Depth=2
	s_or_b32 exec_lo, exec_lo, s42
                                        ; implicit-def: $vgpr98
.LBB2_1764:                             ;   in Loop: Header=BB2_1013 Depth=2
	s_and_not1_saveexec_b32 s10, s41
; %bb.1765:                             ;   in Loop: Header=BB2_1013 Depth=2
	v_or_b32_e32 v60, 0x7e, v98
; %bb.1766:                             ;   in Loop: Header=BB2_1013 Depth=2
	s_or_b32 exec_lo, exec_lo, s10
                                        ; implicit-def: $vgpr11
.LBB2_1767:                             ;   in Loop: Header=BB2_1013 Depth=2
	s_and_not1_saveexec_b32 s10, s11
; %bb.1768:                             ;   in Loop: Header=BB2_1013 Depth=2
	v_or_b32_e32 v60, 0x7f, v11
; %bb.1769:                             ;   in Loop: Header=BB2_1013 Depth=2
	s_or_b32 exec_lo, exec_lo, s10
	v_dual_lshlrev_b32 v10, 24, v58 :: v_dual_lshlrev_b32 v11, 16, v47
	v_lshl_or_b32 v44, v44, 8, v42
	v_mov_b32_e32 v96, 0
	s_mov_b32 s10, exec_lo
	s_delay_alu instid0(VALU_DEP_2)
	v_or3_b32 v34, v11, v10, v44
	v_cmpx_ne_u32_e32 0, v42
	s_cbranch_execz .LBB2_1775
; %bb.1770:                             ;   in Loop: Header=BB2_1013 Depth=2
	v_bfrev_b32_e32 v96, 1
	s_mov_b32 s11, exec_lo
	v_cmpx_ne_u32_e32 0x80, v42
	s_cbranch_execz .LBB2_1774
; %bb.1771:                             ;   in Loop: Header=BB2_1013 Depth=2
	v_and_b32_e32 v10, 0x7f, v42
	v_mov_b32_e32 v96, 0x7f800001
	s_mov_b32 s41, exec_lo
	s_delay_alu instid0(VALU_DEP_2)
	v_cmpx_ne_u32_e32 0x7f, v10
	s_cbranch_execz .LBB2_1773
; %bb.1772:                             ;   in Loop: Header=BB2_1013 Depth=2
	v_cmp_gt_u32_e32 vcc_lo, 8, v10
	v_and_b32_e32 v11, 7, v42
	s_delay_alu instid0(VALU_DEP_1) | instskip(NEXT) | instid1(VALU_DEP_1)
	v_clz_i32_u32_e32 v11, v11
	v_min_u32_e32 v11, 32, v11
	v_lshrrev_b32_e32 v96, 3, v10
	s_delay_alu instid0(VALU_DEP_2) | instskip(NEXT) | instid1(VALU_DEP_1)
	v_subrev_nc_u32_e32 v97, 28, v11
	v_dual_cndmask_b32 v10, 0, v97 :: v_dual_sub_nc_u32 v11, 29, v11
	s_delay_alu instid0(VALU_DEP_1) | instskip(NEXT) | instid1(VALU_DEP_2)
	v_cndmask_b32_e32 v96, v96, v11, vcc_lo
	v_lshlrev_b64_e32 v[10:11], v10, v[34:35]
	v_lshlrev_b32_e32 v11, 24, v34
	s_delay_alu instid0(VALU_DEP_3) | instskip(NEXT) | instid1(VALU_DEP_2)
	v_lshl_add_u32 v96, v96, 23, 0x3c000000
	v_and_b32_e32 v11, 0x80000000, v11
	s_delay_alu instid0(VALU_DEP_4) | instskip(NEXT) | instid1(VALU_DEP_1)
	v_lshlrev_b32_e32 v10, 20, v10
	v_and_b32_e32 v10, 0x700000, v10
	s_delay_alu instid0(VALU_DEP_1)
	v_or3_b32 v96, v10, v11, v96
.LBB2_1773:                             ;   in Loop: Header=BB2_1013 Depth=2
	s_or_b32 exec_lo, exec_lo, s41
.LBB2_1774:                             ;   in Loop: Header=BB2_1013 Depth=2
	s_delay_alu instid0(SALU_CYCLE_1)
	s_or_b32 exec_lo, exec_lo, s11
.LBB2_1775:                             ;   in Loop: Header=BB2_1013 Depth=2
	s_delay_alu instid0(SALU_CYCLE_1) | instskip(SKIP_4) | instid1(VALU_DEP_2)
	s_or_b32 exec_lo, exec_lo, s10
	v_and_b32_e32 v11, 0xff, v13
	v_mov_b32_e32 v10, v13
	s_mov_b32 s10, 0
	s_mov_b32 s11, exec_lo
	v_cmpx_lt_i16_e32 0x7f, v11
	s_xor_b32 s11, exec_lo, s11
	s_cbranch_execnz .LBB2_1806
; %bb.1776:                             ;   in Loop: Header=BB2_1013 Depth=2
	s_or_saveexec_b32 s11, s11
	v_bfrev_b32_e32 v97, 1
	s_xor_b32 exec_lo, exec_lo, s11
	s_cbranch_execnz .LBB2_1809
.LBB2_1777:                             ;   in Loop: Header=BB2_1013 Depth=2
	s_or_b32 exec_lo, exec_lo, s11
	v_mov_b32_e32 v11, v35
	s_and_saveexec_b32 s11, s10
	s_cbranch_execz .LBB2_1779
.LBB2_1778:                             ;   in Loop: Header=BB2_1013 Depth=2
	v_and_b32_e32 v42, 0x7f, v13
	v_bfe_u32 v98, v13, 3, 4
	s_delay_alu instid0(VALU_DEP_2) | instskip(SKIP_1) | instid1(VALU_DEP_1)
	v_cmp_gt_u32_e32 vcc_lo, 8, v42
	v_and_b32_e32 v97, 7, v13
	v_clz_i32_u32_e32 v97, v97
	s_delay_alu instid0(VALU_DEP_1) | instskip(NEXT) | instid1(VALU_DEP_1)
	v_min_u32_e32 v97, 32, v97
	v_subrev_nc_u32_e32 v99, 28, v97
	v_sub_nc_u32_e32 v97, 29, v97
	s_delay_alu instid0(VALU_DEP_1) | instskip(SKIP_1) | instid1(VALU_DEP_2)
	v_dual_cndmask_b32 v97, v98, v97 :: v_dual_cndmask_b32 v98, 0, v99
	v_cmp_ne_u32_e32 vcc_lo, 0x7f, v42
	v_lshlrev_b64_e32 v[98:99], v98, v[10:11]
	v_lshlrev_b32_e32 v11, 24, v10
	s_delay_alu instid0(VALU_DEP_1) | instskip(NEXT) | instid1(VALU_DEP_3)
	v_and_b32_e32 v11, 0x80000000, v11
	v_lshlrev_b32_e32 v98, 20, v98
	v_lshl_add_u32 v97, v97, 23, 0x3c000000
	s_delay_alu instid0(VALU_DEP_2) | instskip(NEXT) | instid1(VALU_DEP_1)
	v_and_b32_e32 v98, 0x700000, v98
	v_or3_b32 v11, v98, v11, v97
	s_delay_alu instid0(VALU_DEP_1)
	v_cndmask_b32_e32 v97, 0x7f800001, v11, vcc_lo
.LBB2_1779:                             ;   in Loop: Header=BB2_1013 Depth=2
	s_or_b32 exec_lo, exec_lo, s11
	s_delay_alu instid0(VALU_DEP_1) | instskip(NEXT) | instid1(VALU_DEP_1)
	v_dual_add_f32 v96, v96, v97 :: v_dual_mov_b32 v99, v35
	v_and_b32_e32 v98, 0x7f800000, v96
	v_lshrrev_b32_e32 v11, 24, v96
	s_delay_alu instid0(VALU_DEP_2) | instskip(SKIP_1) | instid1(SALU_CYCLE_1)
	v_cmp_ne_u64_e32 vcc_lo, 0x7f800000, v[98:99]
                                        ; implicit-def: $vgpr98
	s_and_saveexec_b32 s10, vcc_lo
	s_xor_b32 s11, exec_lo, s10
	s_cbranch_execz .LBB2_1793
; %bb.1780:                             ;   in Loop: Header=BB2_1013 Depth=2
	v_and_b32_e32 v98, 0x7fffffff, v96
	v_mov_b32_e32 v99, v35
	v_and_b32_e32 v11, 0x80, v11
	s_delay_alu instid0(VALU_DEP_2) | instskip(SKIP_1) | instid1(SALU_CYCLE_1)
	v_cmp_gt_u64_e32 vcc_lo, 0x43e00001, v[98:99]
                                        ; implicit-def: $vgpr98
	s_and_saveexec_b32 s10, vcc_lo
	s_xor_b32 s41, exec_lo, s10
	s_cbranch_execz .LBB2_1790
; %bb.1781:                             ;   in Loop: Header=BB2_1013 Depth=2
	v_mov_b32_e32 v98, 0
	s_mov_b32 s42, exec_lo
	v_cmpx_ne_u32_e32 0, v96
	s_cbranch_execz .LBB2_1789
; %bb.1782:                             ;   in Loop: Header=BB2_1013 Depth=2
	v_bfe_u32 v42, v96, 23, 8
	v_and_b32_e32 v98, 0x7fffff, v96
	s_mov_b32 s43, exec_lo
	s_delay_alu instid0(VALU_DEP_2) | instskip(SKIP_1) | instid1(VALU_DEP_3)
	v_sub_nc_u32_e32 v97, 0x79, v42
	v_cmp_gt_u32_e32 vcc_lo, 0x7a, v42
	v_or_b32_e32 v99, 0x800000, v98
	s_delay_alu instid0(VALU_DEP_3) | instskip(SKIP_1) | instid1(VALU_DEP_2)
	v_cndmask_b32_e32 v97, 0, v97, vcc_lo
	v_cmp_eq_u32_e32 vcc_lo, 0, v42
	v_cndmask_b32_e64 v47, v97, 0x78, vcc_lo
	s_delay_alu instid0(VALU_DEP_4) | instskip(NEXT) | instid1(VALU_DEP_2)
	v_cndmask_b32_e32 v98, v99, v98, vcc_lo
	v_dual_mov_b32 v99, v35 :: v_dual_add_nc_u32 v96, 20, v47
	v_add_nc_u32_e32 v58, 19, v47
	s_delay_alu instid0(VALU_DEP_2) | instskip(NEXT) | instid1(VALU_DEP_2)
	v_lshlrev_b64_e64 v[96:97], v96, -1
	v_lshlrev_b64_e64 v[62:63], v58, 1
	s_delay_alu instid0(VALU_DEP_2) | instskip(NEXT) | instid1(VALU_DEP_3)
	v_bfi_b32 v73, v97, 0, 0
	v_bfi_b32 v72, v96, 0, v98
	v_lshrrev_b64 v[96:97], v47, v[98:99]
	s_delay_alu instid0(VALU_DEP_1) | instskip(NEXT) | instid1(VALU_DEP_3)
	v_mov_b64_e32 v[98:99], v[96:97]
	v_cmpx_eq_u64_e64 v[72:73], v[62:63]
; %bb.1783:                             ;   in Loop: Header=BB2_1013 Depth=2
	v_bfe_u32 v98, v96, 20, 1
	v_mov_b32_e32 v99, v35
	s_delay_alu instid0(VALU_DEP_1) | instskip(NEXT) | instid1(VALU_DEP_1)
	v_add_nc_u64_e32 v[98:99], v[96:97], v[98:99]
	v_add_nc_u64_e32 v[98:99], -1, v[98:99]
; %bb.1784:                             ;   in Loop: Header=BB2_1013 Depth=2
	s_or_b32 exec_lo, exec_lo, s43
	v_add_nc_u32_e32 v97, 0xffffff81, v42
	v_lshrrev_b32_e32 v99, 23, v96
	s_mov_b32 s10, exec_lo
	s_delay_alu instid0(VALU_DEP_2) | instskip(NEXT) | instid1(VALU_DEP_1)
	v_cndmask_b32_e64 v97, v97, 0xffffff82, vcc_lo
	v_add3_u32 v99, v47, v97, v99
	v_and_b32_e32 v97, 0xfffff, v98
                                        ; implicit-def: $vgpr98
	s_delay_alu instid0(VALU_DEP_1) | instskip(SKIP_1) | instid1(VALU_DEP_2)
	v_dual_add_nc_u32 v42, 6, v99 :: v_dual_add_nc_u32 v96, v97, v96
	v_mov_b32_e32 v97, v35
	v_cmpx_ne_u32_e32 0, v42
	s_xor_b32 s10, exec_lo, s10
; %bb.1785:                             ;   in Loop: Header=BB2_1013 Depth=2
	s_delay_alu instid0(VALU_DEP_2) | instskip(SKIP_2) | instid1(VALU_DEP_2)
	v_cmp_lt_u64_e32 vcc_lo, 0xffffff, v[96:97]
	v_add_nc_u32_e32 v98, 7, v99
	v_cndmask_b32_e64 v99, 0, 1, vcc_lo
	v_cndmask_b32_e32 v98, v42, v98, vcc_lo
	s_delay_alu instid0(VALU_DEP_2)
	v_lshrrev_b64 v[96:97], v99, v[96:97]
; %bb.1786:                             ;   in Loop: Header=BB2_1013 Depth=2
	s_and_not1_saveexec_b32 s10, s10
; %bb.1787:                             ;   in Loop: Header=BB2_1013 Depth=2
	s_delay_alu instid0(VALU_DEP_1)
	v_bfe_u32 v98, v96, 23, 1
; %bb.1788:                             ;   in Loop: Header=BB2_1013 Depth=2
	s_or_b32 exec_lo, exec_lo, s10
	s_delay_alu instid0(VALU_DEP_2) | instskip(NEXT) | instid1(VALU_DEP_2)
	v_lshrrev_b64 v[96:97], 20, v[96:97]
	v_cmp_gt_i32_e32 vcc_lo, 16, v98
	v_min_i32_e32 v99, 15, v98
	v_cmp_eq_u32_e64 s10, 0, v98
	s_delay_alu instid0(VALU_DEP_2) | instskip(SKIP_1) | instid1(VALU_DEP_2)
	v_dual_cndmask_b32 v97, 0, v97, vcc_lo :: v_dual_lshlrev_b32 v99, 3, v99
	v_cndmask_b32_e32 v96, 7, v96, vcc_lo
	v_and_b32_e32 v99, 0xf8, v99
	s_delay_alu instid0(VALU_DEP_2) | instskip(NEXT) | instid1(VALU_DEP_2)
	v_cmp_eq_u64_e32 vcc_lo, 0, v[96:97]
	v_and_or_b32 v96, v96, 7, v99
	s_and_b32 s10, s10, vcc_lo
	s_delay_alu instid0(VALU_DEP_1) | instid1(SALU_CYCLE_1)
	v_cndmask_b32_e64 v96, v96, 0, s10
	s_delay_alu instid0(VALU_DEP_1)
	v_or_b32_e32 v98, v96, v11
.LBB2_1789:                             ;   in Loop: Header=BB2_1013 Depth=2
	s_or_b32 exec_lo, exec_lo, s42
                                        ; implicit-def: $vgpr11
.LBB2_1790:                             ;   in Loop: Header=BB2_1013 Depth=2
	s_and_not1_saveexec_b32 s10, s41
; %bb.1791:                             ;   in Loop: Header=BB2_1013 Depth=2
	v_or_b32_e32 v98, 0x7e, v11
; %bb.1792:                             ;   in Loop: Header=BB2_1013 Depth=2
	s_or_b32 exec_lo, exec_lo, s10
                                        ; implicit-def: $vgpr11
.LBB2_1793:                             ;   in Loop: Header=BB2_1013 Depth=2
	s_and_not1_saveexec_b32 s10, s11
; %bb.1794:                             ;   in Loop: Header=BB2_1013 Depth=2
	v_or_b32_e32 v98, 0x7f, v11
; %bb.1795:                             ;   in Loop: Header=BB2_1013 Depth=2
	s_or_b32 exec_lo, exec_lo, s10
	v_lshrrev_b16 v96, 8, v44
	v_mov_b32_e32 v11, 0
	s_mov_b32 s10, exec_lo
	s_delay_alu instid0(VALU_DEP_2)
	v_cmpx_ne_u16_e32 0, v96
	s_cbranch_execz .LBB2_1803
; %bb.1796:                             ;   in Loop: Header=BB2_1013 Depth=2
	v_bfrev_b32_e32 v11, 1
	s_mov_b32 s11, exec_lo
	v_cmpx_ne_u16_e32 0x80, v96
	s_cbranch_execz .LBB2_1802
; %bb.1797:                             ;   in Loop: Header=BB2_1013 Depth=2
	v_and_b32_e32 v96, 0xffff, v96
	v_mov_b32_e32 v11, 0x7f800001
	s_mov_b32 s41, exec_lo
	s_delay_alu instid0(VALU_DEP_2) | instskip(NEXT) | instid1(VALU_DEP_1)
	v_and_b32_e32 v99, 0x7f, v96
	v_cmpx_ne_u32_e32 0x7f, v99
	s_cbranch_execz .LBB2_1801
; %bb.1798:                             ;   in Loop: Header=BB2_1013 Depth=2
	v_dual_mov_b32 v97, v35 :: v_dual_bitop2_b32 v96, 7, v96 bitop3:0x40
	v_lshrrev_b32_e32 v11, 3, v99
	s_mov_b32 s42, exec_lo
	v_cmpx_gt_u32_e32 8, v99
; %bb.1799:                             ;   in Loop: Header=BB2_1013 Depth=2
	s_delay_alu instid0(VALU_DEP_3) | instskip(NEXT) | instid1(VALU_DEP_1)
	v_clz_i32_u32_e32 v11, v96
	v_min_u32_e32 v11, 32, v11
	s_delay_alu instid0(VALU_DEP_1) | instskip(NEXT) | instid1(VALU_DEP_1)
	v_subrev_nc_u32_e32 v99, 28, v11
	v_lshlrev_b64_e32 v[96:97], v99, v[96:97]
	s_delay_alu instid0(VALU_DEP_1)
	v_dual_sub_nc_u32 v11, 29, v11 :: v_dual_bitop2_b32 v96, 7, v96 bitop3:0x40
; %bb.1800:                             ;   in Loop: Header=BB2_1013 Depth=2
	s_or_b32 exec_lo, exec_lo, s42
	v_lshlrev_b32_e32 v97, 16, v44
	s_delay_alu instid0(VALU_DEP_2) | instskip(NEXT) | instid1(VALU_DEP_3)
	v_lshlrev_b32_e32 v96, 20, v96
	v_lshl_add_u32 v11, v11, 23, 0x3c000000
	s_delay_alu instid0(VALU_DEP_3) | instskip(NEXT) | instid1(VALU_DEP_1)
	v_and_b32_e32 v97, 0x80000000, v97
	v_or3_b32 v11, v96, v97, v11
.LBB2_1801:                             ;   in Loop: Header=BB2_1013 Depth=2
	s_or_b32 exec_lo, exec_lo, s41
.LBB2_1802:                             ;   in Loop: Header=BB2_1013 Depth=2
	s_delay_alu instid0(SALU_CYCLE_1)
	s_or_b32 exec_lo, exec_lo, s11
.LBB2_1803:                             ;   in Loop: Header=BB2_1013 Depth=2
	s_delay_alu instid0(SALU_CYCLE_1) | instskip(SKIP_3) | instid1(VALU_DEP_1)
	s_or_b32 exec_lo, exec_lo, s10
	v_lshrrev_b16 v96, 8, v10
	s_mov_b32 s11, 0
	s_mov_b32 s10, exec_lo
	v_cmpx_lt_i16_e32 0x7f, v96
	s_xor_b32 s10, exec_lo, s10
	s_cbranch_execnz .LBB2_1810
; %bb.1804:                             ;   in Loop: Header=BB2_1013 Depth=2
	s_or_saveexec_b32 s10, s10
	v_bfrev_b32_e32 v97, 1
	s_xor_b32 exec_lo, exec_lo, s10
	s_cbranch_execnz .LBB2_1813
.LBB2_1805:                             ;   in Loop: Header=BB2_1013 Depth=2
	s_or_b32 exec_lo, exec_lo, s10
	s_and_saveexec_b32 s10, s11
	s_cbranch_execnz .LBB2_1814
	s_branch .LBB2_1817
.LBB2_1806:                             ;   in Loop: Header=BB2_1013 Depth=2
	s_mov_b32 s10, -1
	s_mov_b32 s41, exec_lo
	v_cmpx_eq_u16_e32 0x80, v11
; %bb.1807:                             ;   in Loop: Header=BB2_1013 Depth=2
	s_xor_b32 s10, exec_lo, -1
; %bb.1808:                             ;   in Loop: Header=BB2_1013 Depth=2
	s_or_b32 exec_lo, exec_lo, s41
	s_delay_alu instid0(SALU_CYCLE_1)
	s_and_b32 s10, s10, exec_lo
                                        ; implicit-def: $vgpr11
	s_or_saveexec_b32 s11, s11
	v_bfrev_b32_e32 v97, 1
	s_xor_b32 exec_lo, exec_lo, s11
	s_cbranch_execz .LBB2_1777
.LBB2_1809:                             ;   in Loop: Header=BB2_1013 Depth=2
	v_cmp_ne_u16_e32 vcc_lo, 0, v11
	v_mov_b32_e32 v97, 0
	s_and_not1_b32 s10, s10, exec_lo
	s_and_b32 s41, vcc_lo, exec_lo
	s_delay_alu instid0(SALU_CYCLE_1)
	s_or_b32 s10, s10, s41
	s_or_b32 exec_lo, exec_lo, s11
	v_mov_b32_e32 v11, v35
	s_and_saveexec_b32 s11, s10
	s_cbranch_execnz .LBB2_1778
	s_branch .LBB2_1779
.LBB2_1810:                             ;   in Loop: Header=BB2_1013 Depth=2
	s_mov_b32 s11, -1
	s_mov_b32 s41, exec_lo
	v_cmpx_eq_u16_e32 0x80, v96
; %bb.1811:                             ;   in Loop: Header=BB2_1013 Depth=2
	s_xor_b32 s11, exec_lo, -1
; %bb.1812:                             ;   in Loop: Header=BB2_1013 Depth=2
	s_or_b32 exec_lo, exec_lo, s41
	s_delay_alu instid0(SALU_CYCLE_1)
	s_and_b32 s11, s11, exec_lo
	s_or_saveexec_b32 s10, s10
	v_bfrev_b32_e32 v97, 1
	s_xor_b32 exec_lo, exec_lo, s10
	s_cbranch_execz .LBB2_1805
.LBB2_1813:                             ;   in Loop: Header=BB2_1013 Depth=2
	v_cmp_ne_u16_e32 vcc_lo, 0, v96
	v_mov_b32_e32 v97, 0
	s_and_not1_b32 s11, s11, exec_lo
	s_and_b32 s41, vcc_lo, exec_lo
	s_delay_alu instid0(SALU_CYCLE_1)
	s_or_b32 s11, s11, s41
	s_or_b32 exec_lo, exec_lo, s10
	s_and_saveexec_b32 s10, s11
	s_cbranch_execz .LBB2_1817
.LBB2_1814:                             ;   in Loop: Header=BB2_1013 Depth=2
	v_and_b32_e32 v10, 0xffff, v96
	v_mov_b32_e32 v97, 0x7f800001
	s_mov_b32 s11, exec_lo
	s_delay_alu instid0(VALU_DEP_2) | instskip(NEXT) | instid1(VALU_DEP_1)
	v_and_b32_e32 v99, 0x7f, v10
	v_cmpx_ne_u32_e32 0x7f, v99
	s_cbranch_execz .LBB2_1816
; %bb.1815:                             ;   in Loop: Header=BB2_1013 Depth=2
	v_and_b32_e32 v97, 7, v10
	v_cmp_gt_u32_e32 vcc_lo, 8, v99
	v_lshlrev_b32_e32 v96, 24, v96
	s_delay_alu instid0(VALU_DEP_3) | instskip(NEXT) | instid1(VALU_DEP_2)
	v_clz_i32_u32_e32 v42, v97
	v_and_b32_e32 v96, 0x80000000, v96
	s_delay_alu instid0(VALU_DEP_2) | instskip(NEXT) | instid1(VALU_DEP_1)
	v_min_u32_e32 v42, 32, v42
	v_subrev_nc_u32_e32 v44, 28, v42
	v_sub_nc_u32_e32 v42, 29, v42
	s_delay_alu instid0(VALU_DEP_2) | instskip(NEXT) | instid1(VALU_DEP_1)
	v_lshlrev_b64_e32 v[62:63], v44, v[10:11]
	v_dual_lshrrev_b32 v10, 3, v99 :: v_dual_bitop2_b32 v99, 7, v62 bitop3:0x40
	s_delay_alu instid0(VALU_DEP_1) | instskip(NEXT) | instid1(VALU_DEP_1)
	v_dual_cndmask_b32 v10, v10, v42 :: v_dual_cndmask_b32 v97, v97, v99
	v_lshl_add_u32 v10, v10, 23, 0x3c000000
	s_delay_alu instid0(VALU_DEP_2) | instskip(NEXT) | instid1(VALU_DEP_1)
	v_lshlrev_b32_e32 v97, 20, v97
	v_or3_b32 v97, v97, v96, v10
.LBB2_1816:                             ;   in Loop: Header=BB2_1013 Depth=2
	s_or_b32 exec_lo, exec_lo, s11
.LBB2_1817:                             ;   in Loop: Header=BB2_1013 Depth=2
	s_delay_alu instid0(SALU_CYCLE_1) | instskip(NEXT) | instid1(VALU_DEP_1)
	s_or_b32 exec_lo, exec_lo, s10
	v_add_f32_e32 v10, v11, v97
	v_mov_b32_e32 v97, v35
                                        ; implicit-def: $vgpr99
	s_mov_b32 s10, exec_lo
	s_delay_alu instid0(VALU_DEP_2) | instskip(SKIP_1) | instid1(VALU_DEP_2)
	v_and_b32_e32 v96, 0x7f800000, v10
	v_lshrrev_b32_e32 v11, 24, v10
	v_cmpx_ne_u64_e32 0x7f800000, v[96:97]
	s_xor_b32 s11, exec_lo, s10
	s_cbranch_execz .LBB2_1831
; %bb.1818:                             ;   in Loop: Header=BB2_1013 Depth=2
	v_and_b32_e32 v96, 0x7fffffff, v10
	v_mov_b32_e32 v97, v35
	v_and_b32_e32 v42, 0x80, v11
                                        ; implicit-def: $vgpr99
	s_mov_b32 s10, exec_lo
	s_delay_alu instid0(VALU_DEP_2)
	v_cmpx_gt_u64_e32 0x43e00001, v[96:97]
	s_xor_b32 s41, exec_lo, s10
	s_cbranch_execz .LBB2_1828
; %bb.1819:                             ;   in Loop: Header=BB2_1013 Depth=2
	v_mov_b32_e32 v99, 0
	s_mov_b32 s42, exec_lo
	v_cmpx_ne_u32_e32 0, v10
	s_cbranch_execz .LBB2_1827
; %bb.1820:                             ;   in Loop: Header=BB2_1013 Depth=2
	v_bfe_u32 v99, v10, 23, 8
	v_and_b32_e32 v96, 0x7fffff, v10
	s_mov_b32 s43, exec_lo
	s_delay_alu instid0(VALU_DEP_2) | instskip(NEXT) | instid1(VALU_DEP_2)
	v_cmp_gt_u32_e32 vcc_lo, 0x7a, v99
	v_or_b32_e32 v97, 0x800000, v96
	v_sub_nc_u32_e32 v11, 0x79, v99
	s_delay_alu instid0(VALU_DEP_1) | instskip(SKIP_1) | instid1(VALU_DEP_2)
	v_cndmask_b32_e32 v11, 0, v11, vcc_lo
	v_cmp_eq_u32_e32 vcc_lo, 0, v99
	v_cndmask_b32_e64 v44, v11, 0x78, vcc_lo
	v_dual_cndmask_b32 v96, v97, v96 :: v_dual_mov_b32 v97, v35
	s_delay_alu instid0(VALU_DEP_2) | instskip(NEXT) | instid1(VALU_DEP_1)
	v_dual_add_nc_u32 v47, 19, v44 :: v_dual_add_nc_u32 v10, 20, v44
	v_lshlrev_b64_e64 v[62:63], v47, 1
	s_delay_alu instid0(VALU_DEP_2) | instskip(NEXT) | instid1(VALU_DEP_1)
	v_lshlrev_b64_e64 v[10:11], v10, -1
	v_bfi_b32 v73, v11, 0, 0
	s_delay_alu instid0(VALU_DEP_2) | instskip(SKIP_1) | instid1(VALU_DEP_1)
	v_bfi_b32 v72, v10, 0, v96
	v_lshrrev_b64 v[10:11], v44, v[96:97]
	v_mov_b64_e32 v[96:97], v[10:11]
	s_delay_alu instid0(VALU_DEP_3)
	v_cmpx_eq_u64_e64 v[72:73], v[62:63]
; %bb.1821:                             ;   in Loop: Header=BB2_1013 Depth=2
	v_bfe_u32 v96, v10, 20, 1
	v_mov_b32_e32 v97, v35
	s_delay_alu instid0(VALU_DEP_1) | instskip(NEXT) | instid1(VALU_DEP_1)
	v_add_nc_u64_e32 v[96:97], v[10:11], v[96:97]
	v_add_nc_u64_e32 v[96:97], -1, v[96:97]
; %bb.1822:                             ;   in Loop: Header=BB2_1013 Depth=2
	s_or_b32 exec_lo, exec_lo, s43
	v_add_nc_u32_e32 v11, 0xffffff81, v99
	v_lshrrev_b32_e32 v97, 23, v10
	s_mov_b32 s10, exec_lo
	s_delay_alu instid0(VALU_DEP_2) | instskip(NEXT) | instid1(VALU_DEP_1)
	v_cndmask_b32_e64 v11, v11, 0xffffff82, vcc_lo
	v_add3_u32 v97, v44, v11, v97
	v_and_b32_e32 v11, 0xfffff, v96
                                        ; implicit-def: $vgpr96
	s_delay_alu instid0(VALU_DEP_1) | instskip(SKIP_1) | instid1(VALU_DEP_2)
	v_dual_add_nc_u32 v99, 6, v97 :: v_dual_add_nc_u32 v10, v11, v10
	v_mov_b32_e32 v11, v35
	v_cmpx_ne_u32_e32 0, v99
	s_xor_b32 s10, exec_lo, s10
; %bb.1823:                             ;   in Loop: Header=BB2_1013 Depth=2
	s_delay_alu instid0(VALU_DEP_2) | instskip(SKIP_2) | instid1(VALU_DEP_2)
	v_cmp_lt_u64_e32 vcc_lo, 0xffffff, v[10:11]
	v_add_nc_u32_e32 v96, 7, v97
	v_cndmask_b32_e64 v97, 0, 1, vcc_lo
	v_cndmask_b32_e32 v96, v99, v96, vcc_lo
	s_delay_alu instid0(VALU_DEP_2)
	v_lshrrev_b64 v[10:11], v97, v[10:11]
; %bb.1824:                             ;   in Loop: Header=BB2_1013 Depth=2
	s_and_not1_saveexec_b32 s10, s10
; %bb.1825:                             ;   in Loop: Header=BB2_1013 Depth=2
	s_delay_alu instid0(VALU_DEP_1)
	v_bfe_u32 v96, v10, 23, 1
; %bb.1826:                             ;   in Loop: Header=BB2_1013 Depth=2
	s_or_b32 exec_lo, exec_lo, s10
	s_delay_alu instid0(VALU_DEP_2) | instskip(NEXT) | instid1(VALU_DEP_2)
	v_lshrrev_b64 v[10:11], 20, v[10:11]
	v_cmp_gt_i32_e32 vcc_lo, 16, v96
	v_min_i32_e32 v97, 15, v96
	v_cmp_eq_u32_e64 s10, 0, v96
	s_delay_alu instid0(VALU_DEP_2) | instskip(SKIP_1) | instid1(VALU_DEP_2)
	v_dual_cndmask_b32 v11, 0, v11, vcc_lo :: v_dual_lshlrev_b32 v97, 3, v97
	v_cndmask_b32_e32 v10, 7, v10, vcc_lo
	v_and_b32_e32 v97, 0xf8, v97
	s_delay_alu instid0(VALU_DEP_2) | instskip(NEXT) | instid1(VALU_DEP_2)
	v_cmp_eq_u64_e32 vcc_lo, 0, v[10:11]
	v_and_or_b32 v10, v10, 7, v97
	s_and_b32 s10, s10, vcc_lo
	s_delay_alu instid0(VALU_DEP_1) | instid1(SALU_CYCLE_1)
	v_cndmask_b32_e64 v10, v10, 0, s10
	s_delay_alu instid0(VALU_DEP_1)
	v_or_b32_e32 v99, v10, v42
.LBB2_1827:                             ;   in Loop: Header=BB2_1013 Depth=2
	s_or_b32 exec_lo, exec_lo, s42
                                        ; implicit-def: $vgpr42
.LBB2_1828:                             ;   in Loop: Header=BB2_1013 Depth=2
	s_and_not1_saveexec_b32 s10, s41
; %bb.1829:                             ;   in Loop: Header=BB2_1013 Depth=2
	v_or_b32_e32 v99, 0x7e, v42
; %bb.1830:                             ;   in Loop: Header=BB2_1013 Depth=2
	s_or_b32 exec_lo, exec_lo, s10
                                        ; implicit-def: $vgpr11
.LBB2_1831:                             ;   in Loop: Header=BB2_1013 Depth=2
	s_and_not1_saveexec_b32 s10, s11
; %bb.1832:                             ;   in Loop: Header=BB2_1013 Depth=2
	v_or_b32_e32 v99, 0x7f, v11
; %bb.1833:                             ;   in Loop: Header=BB2_1013 Depth=2
	s_or_b32 exec_lo, exec_lo, s10
	v_dual_mov_b32 v11, 0 :: v_dual_lshrrev_b32 v96, 16, v34
	s_mov_b32 s10, exec_lo
	s_delay_alu instid0(VALU_DEP_1) | instskip(NEXT) | instid1(VALU_DEP_1)
	v_and_b32_e32 v10, 0xff, v96
	v_cmpx_ne_u16_e32 0, v10
	s_cbranch_execz .LBB2_1841
; %bb.1834:                             ;   in Loop: Header=BB2_1013 Depth=2
	v_bfrev_b32_e32 v11, 1
	s_mov_b32 s11, exec_lo
	v_cmpx_ne_u16_e32 0x80, v10
	s_cbranch_execz .LBB2_1840
; %bb.1835:                             ;   in Loop: Header=BB2_1013 Depth=2
	v_bfe_u32 v42, v34, 16, 7
	v_mov_b32_e32 v11, 0x7f800001
	s_mov_b32 s41, exec_lo
	s_delay_alu instid0(VALU_DEP_2)
	v_cmpx_ne_u32_e32 0x7f, v42
	s_cbranch_execz .LBB2_1839
; %bb.1836:                             ;   in Loop: Header=BB2_1013 Depth=2
	v_dual_mov_b32 v11, v35 :: v_dual_bitop2_b32 v10, 7, v96 bitop3:0x40
	v_lshrrev_b32_e32 v97, 3, v42
	s_mov_b32 s42, exec_lo
	v_cmpx_gt_u32_e32 8, v42
; %bb.1837:                             ;   in Loop: Header=BB2_1013 Depth=2
	s_delay_alu instid0(VALU_DEP_3) | instskip(NEXT) | instid1(VALU_DEP_1)
	v_clz_i32_u32_e32 v97, v10
	v_min_u32_e32 v97, 32, v97
	s_delay_alu instid0(VALU_DEP_1) | instskip(NEXT) | instid1(VALU_DEP_1)
	v_subrev_nc_u32_e32 v42, 28, v97
	v_lshlrev_b64_e32 v[10:11], v42, v[10:11]
	s_delay_alu instid0(VALU_DEP_1)
	v_dual_sub_nc_u32 v97, 29, v97 :: v_dual_bitop2_b32 v10, 7, v10 bitop3:0x40
; %bb.1838:                             ;   in Loop: Header=BB2_1013 Depth=2
	s_or_b32 exec_lo, exec_lo, s42
	s_delay_alu instid0(VALU_DEP_1) | instskip(NEXT) | instid1(VALU_DEP_2)
	v_dual_lshlrev_b32 v11, 24, v96 :: v_dual_lshlrev_b32 v10, 20, v10
	v_lshl_add_u32 v96, v97, 23, 0x3c000000
	s_delay_alu instid0(VALU_DEP_2) | instskip(NEXT) | instid1(VALU_DEP_1)
	v_and_b32_e32 v11, 0x80000000, v11
	v_or3_b32 v11, v10, v11, v96
.LBB2_1839:                             ;   in Loop: Header=BB2_1013 Depth=2
	s_or_b32 exec_lo, exec_lo, s41
.LBB2_1840:                             ;   in Loop: Header=BB2_1013 Depth=2
	s_delay_alu instid0(SALU_CYCLE_1)
	s_or_b32 exec_lo, exec_lo, s11
.LBB2_1841:                             ;   in Loop: Header=BB2_1013 Depth=2
	s_delay_alu instid0(SALU_CYCLE_1) | instskip(SKIP_3) | instid1(VALU_DEP_1)
	s_or_b32 exec_lo, exec_lo, s10
	v_lshrrev_b32_e32 v10, 16, v13
	s_mov_b32 s11, 0
	s_mov_b32 s10, exec_lo
	v_and_b32_e32 v97, 0xff, v10
	s_delay_alu instid0(VALU_DEP_1)
	v_cmpx_lt_i16_e32 0x7f, v97
	s_xor_b32 s10, exec_lo, s10
	s_cbranch_execnz .LBB2_1844
; %bb.1842:                             ;   in Loop: Header=BB2_1013 Depth=2
	s_or_saveexec_b32 s10, s10
	v_bfrev_b32_e32 v96, 1
	s_xor_b32 exec_lo, exec_lo, s10
	s_cbranch_execnz .LBB2_1847
.LBB2_1843:                             ;   in Loop: Header=BB2_1013 Depth=2
	s_or_b32 exec_lo, exec_lo, s10
	s_and_saveexec_b32 s10, s11
	s_cbranch_execnz .LBB2_1848
	s_branch .LBB2_1851
.LBB2_1844:                             ;   in Loop: Header=BB2_1013 Depth=2
	s_mov_b32 s11, -1
	s_mov_b32 s41, exec_lo
	v_cmpx_eq_u16_e32 0x80, v97
; %bb.1845:                             ;   in Loop: Header=BB2_1013 Depth=2
	s_xor_b32 s11, exec_lo, -1
; %bb.1846:                             ;   in Loop: Header=BB2_1013 Depth=2
	s_or_b32 exec_lo, exec_lo, s41
	s_delay_alu instid0(SALU_CYCLE_1)
	s_and_b32 s11, s11, exec_lo
                                        ; implicit-def: $vgpr97
	s_or_saveexec_b32 s10, s10
	v_bfrev_b32_e32 v96, 1
	s_xor_b32 exec_lo, exec_lo, s10
	s_cbranch_execz .LBB2_1843
.LBB2_1847:                             ;   in Loop: Header=BB2_1013 Depth=2
	v_cmp_ne_u16_e32 vcc_lo, 0, v97
	v_mov_b32_e32 v96, 0
	s_and_not1_b32 s11, s11, exec_lo
	s_and_b32 s41, vcc_lo, exec_lo
	s_delay_alu instid0(SALU_CYCLE_1)
	s_or_b32 s11, s11, s41
	s_or_b32 exec_lo, exec_lo, s10
	s_and_saveexec_b32 s10, s11
	s_cbranch_execz .LBB2_1851
.LBB2_1848:                             ;   in Loop: Header=BB2_1013 Depth=2
	v_and_b32_e32 v97, 0x7f, v10
	v_mov_b32_e32 v96, 0x7f800001
	s_mov_b32 s11, exec_lo
	s_delay_alu instid0(VALU_DEP_2)
	v_cmpx_ne_u32_e32 0x7f, v97
	s_cbranch_execz .LBB2_1850
; %bb.1849:                             ;   in Loop: Header=BB2_1013 Depth=2
	v_and_b32_e32 v96, 7, v10
	v_cmp_gt_u32_e32 vcc_lo, 8, v97
	s_delay_alu instid0(VALU_DEP_2) | instskip(NEXT) | instid1(VALU_DEP_1)
	v_clz_i32_u32_e32 v42, v96
	v_min_u32_e32 v42, 32, v42
	s_delay_alu instid0(VALU_DEP_1) | instskip(NEXT) | instid1(VALU_DEP_1)
	v_subrev_nc_u32_e32 v44, 28, v42
	v_lshlrev_b64_e32 v[62:63], v44, v[10:11]
	v_dual_lshrrev_b32 v44, 3, v97 :: v_dual_lshlrev_b32 v10, 24, v10
	s_delay_alu instid0(VALU_DEP_1) | instskip(NEXT) | instid1(VALU_DEP_3)
	v_and_b32_e32 v10, 0x80000000, v10
	v_and_b32_e32 v97, 7, v62
	s_delay_alu instid0(VALU_DEP_1) | instskip(NEXT) | instid1(VALU_DEP_1)
	v_dual_sub_nc_u32 v42, 29, v42 :: v_dual_cndmask_b32 v96, v96, v97, vcc_lo
	v_dual_cndmask_b32 v42, v44, v42, vcc_lo :: v_dual_lshlrev_b32 v96, 20, v96
	s_delay_alu instid0(VALU_DEP_1) | instskip(NEXT) | instid1(VALU_DEP_1)
	v_lshl_add_u32 v97, v42, 23, 0x3c000000
	v_or3_b32 v96, v96, v10, v97
.LBB2_1850:                             ;   in Loop: Header=BB2_1013 Depth=2
	s_or_b32 exec_lo, exec_lo, s11
.LBB2_1851:                             ;   in Loop: Header=BB2_1013 Depth=2
	s_delay_alu instid0(SALU_CYCLE_1) | instskip(NEXT) | instid1(VALU_DEP_1)
	s_or_b32 exec_lo, exec_lo, s10
	v_add_f32_e32 v10, v11, v96
	s_delay_alu instid0(VALU_DEP_1) | instskip(SKIP_1) | instid1(VALU_DEP_1)
	v_dual_mov_b32 v97, v35 :: v_dual_lshrrev_b32 v11, 24, v10
	v_and_b32_e32 v96, 0x7f800000, v10
	v_cmp_ne_u64_e32 vcc_lo, 0x7f800000, v[96:97]
                                        ; implicit-def: $vgpr96
	s_and_saveexec_b32 s10, vcc_lo
	s_delay_alu instid0(SALU_CYCLE_1)
	s_xor_b32 s11, exec_lo, s10
	s_cbranch_execz .LBB2_1865
; %bb.1852:                             ;   in Loop: Header=BB2_1013 Depth=2
	v_and_b32_e32 v96, 0x7fffffff, v10
	v_mov_b32_e32 v97, v35
	v_and_b32_e32 v42, 0x80, v11
	s_delay_alu instid0(VALU_DEP_2) | instskip(SKIP_1) | instid1(SALU_CYCLE_1)
	v_cmp_gt_u64_e32 vcc_lo, 0x43e00001, v[96:97]
                                        ; implicit-def: $vgpr96
	s_and_saveexec_b32 s10, vcc_lo
	s_xor_b32 s41, exec_lo, s10
	s_cbranch_execz .LBB2_1862
; %bb.1853:                             ;   in Loop: Header=BB2_1013 Depth=2
	v_mov_b32_e32 v96, 0
	s_mov_b32 s42, exec_lo
	v_cmpx_ne_u32_e32 0, v10
	s_cbranch_execz .LBB2_1861
; %bb.1854:                             ;   in Loop: Header=BB2_1013 Depth=2
	v_bfe_u32 v44, v10, 23, 8
	v_and_b32_e32 v96, 0x7fffff, v10
	s_mov_b32 s43, exec_lo
	s_delay_alu instid0(VALU_DEP_2) | instskip(SKIP_1) | instid1(VALU_DEP_3)
	v_sub_nc_u32_e32 v11, 0x79, v44
	v_cmp_gt_u32_e32 vcc_lo, 0x7a, v44
	v_or_b32_e32 v97, 0x800000, v96
	s_delay_alu instid0(VALU_DEP_3) | instskip(SKIP_1) | instid1(VALU_DEP_3)
	v_cndmask_b32_e32 v11, 0, v11, vcc_lo
	v_cmp_eq_u32_e32 vcc_lo, 0, v44
	v_cndmask_b32_e32 v96, v97, v96, vcc_lo
	s_delay_alu instid0(VALU_DEP_3) | instskip(NEXT) | instid1(VALU_DEP_1)
	v_cndmask_b32_e64 v47, v11, 0x78, vcc_lo
	v_dual_mov_b32 v97, v35 :: v_dual_add_nc_u32 v10, 20, v47
	v_add_nc_u32_e32 v58, 19, v47
	s_delay_alu instid0(VALU_DEP_2) | instskip(NEXT) | instid1(VALU_DEP_2)
	v_lshlrev_b64_e64 v[10:11], v10, -1
	v_lshlrev_b64_e64 v[62:63], v58, 1
	s_delay_alu instid0(VALU_DEP_2) | instskip(NEXT) | instid1(VALU_DEP_3)
	v_bfi_b32 v73, v11, 0, 0
	v_bfi_b32 v72, v10, 0, v96
	v_lshrrev_b64 v[10:11], v47, v[96:97]
	s_delay_alu instid0(VALU_DEP_1) | instskip(NEXT) | instid1(VALU_DEP_3)
	v_mov_b64_e32 v[96:97], v[10:11]
	v_cmpx_eq_u64_e64 v[72:73], v[62:63]
; %bb.1855:                             ;   in Loop: Header=BB2_1013 Depth=2
	v_bfe_u32 v96, v10, 20, 1
	v_mov_b32_e32 v97, v35
	s_delay_alu instid0(VALU_DEP_1) | instskip(NEXT) | instid1(VALU_DEP_1)
	v_add_nc_u64_e32 v[96:97], v[10:11], v[96:97]
	v_add_nc_u64_e32 v[96:97], -1, v[96:97]
; %bb.1856:                             ;   in Loop: Header=BB2_1013 Depth=2
	s_or_b32 exec_lo, exec_lo, s43
	v_add_nc_u32_e32 v11, 0xffffff81, v44
	v_lshrrev_b32_e32 v97, 23, v10
	s_mov_b32 s10, exec_lo
	s_delay_alu instid0(VALU_DEP_2) | instskip(NEXT) | instid1(VALU_DEP_1)
	v_cndmask_b32_e64 v11, v11, 0xffffff82, vcc_lo
	v_add3_u32 v97, v47, v11, v97
	v_and_b32_e32 v11, 0xfffff, v96
                                        ; implicit-def: $vgpr96
	s_delay_alu instid0(VALU_DEP_1) | instskip(SKIP_1) | instid1(VALU_DEP_2)
	v_dual_add_nc_u32 v44, 6, v97 :: v_dual_add_nc_u32 v10, v11, v10
	v_mov_b32_e32 v11, v35
	v_cmpx_ne_u32_e32 0, v44
	s_xor_b32 s10, exec_lo, s10
; %bb.1857:                             ;   in Loop: Header=BB2_1013 Depth=2
	s_delay_alu instid0(VALU_DEP_2) | instskip(SKIP_2) | instid1(VALU_DEP_2)
	v_cmp_lt_u64_e32 vcc_lo, 0xffffff, v[10:11]
	v_add_nc_u32_e32 v96, 7, v97
	v_cndmask_b32_e64 v97, 0, 1, vcc_lo
	v_cndmask_b32_e32 v96, v44, v96, vcc_lo
	s_delay_alu instid0(VALU_DEP_2)
	v_lshrrev_b64 v[10:11], v97, v[10:11]
; %bb.1858:                             ;   in Loop: Header=BB2_1013 Depth=2
	s_and_not1_saveexec_b32 s10, s10
; %bb.1859:                             ;   in Loop: Header=BB2_1013 Depth=2
	s_delay_alu instid0(VALU_DEP_1)
	v_bfe_u32 v96, v10, 23, 1
; %bb.1860:                             ;   in Loop: Header=BB2_1013 Depth=2
	s_or_b32 exec_lo, exec_lo, s10
	s_delay_alu instid0(VALU_DEP_2) | instskip(NEXT) | instid1(VALU_DEP_2)
	v_lshrrev_b64 v[10:11], 20, v[10:11]
	v_cmp_gt_i32_e32 vcc_lo, 16, v96
	v_min_i32_e32 v97, 15, v96
	v_cmp_eq_u32_e64 s10, 0, v96
	s_delay_alu instid0(VALU_DEP_2) | instskip(SKIP_1) | instid1(VALU_DEP_2)
	v_dual_cndmask_b32 v11, 0, v11, vcc_lo :: v_dual_lshlrev_b32 v97, 3, v97
	v_cndmask_b32_e32 v10, 7, v10, vcc_lo
	v_and_b32_e32 v97, 0xf8, v97
	s_delay_alu instid0(VALU_DEP_2) | instskip(NEXT) | instid1(VALU_DEP_2)
	v_cmp_eq_u64_e32 vcc_lo, 0, v[10:11]
	v_and_or_b32 v10, v10, 7, v97
	s_and_b32 s10, s10, vcc_lo
	s_delay_alu instid0(VALU_DEP_1) | instid1(SALU_CYCLE_1)
	v_cndmask_b32_e64 v10, v10, 0, s10
	s_delay_alu instid0(VALU_DEP_1)
	v_or_b32_e32 v96, v10, v42
.LBB2_1861:                             ;   in Loop: Header=BB2_1013 Depth=2
	s_or_b32 exec_lo, exec_lo, s42
                                        ; implicit-def: $vgpr42
.LBB2_1862:                             ;   in Loop: Header=BB2_1013 Depth=2
	s_and_not1_saveexec_b32 s10, s41
; %bb.1863:                             ;   in Loop: Header=BB2_1013 Depth=2
	v_or_b32_e32 v96, 0x7e, v42
; %bb.1864:                             ;   in Loop: Header=BB2_1013 Depth=2
	s_or_b32 exec_lo, exec_lo, s10
                                        ; implicit-def: $vgpr11
.LBB2_1865:                             ;   in Loop: Header=BB2_1013 Depth=2
	s_and_not1_saveexec_b32 s10, s11
; %bb.1866:                             ;   in Loop: Header=BB2_1013 Depth=2
	v_or_b32_e32 v96, 0x7f, v11
; %bb.1867:                             ;   in Loop: Header=BB2_1013 Depth=2
	s_or_b32 exec_lo, exec_lo, s10
	v_mov_b32_e32 v11, 0
	s_mov_b32 s10, exec_lo
	v_cmpx_lt_u32_e32 0xffffff, v34
	s_cbranch_execz .LBB2_1875
; %bb.1868:                             ;   in Loop: Header=BB2_1013 Depth=2
	v_lshrrev_b32_e32 v10, 24, v34
	v_bfrev_b32_e32 v11, 1
	s_mov_b32 s11, exec_lo
	s_delay_alu instid0(VALU_DEP_2)
	v_cmpx_ne_u32_e32 0x80, v10
	s_cbranch_execz .LBB2_1874
; %bb.1869:                             ;   in Loop: Header=BB2_1013 Depth=2
	v_bfe_u32 v97, v34, 24, 7
	v_mov_b32_e32 v11, 0x7f800001
	s_mov_b32 s41, exec_lo
	s_delay_alu instid0(VALU_DEP_2)
	v_cmpx_ne_u32_e32 0x7f, v97
	s_cbranch_execz .LBB2_1873
; %bb.1870:                             ;   in Loop: Header=BB2_1013 Depth=2
	v_dual_lshrrev_b32 v11, 3, v97 :: v_dual_bitop2_b32 v34, 7, v10 bitop3:0x40
	s_mov_b32 s42, exec_lo
	v_cmpx_gt_u32_e32 8, v97
; %bb.1871:                             ;   in Loop: Header=BB2_1013 Depth=2
	s_delay_alu instid0(VALU_DEP_2) | instskip(NEXT) | instid1(VALU_DEP_1)
	v_clz_i32_u32_e32 v11, v34
	v_min_u32_e32 v11, 32, v11
	s_delay_alu instid0(VALU_DEP_1) | instskip(NEXT) | instid1(VALU_DEP_1)
	v_subrev_nc_u32_e32 v97, 28, v11
	v_lshlrev_b64_e32 v[62:63], v97, v[34:35]
	s_delay_alu instid0(VALU_DEP_1)
	v_dual_sub_nc_u32 v11, 29, v11 :: v_dual_bitop2_b32 v34, 7, v62 bitop3:0x40
; %bb.1872:                             ;   in Loop: Header=BB2_1013 Depth=2
	s_or_b32 exec_lo, exec_lo, s42
	v_lshlrev_b32_e32 v10, 24, v10
	s_delay_alu instid0(VALU_DEP_2) | instskip(NEXT) | instid1(VALU_DEP_3)
	v_lshlrev_b32_e32 v34, 20, v34
	v_lshl_add_u32 v11, v11, 23, 0x3c000000
	s_delay_alu instid0(VALU_DEP_3) | instskip(NEXT) | instid1(VALU_DEP_1)
	v_and_b32_e32 v10, 0x80000000, v10
	v_or3_b32 v11, v34, v10, v11
.LBB2_1873:                             ;   in Loop: Header=BB2_1013 Depth=2
	s_or_b32 exec_lo, exec_lo, s41
.LBB2_1874:                             ;   in Loop: Header=BB2_1013 Depth=2
	s_delay_alu instid0(SALU_CYCLE_1)
	s_or_b32 exec_lo, exec_lo, s11
.LBB2_1875:                             ;   in Loop: Header=BB2_1013 Depth=2
	s_delay_alu instid0(SALU_CYCLE_1) | instskip(SKIP_3) | instid1(VALU_DEP_3)
	s_or_b32 exec_lo, exec_lo, s10
	v_lshrrev_b32_e32 v10, 24, v13
	v_bfe_u32 v34, v13, 24, 7
	v_cmp_gt_u64_e64 s11, s[16:17], v[12:13]
	v_cmp_eq_u32_e64 s10, 0x80, v10
	s_delay_alu instid0(VALU_DEP_3) | instskip(NEXT) | instid1(VALU_DEP_2)
	v_cmp_eq_u32_e32 vcc_lo, 0x7f, v34
	v_cndmask_b32_e64 v97, 0x7f800001, v116, s10
	s_or_b32 s10, s10, vcc_lo
	s_delay_alu instid0(VALU_DEP_1) | instskip(SKIP_1) | instid1(SALU_CYCLE_1)
	v_cndmask_b32_e64 v12, v97, 0, s11
	s_nor_b32 s11, s11, s10
	s_and_saveexec_b32 s10, s11
	s_cbranch_execz .LBB2_1877
; %bb.1876:                             ;   in Loop: Header=BB2_1013 Depth=2
	v_and_b32_e32 v97, 7, v10
	v_cmp_gt_u32_e32 vcc_lo, 8, v34
	s_delay_alu instid0(VALU_DEP_2) | instskip(NEXT) | instid1(VALU_DEP_1)
	v_clz_i32_u32_e32 v12, v97
	v_min_u32_e32 v42, 32, v12
	s_delay_alu instid0(VALU_DEP_1) | instskip(NEXT) | instid1(VALU_DEP_1)
	v_subrev_nc_u32_e32 v12, 28, v42
	v_lshlrev_b64_e32 v[12:13], v12, v[10:11]
	v_lshrrev_b32_e32 v13, 3, v34
	v_lshlrev_b32_e32 v10, 24, v10
	s_delay_alu instid0(VALU_DEP_1) | instskip(NEXT) | instid1(VALU_DEP_4)
	v_and_b32_e32 v10, 0x80000000, v10
	v_dual_sub_nc_u32 v42, 29, v42 :: v_dual_bitop2_b32 v12, 7, v12 bitop3:0x40
	s_delay_alu instid0(VALU_DEP_1) | instskip(NEXT) | instid1(VALU_DEP_1)
	v_cndmask_b32_e32 v12, v97, v12, vcc_lo
	v_dual_cndmask_b32 v13, v13, v42 :: v_dual_lshlrev_b32 v12, 20, v12
	s_delay_alu instid0(VALU_DEP_1) | instskip(NEXT) | instid1(VALU_DEP_1)
	v_lshl_add_u32 v13, v13, 23, 0x3c000000
	v_or3_b32 v12, v12, v10, v13
.LBB2_1877:                             ;   in Loop: Header=BB2_1013 Depth=2
	s_or_b32 exec_lo, exec_lo, s10
	s_delay_alu instid0(VALU_DEP_1) | instskip(SKIP_1) | instid1(VALU_DEP_1)
	v_add_f32_e32 v11, v11, v12
                                        ; implicit-def: $vgpr10
	s_mov_b32 s10, exec_lo
	v_and_b32_e32 v34, 0x7f800000, v11
	v_lshrrev_b32_e32 v12, 24, v11
	s_delay_alu instid0(VALU_DEP_2)
	v_cmpx_ne_u64_e32 0x7f800000, v[34:35]
	s_xor_b32 s11, exec_lo, s10
	s_cbranch_execz .LBB2_1891
; %bb.1878:                             ;   in Loop: Header=BB2_1013 Depth=2
	v_and_b32_e32 v34, 0x7fffffff, v11
	v_and_b32_e32 v97, 0x80, v12
                                        ; implicit-def: $vgpr10
	s_mov_b32 s10, exec_lo
	s_delay_alu instid0(VALU_DEP_2)
	v_cmpx_gt_u64_e32 0x43e00001, v[34:35]
	s_xor_b32 s41, exec_lo, s10
	s_cbranch_execz .LBB2_1888
; %bb.1879:                             ;   in Loop: Header=BB2_1013 Depth=2
	v_mov_b32_e32 v10, 0
	s_mov_b32 s42, exec_lo
	v_cmpx_ne_u32_e32 0, v11
	s_cbranch_execz .LBB2_1887
; %bb.1880:                             ;   in Loop: Header=BB2_1013 Depth=2
	v_bfe_u32 v42, v11, 23, 8
	v_and_b32_e32 v12, 0x7fffff, v11
	s_delay_alu instid0(VALU_DEP_2) | instskip(SKIP_1) | instid1(VALU_DEP_3)
	v_sub_nc_u32_e32 v10, 0x79, v42
	v_cmp_gt_u32_e32 vcc_lo, 0x7a, v42
	v_or_b32_e32 v13, 0x800000, v12
	s_delay_alu instid0(VALU_DEP_3) | instskip(SKIP_1) | instid1(VALU_DEP_2)
	v_cndmask_b32_e32 v10, 0, v10, vcc_lo
	v_cmp_eq_u32_e32 vcc_lo, 0, v42
	v_cndmask_b32_e64 v44, v10, 0x78, vcc_lo
	s_delay_alu instid0(VALU_DEP_4) | instskip(NEXT) | instid1(VALU_DEP_2)
	v_cndmask_b32_e32 v34, v13, v12, vcc_lo
	v_dual_add_nc_u32 v10, 20, v44 :: v_dual_add_nc_u32 v47, 19, v44
	s_delay_alu instid0(VALU_DEP_1) | instskip(NEXT) | instid1(VALU_DEP_2)
	v_lshlrev_b64_e64 v[10:11], v10, -1
	v_lshlrev_b64_e64 v[12:13], v47, 1
	s_delay_alu instid0(VALU_DEP_2) | instskip(NEXT) | instid1(VALU_DEP_3)
	v_bfi_b32 v63, v11, 0, 0
	v_bfi_b32 v62, v10, 0, v34
	v_lshrrev_b64 v[10:11], v44, v[34:35]
	s_delay_alu instid0(VALU_DEP_2) | instskip(NEXT) | instid1(VALU_DEP_2)
	v_cmp_eq_u64_e64 s10, v[62:63], v[12:13]
	v_mov_b64_e32 v[12:13], v[10:11]
	s_and_saveexec_b32 s43, s10
; %bb.1881:                             ;   in Loop: Header=BB2_1013 Depth=2
	v_bfe_u32 v34, v10, 20, 1
	s_delay_alu instid0(VALU_DEP_1) | instskip(NEXT) | instid1(VALU_DEP_1)
	v_add_nc_u64_e32 v[12:13], v[10:11], v[34:35]
	v_add_nc_u64_e32 v[12:13], -1, v[12:13]
; %bb.1882:                             ;   in Loop: Header=BB2_1013 Depth=2
	s_or_b32 exec_lo, exec_lo, s43
	v_add_nc_u32_e32 v11, 0xffffff81, v42
	v_lshrrev_b32_e32 v13, 23, v10
	s_mov_b32 s10, exec_lo
	s_delay_alu instid0(VALU_DEP_2) | instskip(NEXT) | instid1(VALU_DEP_1)
	v_cndmask_b32_e64 v11, v11, 0xffffff82, vcc_lo
	v_add3_u32 v13, v44, v11, v13
	v_and_b32_e32 v11, 0xfffff, v12
                                        ; implicit-def: $vgpr12
	s_delay_alu instid0(VALU_DEP_1) | instskip(NEXT) | instid1(VALU_DEP_1)
	v_dual_add_nc_u32 v42, 6, v13 :: v_dual_add_nc_u32 v34, v11, v10
                                        ; implicit-def: $vgpr10_vgpr11
	v_cmpx_ne_u32_e32 0, v42
	s_xor_b32 s10, exec_lo, s10
; %bb.1883:                             ;   in Loop: Header=BB2_1013 Depth=2
	s_delay_alu instid0(VALU_DEP_2) | instskip(SKIP_1) | instid1(VALU_DEP_1)
	v_cmp_lt_u64_e32 vcc_lo, 0xffffff, v[34:35]
	v_add_nc_u32_e32 v10, 7, v13
	v_cndmask_b32_e32 v12, v42, v10, vcc_lo
	v_cndmask_b32_e64 v10, 0, 1, vcc_lo
	s_delay_alu instid0(VALU_DEP_1)
	v_lshrrev_b64 v[10:11], v10, v[34:35]
; %bb.1884:                             ;   in Loop: Header=BB2_1013 Depth=2
	s_and_not1_saveexec_b32 s10, s10
; %bb.1885:                             ;   in Loop: Header=BB2_1013 Depth=2
	v_mov_b64_e32 v[10:11], v[34:35]
	v_bfe_u32 v12, v34, 23, 1
; %bb.1886:                             ;   in Loop: Header=BB2_1013 Depth=2
	s_or_b32 exec_lo, exec_lo, s10
	s_delay_alu instid0(VALU_DEP_2) | instskip(NEXT) | instid1(VALU_DEP_2)
	v_lshrrev_b64 v[10:11], 20, v[10:11]
	v_cmp_gt_i32_e32 vcc_lo, 16, v12
	v_min_i32_e32 v13, 15, v12
	v_cmp_eq_u32_e64 s10, 0, v12
	s_delay_alu instid0(VALU_DEP_2) | instskip(SKIP_1) | instid1(VALU_DEP_2)
	v_dual_cndmask_b32 v11, 0, v11, vcc_lo :: v_dual_lshlrev_b32 v13, 3, v13
	v_cndmask_b32_e32 v10, 7, v10, vcc_lo
	v_and_b32_e32 v13, 0xf8, v13
	s_delay_alu instid0(VALU_DEP_2) | instskip(NEXT) | instid1(VALU_DEP_2)
	v_cmp_eq_u64_e32 vcc_lo, 0, v[10:11]
	v_and_or_b32 v10, v10, 7, v13
	s_and_b32 s10, s10, vcc_lo
	s_delay_alu instid0(VALU_DEP_1) | instid1(SALU_CYCLE_1)
	v_cndmask_b32_e64 v10, v10, 0, s10
	s_delay_alu instid0(VALU_DEP_1)
	v_or_b32_e32 v10, v10, v97
.LBB2_1887:                             ;   in Loop: Header=BB2_1013 Depth=2
	s_or_b32 exec_lo, exec_lo, s42
                                        ; implicit-def: $vgpr97
.LBB2_1888:                             ;   in Loop: Header=BB2_1013 Depth=2
	s_and_not1_saveexec_b32 s10, s41
; %bb.1889:                             ;   in Loop: Header=BB2_1013 Depth=2
	v_or_b32_e32 v10, 0x7e, v97
; %bb.1890:                             ;   in Loop: Header=BB2_1013 Depth=2
	s_or_b32 exec_lo, exec_lo, s10
                                        ; implicit-def: $vgpr12
.LBB2_1891:                             ;   in Loop: Header=BB2_1013 Depth=2
	s_and_not1_saveexec_b32 s10, s11
	s_cbranch_execz .LBB2_1012
; %bb.1892:                             ;   in Loop: Header=BB2_1013 Depth=2
	v_or_b32_e32 v10, 0x7f, v12
	s_branch .LBB2_1012
.LBB2_1893:                             ;   in Loop: Header=BB2_49 Depth=1
	s_or_b32 exec_lo, exec_lo, s28
.LBB2_1894:                             ;   in Loop: Header=BB2_49 Depth=1
	s_delay_alu instid0(SALU_CYCLE_1) | instskip(SKIP_3) | instid1(VALU_DEP_1)
	s_or_b32 exec_lo, exec_lo, s27
	v_cmp_lt_i32_e32 vcc_lo, 0, v119
	s_mov_b32 s11, exec_lo
	v_cndmask_b32_e32 v10, 0, v36, vcc_lo
	v_sub_nc_u32_e32 v10, v10, v119
	s_delay_alu instid0(VALU_DEP_1)
	v_lshl_add_u32 v30, v10, 5, v118
.LBB2_1895:                             ;   in Loop: Header=BB2_49 Depth=1
	s_or_b32 exec_lo, exec_lo, s12
	s_and_saveexec_b32 s12, s11
	s_cbranch_execz .LBB2_2488
.LBB2_1896:                             ;   in Loop: Header=BB2_49 Depth=1
	s_delay_alu instid0(VALU_DEP_1) | instskip(SKIP_1) | instid1(VALU_DEP_1)
	v_dual_ashrrev_i32 v10, 31, v30 :: v_dual_lshrrev_b32 v11, 8, v117
	s_mov_b32 s27, exec_lo
	v_lshrrev_b32_e32 v10, 27, v10
	s_delay_alu instid0(VALU_DEP_1) | instskip(NEXT) | instid1(VALU_DEP_1)
	v_add_nc_u32_e32 v10, v30, v10
	v_ashrrev_i32_e32 v84, 5, v10
	s_delay_alu instid0(VALU_DEP_1) | instskip(NEXT) | instid1(VALU_DEP_1)
	v_sub_nc_u32_e32 v85, v11, v84
	v_cmpx_lt_i32_e32 0, v85
	s_cbranch_execz .LBB2_2416
; %bb.1897:                             ;   in Loop: Header=BB2_49 Depth=1
	v_and_b32_e32 v10, 0xffffffe0, v10
	s_trap 2
	ds_load_b64 v[12:13], v0
	v_lshlrev_b32_e32 v11, 8, v84
	v_add_nc_u64_e32 v[80:81], 0xe0, v[80:81]
	v_sub_nc_u32_e32 v10, v30, v10
	s_mov_b32 s28, 0
	s_delay_alu instid0(VALU_DEP_1) | instskip(NEXT) | instid1(VALU_DEP_1)
	v_add3_u32 v82, v69, v10, v11
	v_ashrrev_i32_e32 v83, 31, v82
	s_delay_alu instid0(VALU_DEP_1)
	v_add_nc_u64_e32 v[10:11], v[82:83], v[70:71]
	v_add_nc_u64_e32 v[70:71], v[80:81], v[82:83]
	s_wait_dscnt 0x0
	v_add_nc_u64_e32 v[12:13], v[12:13], v[82:83]
	s_branch .LBB2_1899
.LBB2_1898:                             ;   in Loop: Header=BB2_1899 Depth=2
	s_or_b32 exec_lo, exec_lo, s10
	v_sub_nc_u32_e32 v85, v85, v36
	s_clause 0x7
	flat_store_b8 v[70:71], v96 offset:-224 th:TH_STORE_NT
	flat_store_b8 v[70:71], v119 offset:-192 th:TH_STORE_NT
	;; [unrolled: 1-line block ×7, first 2 shown]
	flat_store_b8 v[70:71], v34 th:TH_STORE_NT
	v_add_nc_u64_e32 v[10:11], v[10:11], v[50:51]
	v_add_nc_u64_e32 v[12:13], v[12:13], v[50:51]
	s_wait_xcnt 0x0
	v_add_nc_u64_e32 v[70:71], v[70:71], v[50:51]
	v_cmp_gt_i32_e32 vcc_lo, 1, v85
	s_or_b32 s28, vcc_lo, s28
	s_delay_alu instid0(SALU_CYCLE_1)
	s_and_not1_b32 exec_lo, exec_lo, s28
	s_cbranch_execz .LBB2_2415
.LBB2_1899:                             ;   Parent Loop BB2_49 Depth=1
                                        ; =>  This Inner Loop Header: Depth=2
	s_trap 2
	ds_load_b64 v[80:81], v0
	s_mov_b32 s29, 0
	s_wait_dscnt 0x0
	v_and_b32_e32 v34, 0xff, v80
	v_readfirstlane_b32 s10, v80
	v_readfirstlane_b32 s11, v81
	s_delay_alu instid0(VALU_DEP_3)
	v_cmp_eq_u32_e32 vcc_lo, 0, v34
	s_cbranch_vccnz .LBB2_1903
; %bb.1900:                             ;   in Loop: Header=BB2_1899 Depth=2
	v_cmp_eq_u32_e32 vcc_lo, 0x80, v34
	s_brev_b32 s29, 1
	s_cbranch_vccnz .LBB2_1903
; %bb.1901:                             ;   in Loop: Header=BB2_1899 Depth=2
	s_and_b32 s40, s10, 0x7f
	s_mov_b32 s29, 0x7f800001
	s_cmp_eq_u32 s40, 0x7f
	s_cbranch_scc1 .LBB2_1903
; %bb.1902:                             ;   in Loop: Header=BB2_1899 Depth=2
	s_and_b32 s29, s10, 7
	s_lshr_b32 s41, s40, 3
	s_clz_i32_u32 s29, s29
	s_delay_alu instid0(SALU_CYCLE_1) | instskip(NEXT) | instid1(SALU_CYCLE_1)
	s_min_u32 s29, s29, 32
	s_sub_co_i32 s42, s29, 28
	s_sub_co_i32 s29, 29, s29
	s_cmp_lt_u32 s40, 8
	s_cselect_b32 s40, s42, 0
	s_cselect_b32 s29, s29, s41
	s_lshl_b64 s[40:41], s[10:11], s40
	s_lshl_b32 s10, s10, 24
	s_lshl_b32 s11, s40, 20
	;; [unrolled: 1-line block ×3, first 2 shown]
	s_and_b32 s11, s11, 0x700000
	s_and_b32 s10, s10, 0x80000000
	s_add_co_i32 s29, s29, 0x3c000000
	s_or_b32 s10, s11, s10
	s_delay_alu instid0(SALU_CYCLE_1)
	s_or_b32 s29, s29, s10
.LBB2_1903:                             ;   in Loop: Header=BB2_1899 Depth=2
	flat_load_u8 v80, v[10:11] th:TH_LOAD_NT
	v_mov_b32_e32 v34, 0
	s_mov_b32 s10, exec_lo
	s_wait_loadcnt_dscnt 0x0
	v_cmpx_ne_u16_e32 0, v80
	s_cbranch_execz .LBB2_1911
; %bb.1904:                             ;   in Loop: Header=BB2_1899 Depth=2
	v_bfrev_b32_e32 v34, 1
	s_mov_b32 s11, exec_lo
	v_cmpx_ne_u16_e32 0x80, v80
	s_cbranch_execz .LBB2_1910
; %bb.1905:                             ;   in Loop: Header=BB2_1899 Depth=2
	v_and_b32_e32 v81, 0xffff, v80
	v_mov_b32_e32 v34, 0x7f800001
	s_mov_b32 s40, exec_lo
	s_delay_alu instid0(VALU_DEP_2) | instskip(NEXT) | instid1(VALU_DEP_1)
	v_and_b32_e32 v82, 0x7f, v81
	v_cmpx_ne_u32_e32 0x7f, v82
	s_cbranch_execz .LBB2_1909
; %bb.1906:                             ;   in Loop: Header=BB2_1899 Depth=2
	v_dual_lshrrev_b32 v81, 3, v82 :: v_dual_bitop2_b32 v34, 7, v81 bitop3:0x40
	s_mov_b32 s41, exec_lo
	v_cmpx_gt_u32_e32 8, v82
; %bb.1907:                             ;   in Loop: Header=BB2_1899 Depth=2
	s_delay_alu instid0(VALU_DEP_2) | instskip(NEXT) | instid1(VALU_DEP_1)
	v_clz_i32_u32_e32 v81, v34
	v_min_u32_e32 v81, 32, v81
	s_delay_alu instid0(VALU_DEP_1) | instskip(NEXT) | instid1(VALU_DEP_1)
	v_subrev_nc_u32_e32 v82, 28, v81
	v_lshlrev_b64_e32 v[82:83], v82, v[34:35]
	s_delay_alu instid0(VALU_DEP_1)
	v_dual_sub_nc_u32 v81, 29, v81 :: v_dual_bitop2_b32 v34, 7, v82 bitop3:0x40
; %bb.1908:                             ;   in Loop: Header=BB2_1899 Depth=2
	s_or_b32 exec_lo, exec_lo, s41
	s_delay_alu instid0(VALU_DEP_1) | instskip(NEXT) | instid1(VALU_DEP_2)
	v_dual_lshlrev_b32 v80, 24, v80 :: v_dual_lshlrev_b32 v34, 20, v34
	v_lshl_add_u32 v81, v81, 23, 0x3c000000
	s_delay_alu instid0(VALU_DEP_2) | instskip(NEXT) | instid1(VALU_DEP_1)
	v_and_b32_e32 v80, 0x80000000, v80
	v_or3_b32 v34, v34, v80, v81
.LBB2_1909:                             ;   in Loop: Header=BB2_1899 Depth=2
	s_or_b32 exec_lo, exec_lo, s40
.LBB2_1910:                             ;   in Loop: Header=BB2_1899 Depth=2
	s_delay_alu instid0(SALU_CYCLE_1)
	s_or_b32 exec_lo, exec_lo, s11
.LBB2_1911:                             ;   in Loop: Header=BB2_1899 Depth=2
	s_delay_alu instid0(SALU_CYCLE_1) | instskip(NEXT) | instid1(VALU_DEP_1)
	s_or_b32 exec_lo, exec_lo, s10
	v_mul_f32_e32 v80, s29, v34
                                        ; implicit-def: $vgpr96
	s_mov_b32 s10, exec_lo
	s_delay_alu instid0(VALU_DEP_1) | instskip(SKIP_1) | instid1(VALU_DEP_2)
	v_and_b32_e32 v34, 0x7f800000, v80
	v_lshrrev_b32_e32 v81, 24, v80
	v_cmpx_ne_u64_e32 0x7f800000, v[34:35]
	s_xor_b32 s11, exec_lo, s10
	s_cbranch_execz .LBB2_1929
; %bb.1912:                             ;   in Loop: Header=BB2_1899 Depth=2
	v_and_b32_e32 v34, 0x7fffffff, v80
	v_and_b32_e32 v86, 0x80, v81
                                        ; implicit-def: $vgpr96
	s_mov_b32 s10, exec_lo
	s_delay_alu instid0(VALU_DEP_2)
	v_cmpx_gt_u64_e32 0x43e00001, v[34:35]
	s_xor_b32 s40, exec_lo, s10
	s_cbranch_execz .LBB2_1926
; %bb.1913:                             ;   in Loop: Header=BB2_1899 Depth=2
	v_mov_b32_e32 v96, 0
	s_mov_b32 s41, exec_lo
	v_cmpx_ne_u32_e32 0, v80
	s_cbranch_execz .LBB2_1925
; %bb.1914:                             ;   in Loop: Header=BB2_1899 Depth=2
	v_bfe_u32 v87, v80, 23, 8
	s_delay_alu instid0(VALU_DEP_1) | instskip(SKIP_1) | instid1(VALU_DEP_2)
	v_sub_nc_u32_e32 v34, 0x79, v87
	v_cmp_gt_u32_e32 vcc_lo, 0x7a, v87
	v_cndmask_b32_e32 v34, 0, v34, vcc_lo
	v_cmp_eq_u32_e32 vcc_lo, 0, v87
	s_delay_alu instid0(VALU_DEP_2) | instskip(SKIP_1) | instid1(VALU_DEP_2)
	v_cndmask_b32_e64 v96, v34, 0x78, vcc_lo
	v_and_b32_e32 v34, 0x7fffff, v80
	v_add_nc_u32_e32 v80, 20, v96
	s_delay_alu instid0(VALU_DEP_2) | instskip(SKIP_1) | instid1(VALU_DEP_3)
	v_or_b32_e32 v82, 0x800000, v34
	v_add_nc_u32_e32 v83, 19, v96
	v_lshlrev_b64_e64 v[80:81], v80, -1
	s_delay_alu instid0(VALU_DEP_3) | instskip(NEXT) | instid1(VALU_DEP_3)
	v_cndmask_b32_e32 v34, v82, v34, vcc_lo
	v_lshlrev_b64_e64 v[82:83], v83, 1
	s_delay_alu instid0(VALU_DEP_3) | instskip(NEXT) | instid1(VALU_DEP_3)
	v_bfi_b32 v99, v81, 0, 0
	v_bfi_b32 v98, v80, 0, v34
	v_lshrrev_b64 v[80:81], v96, v[34:35]
	s_delay_alu instid0(VALU_DEP_2) | instskip(NEXT) | instid1(VALU_DEP_2)
	v_cmp_eq_u64_e64 s10, v[98:99], v[82:83]
	v_mov_b64_e32 v[82:83], v[80:81]
	s_and_saveexec_b32 s42, s10
; %bb.1915:                             ;   in Loop: Header=BB2_1899 Depth=2
	v_bfe_u32 v34, v80, 20, 1
	s_delay_alu instid0(VALU_DEP_1) | instskip(NEXT) | instid1(VALU_DEP_1)
	v_add_nc_u64_e32 v[82:83], v[80:81], v[34:35]
	v_add_nc_u64_e32 v[82:83], -1, v[82:83]
; %bb.1916:                             ;   in Loop: Header=BB2_1899 Depth=2
	s_or_b32 exec_lo, exec_lo, s42
	v_add_nc_u32_e32 v34, 0xffffff81, v87
	v_lshrrev_b32_e32 v81, 23, v80
	s_mov_b32 s10, exec_lo
	s_delay_alu instid0(VALU_DEP_2) | instskip(NEXT) | instid1(VALU_DEP_1)
	v_cndmask_b32_e64 v34, v34, 0xffffff82, vcc_lo
	v_add3_u32 v83, v96, v34, v81
	v_and_b32_e32 v34, 0xfffff, v82
                                        ; implicit-def: $vgpr82
	s_delay_alu instid0(VALU_DEP_1) | instskip(NEXT) | instid1(VALU_DEP_1)
	v_dual_add_nc_u32 v87, 6, v83 :: v_dual_add_nc_u32 v34, v34, v80
                                        ; implicit-def: $vgpr80_vgpr81
	v_cmpx_ne_u32_e32 0, v87
	s_xor_b32 s10, exec_lo, s10
; %bb.1917:                             ;   in Loop: Header=BB2_1899 Depth=2
	s_delay_alu instid0(VALU_DEP_2) | instskip(SKIP_1) | instid1(VALU_DEP_1)
	v_cmp_lt_u64_e32 vcc_lo, 0xffffff, v[34:35]
	v_add_nc_u32_e32 v80, 7, v83
	v_cndmask_b32_e32 v82, v87, v80, vcc_lo
	v_cndmask_b32_e64 v80, 0, 1, vcc_lo
	s_delay_alu instid0(VALU_DEP_1)
	v_lshrrev_b64 v[80:81], v80, v[34:35]
; %bb.1918:                             ;   in Loop: Header=BB2_1899 Depth=2
	s_and_not1_saveexec_b32 s10, s10
; %bb.1919:                             ;   in Loop: Header=BB2_1899 Depth=2
	v_mov_b64_e32 v[80:81], v[34:35]
	v_bfe_u32 v82, v34, 23, 1
; %bb.1920:                             ;   in Loop: Header=BB2_1899 Depth=2
	s_or_b32 exec_lo, exec_lo, s10
	s_delay_alu instid0(VALU_DEP_2) | instskip(NEXT) | instid1(VALU_DEP_2)
	v_lshrrev_b64 v[80:81], 20, v[80:81]
	v_cmp_gt_i32_e32 vcc_lo, 16, v82
	v_cmp_ne_u32_e64 s10, 0, v82
                                        ; implicit-def: $vgpr96
	s_delay_alu instid0(VALU_DEP_3) | instskip(NEXT) | instid1(VALU_DEP_1)
	v_dual_cndmask_b32 v81, 0, v81 :: v_dual_cndmask_b32 v80, 7, v80
	v_cmp_ne_u64_e32 vcc_lo, 0, v[80:81]
	s_or_b32 s10, s10, vcc_lo
	s_delay_alu instid0(SALU_CYCLE_1) | instskip(NEXT) | instid1(SALU_CYCLE_1)
	s_and_saveexec_b32 s42, s10
	s_xor_b32 s10, exec_lo, s42
; %bb.1921:                             ;   in Loop: Header=BB2_1899 Depth=2
	v_min_i32_e32 v34, 15, v82
	s_delay_alu instid0(VALU_DEP_1) | instskip(NEXT) | instid1(VALU_DEP_1)
	v_lshl_or_b32 v34, v34, 3, v86
                                        ; implicit-def: $vgpr86
	v_and_or_b32 v96, v80, 7, v34
; %bb.1922:                             ;   in Loop: Header=BB2_1899 Depth=2
	s_and_not1_saveexec_b32 s10, s10
; %bb.1923:                             ;   in Loop: Header=BB2_1899 Depth=2
	v_mov_b32_e32 v96, v86
; %bb.1924:                             ;   in Loop: Header=BB2_1899 Depth=2
	s_or_b32 exec_lo, exec_lo, s10
.LBB2_1925:                             ;   in Loop: Header=BB2_1899 Depth=2
	s_delay_alu instid0(SALU_CYCLE_1)
	s_or_b32 exec_lo, exec_lo, s41
                                        ; implicit-def: $vgpr86
.LBB2_1926:                             ;   in Loop: Header=BB2_1899 Depth=2
	s_and_not1_saveexec_b32 s10, s40
; %bb.1927:                             ;   in Loop: Header=BB2_1899 Depth=2
	v_or_b32_e32 v96, 0x7e, v86
; %bb.1928:                             ;   in Loop: Header=BB2_1899 Depth=2
	s_or_b32 exec_lo, exec_lo, s10
                                        ; implicit-def: $vgpr81
.LBB2_1929:                             ;   in Loop: Header=BB2_1899 Depth=2
	s_and_not1_saveexec_b32 s10, s11
; %bb.1930:                             ;   in Loop: Header=BB2_1899 Depth=2
	v_or_b32_e32 v96, 0x7f, v81
; %bb.1931:                             ;   in Loop: Header=BB2_1899 Depth=2
	s_or_b32 exec_lo, exec_lo, s10
	flat_load_u8 v80, v[10:11] offset:32 th:TH_LOAD_NT
	v_mov_b32_e32 v34, 0
	s_mov_b32 s10, exec_lo
	s_wait_loadcnt_dscnt 0x0
	v_cmpx_ne_u16_e32 0, v80
	s_cbranch_execz .LBB2_1939
; %bb.1932:                             ;   in Loop: Header=BB2_1899 Depth=2
	v_bfrev_b32_e32 v34, 1
	s_mov_b32 s11, exec_lo
	v_cmpx_ne_u16_e32 0x80, v80
	s_cbranch_execz .LBB2_1938
; %bb.1933:                             ;   in Loop: Header=BB2_1899 Depth=2
	v_and_b32_e32 v81, 0xffff, v80
	v_mov_b32_e32 v34, 0x7f800001
	s_mov_b32 s40, exec_lo
	s_delay_alu instid0(VALU_DEP_2) | instskip(NEXT) | instid1(VALU_DEP_1)
	v_and_b32_e32 v82, 0x7f, v81
	v_cmpx_ne_u32_e32 0x7f, v82
	s_cbranch_execz .LBB2_1937
; %bb.1934:                             ;   in Loop: Header=BB2_1899 Depth=2
	v_dual_lshrrev_b32 v81, 3, v82 :: v_dual_bitop2_b32 v34, 7, v81 bitop3:0x40
	s_mov_b32 s41, exec_lo
	v_cmpx_gt_u32_e32 8, v82
; %bb.1935:                             ;   in Loop: Header=BB2_1899 Depth=2
	s_delay_alu instid0(VALU_DEP_2) | instskip(NEXT) | instid1(VALU_DEP_1)
	v_clz_i32_u32_e32 v81, v34
	v_min_u32_e32 v81, 32, v81
	s_delay_alu instid0(VALU_DEP_1) | instskip(NEXT) | instid1(VALU_DEP_1)
	v_subrev_nc_u32_e32 v82, 28, v81
	v_lshlrev_b64_e32 v[82:83], v82, v[34:35]
	s_delay_alu instid0(VALU_DEP_1)
	v_dual_sub_nc_u32 v81, 29, v81 :: v_dual_bitop2_b32 v34, 7, v82 bitop3:0x40
; %bb.1936:                             ;   in Loop: Header=BB2_1899 Depth=2
	s_or_b32 exec_lo, exec_lo, s41
	s_delay_alu instid0(VALU_DEP_1) | instskip(NEXT) | instid1(VALU_DEP_2)
	v_dual_lshlrev_b32 v80, 24, v80 :: v_dual_lshlrev_b32 v34, 20, v34
	v_lshl_add_u32 v81, v81, 23, 0x3c000000
	s_delay_alu instid0(VALU_DEP_2) | instskip(NEXT) | instid1(VALU_DEP_1)
	v_and_b32_e32 v80, 0x80000000, v80
	v_or3_b32 v34, v34, v80, v81
.LBB2_1937:                             ;   in Loop: Header=BB2_1899 Depth=2
	s_or_b32 exec_lo, exec_lo, s40
.LBB2_1938:                             ;   in Loop: Header=BB2_1899 Depth=2
	s_delay_alu instid0(SALU_CYCLE_1)
	s_or_b32 exec_lo, exec_lo, s11
.LBB2_1939:                             ;   in Loop: Header=BB2_1899 Depth=2
	s_delay_alu instid0(SALU_CYCLE_1) | instskip(NEXT) | instid1(VALU_DEP_1)
	s_or_b32 exec_lo, exec_lo, s10
	v_mul_f32_e32 v80, s29, v34
                                        ; implicit-def: $vgpr119
	s_mov_b32 s10, exec_lo
	s_delay_alu instid0(VALU_DEP_1) | instskip(SKIP_1) | instid1(VALU_DEP_2)
	v_and_b32_e32 v34, 0x7f800000, v80
	v_lshrrev_b32_e32 v81, 24, v80
	v_cmpx_ne_u64_e32 0x7f800000, v[34:35]
	s_xor_b32 s11, exec_lo, s10
	s_cbranch_execz .LBB2_1957
; %bb.1940:                             ;   in Loop: Header=BB2_1899 Depth=2
	v_and_b32_e32 v34, 0x7fffffff, v80
	v_and_b32_e32 v86, 0x80, v81
                                        ; implicit-def: $vgpr119
	s_mov_b32 s10, exec_lo
	s_delay_alu instid0(VALU_DEP_2)
	v_cmpx_gt_u64_e32 0x43e00001, v[34:35]
	s_xor_b32 s40, exec_lo, s10
	s_cbranch_execz .LBB2_1954
; %bb.1941:                             ;   in Loop: Header=BB2_1899 Depth=2
	v_mov_b32_e32 v119, 0
	s_mov_b32 s41, exec_lo
	v_cmpx_ne_u32_e32 0, v80
	s_cbranch_execz .LBB2_1953
; %bb.1942:                             ;   in Loop: Header=BB2_1899 Depth=2
	v_bfe_u32 v87, v80, 23, 8
	s_delay_alu instid0(VALU_DEP_1) | instskip(SKIP_1) | instid1(VALU_DEP_2)
	v_sub_nc_u32_e32 v34, 0x79, v87
	v_cmp_gt_u32_e32 vcc_lo, 0x7a, v87
	v_cndmask_b32_e32 v34, 0, v34, vcc_lo
	v_cmp_eq_u32_e32 vcc_lo, 0, v87
	s_delay_alu instid0(VALU_DEP_2) | instskip(SKIP_1) | instid1(VALU_DEP_2)
	v_cndmask_b32_e64 v97, v34, 0x78, vcc_lo
	v_and_b32_e32 v34, 0x7fffff, v80
	v_add_nc_u32_e32 v80, 20, v97
	s_delay_alu instid0(VALU_DEP_2) | instskip(SKIP_1) | instid1(VALU_DEP_3)
	v_or_b32_e32 v82, 0x800000, v34
	v_add_nc_u32_e32 v83, 19, v97
	v_lshlrev_b64_e64 v[80:81], v80, -1
	s_delay_alu instid0(VALU_DEP_3) | instskip(NEXT) | instid1(VALU_DEP_3)
	v_cndmask_b32_e32 v34, v82, v34, vcc_lo
	v_lshlrev_b64_e64 v[82:83], v83, 1
	s_delay_alu instid0(VALU_DEP_3) | instskip(NEXT) | instid1(VALU_DEP_3)
	v_bfi_b32 v99, v81, 0, 0
	v_bfi_b32 v98, v80, 0, v34
	v_lshrrev_b64 v[80:81], v97, v[34:35]
	s_delay_alu instid0(VALU_DEP_2) | instskip(NEXT) | instid1(VALU_DEP_2)
	v_cmp_eq_u64_e64 s10, v[98:99], v[82:83]
	v_mov_b64_e32 v[82:83], v[80:81]
	s_and_saveexec_b32 s42, s10
; %bb.1943:                             ;   in Loop: Header=BB2_1899 Depth=2
	v_bfe_u32 v34, v80, 20, 1
	s_delay_alu instid0(VALU_DEP_1) | instskip(NEXT) | instid1(VALU_DEP_1)
	v_add_nc_u64_e32 v[82:83], v[80:81], v[34:35]
	v_add_nc_u64_e32 v[82:83], -1, v[82:83]
; %bb.1944:                             ;   in Loop: Header=BB2_1899 Depth=2
	s_or_b32 exec_lo, exec_lo, s42
	v_add_nc_u32_e32 v34, 0xffffff81, v87
	v_lshrrev_b32_e32 v81, 23, v80
	s_mov_b32 s10, exec_lo
	s_delay_alu instid0(VALU_DEP_2) | instskip(NEXT) | instid1(VALU_DEP_1)
	v_cndmask_b32_e64 v34, v34, 0xffffff82, vcc_lo
	v_add3_u32 v83, v97, v34, v81
	v_and_b32_e32 v34, 0xfffff, v82
                                        ; implicit-def: $vgpr82
	s_delay_alu instid0(VALU_DEP_1) | instskip(NEXT) | instid1(VALU_DEP_1)
	v_dual_add_nc_u32 v87, 6, v83 :: v_dual_add_nc_u32 v34, v34, v80
                                        ; implicit-def: $vgpr80_vgpr81
	v_cmpx_ne_u32_e32 0, v87
	s_xor_b32 s10, exec_lo, s10
; %bb.1945:                             ;   in Loop: Header=BB2_1899 Depth=2
	s_delay_alu instid0(VALU_DEP_2) | instskip(SKIP_1) | instid1(VALU_DEP_1)
	v_cmp_lt_u64_e32 vcc_lo, 0xffffff, v[34:35]
	v_add_nc_u32_e32 v80, 7, v83
	v_cndmask_b32_e32 v82, v87, v80, vcc_lo
	v_cndmask_b32_e64 v80, 0, 1, vcc_lo
	s_delay_alu instid0(VALU_DEP_1)
	v_lshrrev_b64 v[80:81], v80, v[34:35]
; %bb.1946:                             ;   in Loop: Header=BB2_1899 Depth=2
	s_and_not1_saveexec_b32 s10, s10
; %bb.1947:                             ;   in Loop: Header=BB2_1899 Depth=2
	v_mov_b64_e32 v[80:81], v[34:35]
	v_bfe_u32 v82, v34, 23, 1
; %bb.1948:                             ;   in Loop: Header=BB2_1899 Depth=2
	s_or_b32 exec_lo, exec_lo, s10
	s_delay_alu instid0(VALU_DEP_2) | instskip(NEXT) | instid1(VALU_DEP_2)
	v_lshrrev_b64 v[80:81], 20, v[80:81]
	v_cmp_gt_i32_e32 vcc_lo, 16, v82
	v_cmp_ne_u32_e64 s10, 0, v82
                                        ; implicit-def: $vgpr119
	s_delay_alu instid0(VALU_DEP_3) | instskip(NEXT) | instid1(VALU_DEP_1)
	v_dual_cndmask_b32 v81, 0, v81 :: v_dual_cndmask_b32 v80, 7, v80
	v_cmp_ne_u64_e32 vcc_lo, 0, v[80:81]
	s_or_b32 s10, s10, vcc_lo
	s_delay_alu instid0(SALU_CYCLE_1) | instskip(NEXT) | instid1(SALU_CYCLE_1)
	s_and_saveexec_b32 s42, s10
	s_xor_b32 s10, exec_lo, s42
; %bb.1949:                             ;   in Loop: Header=BB2_1899 Depth=2
	v_min_i32_e32 v34, 15, v82
	s_delay_alu instid0(VALU_DEP_1) | instskip(NEXT) | instid1(VALU_DEP_1)
	v_lshl_or_b32 v34, v34, 3, v86
                                        ; implicit-def: $vgpr86
	v_and_or_b32 v119, v80, 7, v34
; %bb.1950:                             ;   in Loop: Header=BB2_1899 Depth=2
	s_and_not1_saveexec_b32 s10, s10
; %bb.1951:                             ;   in Loop: Header=BB2_1899 Depth=2
	v_mov_b32_e32 v119, v86
; %bb.1952:                             ;   in Loop: Header=BB2_1899 Depth=2
	s_or_b32 exec_lo, exec_lo, s10
.LBB2_1953:                             ;   in Loop: Header=BB2_1899 Depth=2
	s_delay_alu instid0(SALU_CYCLE_1)
	s_or_b32 exec_lo, exec_lo, s41
                                        ; implicit-def: $vgpr86
.LBB2_1954:                             ;   in Loop: Header=BB2_1899 Depth=2
	s_and_not1_saveexec_b32 s10, s40
; %bb.1955:                             ;   in Loop: Header=BB2_1899 Depth=2
	v_or_b32_e32 v119, 0x7e, v86
; %bb.1956:                             ;   in Loop: Header=BB2_1899 Depth=2
	s_or_b32 exec_lo, exec_lo, s10
                                        ; implicit-def: $vgpr81
.LBB2_1957:                             ;   in Loop: Header=BB2_1899 Depth=2
	s_and_not1_saveexec_b32 s10, s11
; %bb.1958:                             ;   in Loop: Header=BB2_1899 Depth=2
	v_or_b32_e32 v119, 0x7f, v81
; %bb.1959:                             ;   in Loop: Header=BB2_1899 Depth=2
	s_or_b32 exec_lo, exec_lo, s10
	flat_load_u8 v80, v[10:11] offset:64 th:TH_LOAD_NT
	v_mov_b32_e32 v34, 0
	s_mov_b32 s10, exec_lo
	s_wait_loadcnt_dscnt 0x0
	v_cmpx_ne_u16_e32 0, v80
	s_cbranch_execz .LBB2_1967
; %bb.1960:                             ;   in Loop: Header=BB2_1899 Depth=2
	v_bfrev_b32_e32 v34, 1
	s_mov_b32 s11, exec_lo
	v_cmpx_ne_u16_e32 0x80, v80
	s_cbranch_execz .LBB2_1966
; %bb.1961:                             ;   in Loop: Header=BB2_1899 Depth=2
	v_and_b32_e32 v81, 0xffff, v80
	v_mov_b32_e32 v34, 0x7f800001
	s_mov_b32 s40, exec_lo
	s_delay_alu instid0(VALU_DEP_2) | instskip(NEXT) | instid1(VALU_DEP_1)
	v_and_b32_e32 v82, 0x7f, v81
	v_cmpx_ne_u32_e32 0x7f, v82
	s_cbranch_execz .LBB2_1965
; %bb.1962:                             ;   in Loop: Header=BB2_1899 Depth=2
	v_dual_lshrrev_b32 v81, 3, v82 :: v_dual_bitop2_b32 v34, 7, v81 bitop3:0x40
	s_mov_b32 s41, exec_lo
	v_cmpx_gt_u32_e32 8, v82
; %bb.1963:                             ;   in Loop: Header=BB2_1899 Depth=2
	s_delay_alu instid0(VALU_DEP_2) | instskip(NEXT) | instid1(VALU_DEP_1)
	v_clz_i32_u32_e32 v81, v34
	v_min_u32_e32 v81, 32, v81
	s_delay_alu instid0(VALU_DEP_1) | instskip(NEXT) | instid1(VALU_DEP_1)
	v_subrev_nc_u32_e32 v82, 28, v81
	v_lshlrev_b64_e32 v[82:83], v82, v[34:35]
	s_delay_alu instid0(VALU_DEP_1)
	v_dual_sub_nc_u32 v81, 29, v81 :: v_dual_bitop2_b32 v34, 7, v82 bitop3:0x40
; %bb.1964:                             ;   in Loop: Header=BB2_1899 Depth=2
	s_or_b32 exec_lo, exec_lo, s41
	s_delay_alu instid0(VALU_DEP_1) | instskip(NEXT) | instid1(VALU_DEP_2)
	v_dual_lshlrev_b32 v80, 24, v80 :: v_dual_lshlrev_b32 v34, 20, v34
	v_lshl_add_u32 v81, v81, 23, 0x3c000000
	s_delay_alu instid0(VALU_DEP_2) | instskip(NEXT) | instid1(VALU_DEP_1)
	v_and_b32_e32 v80, 0x80000000, v80
	v_or3_b32 v34, v34, v80, v81
.LBB2_1965:                             ;   in Loop: Header=BB2_1899 Depth=2
	s_or_b32 exec_lo, exec_lo, s40
.LBB2_1966:                             ;   in Loop: Header=BB2_1899 Depth=2
	s_delay_alu instid0(SALU_CYCLE_1)
	s_or_b32 exec_lo, exec_lo, s11
.LBB2_1967:                             ;   in Loop: Header=BB2_1899 Depth=2
	s_delay_alu instid0(SALU_CYCLE_1) | instskip(NEXT) | instid1(VALU_DEP_1)
	s_or_b32 exec_lo, exec_lo, s10
	v_mul_f32_e32 v80, s29, v34
                                        ; implicit-def: $vgpr101
	s_mov_b32 s10, exec_lo
	s_delay_alu instid0(VALU_DEP_1) | instskip(SKIP_1) | instid1(VALU_DEP_2)
	v_and_b32_e32 v34, 0x7f800000, v80
	v_lshrrev_b32_e32 v81, 24, v80
	v_cmpx_ne_u64_e32 0x7f800000, v[34:35]
	s_xor_b32 s11, exec_lo, s10
	s_cbranch_execz .LBB2_1985
; %bb.1968:                             ;   in Loop: Header=BB2_1899 Depth=2
	v_and_b32_e32 v34, 0x7fffffff, v80
	v_and_b32_e32 v86, 0x80, v81
                                        ; implicit-def: $vgpr101
	s_mov_b32 s10, exec_lo
	s_delay_alu instid0(VALU_DEP_2)
	v_cmpx_gt_u64_e32 0x43e00001, v[34:35]
	s_xor_b32 s40, exec_lo, s10
	s_cbranch_execz .LBB2_1982
; %bb.1969:                             ;   in Loop: Header=BB2_1899 Depth=2
	v_mov_b32_e32 v101, 0
	s_mov_b32 s41, exec_lo
	v_cmpx_ne_u32_e32 0, v80
	s_cbranch_execz .LBB2_1981
; %bb.1970:                             ;   in Loop: Header=BB2_1899 Depth=2
	v_bfe_u32 v87, v80, 23, 8
	s_delay_alu instid0(VALU_DEP_1) | instskip(SKIP_1) | instid1(VALU_DEP_2)
	v_sub_nc_u32_e32 v34, 0x79, v87
	v_cmp_gt_u32_e32 vcc_lo, 0x7a, v87
	v_cndmask_b32_e32 v34, 0, v34, vcc_lo
	v_cmp_eq_u32_e32 vcc_lo, 0, v87
	s_delay_alu instid0(VALU_DEP_2) | instskip(SKIP_1) | instid1(VALU_DEP_2)
	v_cndmask_b32_e64 v97, v34, 0x78, vcc_lo
	v_and_b32_e32 v34, 0x7fffff, v80
	v_add_nc_u32_e32 v80, 20, v97
	s_delay_alu instid0(VALU_DEP_2) | instskip(SKIP_1) | instid1(VALU_DEP_3)
	v_or_b32_e32 v82, 0x800000, v34
	v_add_nc_u32_e32 v83, 19, v97
	v_lshlrev_b64_e64 v[80:81], v80, -1
	s_delay_alu instid0(VALU_DEP_3) | instskip(NEXT) | instid1(VALU_DEP_3)
	v_cndmask_b32_e32 v34, v82, v34, vcc_lo
	v_lshlrev_b64_e64 v[82:83], v83, 1
	s_delay_alu instid0(VALU_DEP_3) | instskip(NEXT) | instid1(VALU_DEP_3)
	v_bfi_b32 v99, v81, 0, 0
	v_bfi_b32 v98, v80, 0, v34
	v_lshrrev_b64 v[80:81], v97, v[34:35]
	s_delay_alu instid0(VALU_DEP_2) | instskip(NEXT) | instid1(VALU_DEP_2)
	v_cmp_eq_u64_e64 s10, v[98:99], v[82:83]
	v_mov_b64_e32 v[82:83], v[80:81]
	s_and_saveexec_b32 s42, s10
; %bb.1971:                             ;   in Loop: Header=BB2_1899 Depth=2
	v_bfe_u32 v34, v80, 20, 1
	s_delay_alu instid0(VALU_DEP_1) | instskip(NEXT) | instid1(VALU_DEP_1)
	v_add_nc_u64_e32 v[82:83], v[80:81], v[34:35]
	v_add_nc_u64_e32 v[82:83], -1, v[82:83]
; %bb.1972:                             ;   in Loop: Header=BB2_1899 Depth=2
	s_or_b32 exec_lo, exec_lo, s42
	v_add_nc_u32_e32 v34, 0xffffff81, v87
	v_lshrrev_b32_e32 v81, 23, v80
	s_mov_b32 s10, exec_lo
	s_delay_alu instid0(VALU_DEP_2) | instskip(NEXT) | instid1(VALU_DEP_1)
	v_cndmask_b32_e64 v34, v34, 0xffffff82, vcc_lo
	v_add3_u32 v83, v97, v34, v81
	v_and_b32_e32 v34, 0xfffff, v82
                                        ; implicit-def: $vgpr82
	s_delay_alu instid0(VALU_DEP_1) | instskip(NEXT) | instid1(VALU_DEP_1)
	v_dual_add_nc_u32 v87, 6, v83 :: v_dual_add_nc_u32 v34, v34, v80
                                        ; implicit-def: $vgpr80_vgpr81
	v_cmpx_ne_u32_e32 0, v87
	s_xor_b32 s10, exec_lo, s10
; %bb.1973:                             ;   in Loop: Header=BB2_1899 Depth=2
	s_delay_alu instid0(VALU_DEP_2) | instskip(SKIP_1) | instid1(VALU_DEP_1)
	v_cmp_lt_u64_e32 vcc_lo, 0xffffff, v[34:35]
	v_add_nc_u32_e32 v80, 7, v83
	v_cndmask_b32_e32 v82, v87, v80, vcc_lo
	v_cndmask_b32_e64 v80, 0, 1, vcc_lo
	s_delay_alu instid0(VALU_DEP_1)
	v_lshrrev_b64 v[80:81], v80, v[34:35]
; %bb.1974:                             ;   in Loop: Header=BB2_1899 Depth=2
	s_and_not1_saveexec_b32 s10, s10
; %bb.1975:                             ;   in Loop: Header=BB2_1899 Depth=2
	v_mov_b64_e32 v[80:81], v[34:35]
	v_bfe_u32 v82, v34, 23, 1
; %bb.1976:                             ;   in Loop: Header=BB2_1899 Depth=2
	s_or_b32 exec_lo, exec_lo, s10
	s_delay_alu instid0(VALU_DEP_2) | instskip(NEXT) | instid1(VALU_DEP_2)
	v_lshrrev_b64 v[80:81], 20, v[80:81]
	v_cmp_gt_i32_e32 vcc_lo, 16, v82
	v_cmp_ne_u32_e64 s10, 0, v82
                                        ; implicit-def: $vgpr101
	s_delay_alu instid0(VALU_DEP_3) | instskip(NEXT) | instid1(VALU_DEP_1)
	v_dual_cndmask_b32 v81, 0, v81 :: v_dual_cndmask_b32 v80, 7, v80
	v_cmp_ne_u64_e32 vcc_lo, 0, v[80:81]
	s_or_b32 s10, s10, vcc_lo
	s_delay_alu instid0(SALU_CYCLE_1) | instskip(NEXT) | instid1(SALU_CYCLE_1)
	s_and_saveexec_b32 s42, s10
	s_xor_b32 s10, exec_lo, s42
; %bb.1977:                             ;   in Loop: Header=BB2_1899 Depth=2
	v_min_i32_e32 v34, 15, v82
	s_delay_alu instid0(VALU_DEP_1) | instskip(NEXT) | instid1(VALU_DEP_1)
	v_lshl_or_b32 v34, v34, 3, v86
                                        ; implicit-def: $vgpr86
	v_and_or_b32 v101, v80, 7, v34
; %bb.1978:                             ;   in Loop: Header=BB2_1899 Depth=2
	s_and_not1_saveexec_b32 s10, s10
; %bb.1979:                             ;   in Loop: Header=BB2_1899 Depth=2
	v_mov_b32_e32 v101, v86
; %bb.1980:                             ;   in Loop: Header=BB2_1899 Depth=2
	s_or_b32 exec_lo, exec_lo, s10
.LBB2_1981:                             ;   in Loop: Header=BB2_1899 Depth=2
	s_delay_alu instid0(SALU_CYCLE_1)
	s_or_b32 exec_lo, exec_lo, s41
                                        ; implicit-def: $vgpr86
.LBB2_1982:                             ;   in Loop: Header=BB2_1899 Depth=2
	s_and_not1_saveexec_b32 s10, s40
; %bb.1983:                             ;   in Loop: Header=BB2_1899 Depth=2
	v_or_b32_e32 v101, 0x7e, v86
; %bb.1984:                             ;   in Loop: Header=BB2_1899 Depth=2
	s_or_b32 exec_lo, exec_lo, s10
                                        ; implicit-def: $vgpr81
.LBB2_1985:                             ;   in Loop: Header=BB2_1899 Depth=2
	s_and_not1_saveexec_b32 s10, s11
; %bb.1986:                             ;   in Loop: Header=BB2_1899 Depth=2
	v_or_b32_e32 v101, 0x7f, v81
; %bb.1987:                             ;   in Loop: Header=BB2_1899 Depth=2
	s_or_b32 exec_lo, exec_lo, s10
	flat_load_u8 v80, v[10:11] offset:96 th:TH_LOAD_NT
	v_mov_b32_e32 v34, 0
	s_mov_b32 s10, exec_lo
	s_wait_loadcnt_dscnt 0x0
	v_cmpx_ne_u16_e32 0, v80
	s_cbranch_execz .LBB2_1995
; %bb.1988:                             ;   in Loop: Header=BB2_1899 Depth=2
	v_bfrev_b32_e32 v34, 1
	s_mov_b32 s11, exec_lo
	v_cmpx_ne_u16_e32 0x80, v80
	s_cbranch_execz .LBB2_1994
; %bb.1989:                             ;   in Loop: Header=BB2_1899 Depth=2
	v_and_b32_e32 v81, 0xffff, v80
	v_mov_b32_e32 v34, 0x7f800001
	s_mov_b32 s40, exec_lo
	s_delay_alu instid0(VALU_DEP_2) | instskip(NEXT) | instid1(VALU_DEP_1)
	v_and_b32_e32 v82, 0x7f, v81
	v_cmpx_ne_u32_e32 0x7f, v82
	s_cbranch_execz .LBB2_1993
; %bb.1990:                             ;   in Loop: Header=BB2_1899 Depth=2
	v_dual_lshrrev_b32 v81, 3, v82 :: v_dual_bitop2_b32 v34, 7, v81 bitop3:0x40
	s_mov_b32 s41, exec_lo
	v_cmpx_gt_u32_e32 8, v82
; %bb.1991:                             ;   in Loop: Header=BB2_1899 Depth=2
	s_delay_alu instid0(VALU_DEP_2) | instskip(NEXT) | instid1(VALU_DEP_1)
	v_clz_i32_u32_e32 v81, v34
	v_min_u32_e32 v81, 32, v81
	s_delay_alu instid0(VALU_DEP_1) | instskip(NEXT) | instid1(VALU_DEP_1)
	v_subrev_nc_u32_e32 v82, 28, v81
	v_lshlrev_b64_e32 v[82:83], v82, v[34:35]
	s_delay_alu instid0(VALU_DEP_1)
	v_dual_sub_nc_u32 v81, 29, v81 :: v_dual_bitop2_b32 v34, 7, v82 bitop3:0x40
; %bb.1992:                             ;   in Loop: Header=BB2_1899 Depth=2
	s_or_b32 exec_lo, exec_lo, s41
	s_delay_alu instid0(VALU_DEP_1) | instskip(NEXT) | instid1(VALU_DEP_2)
	v_dual_lshlrev_b32 v80, 24, v80 :: v_dual_lshlrev_b32 v34, 20, v34
	v_lshl_add_u32 v81, v81, 23, 0x3c000000
	s_delay_alu instid0(VALU_DEP_2) | instskip(NEXT) | instid1(VALU_DEP_1)
	v_and_b32_e32 v80, 0x80000000, v80
	v_or3_b32 v34, v34, v80, v81
.LBB2_1993:                             ;   in Loop: Header=BB2_1899 Depth=2
	s_or_b32 exec_lo, exec_lo, s40
.LBB2_1994:                             ;   in Loop: Header=BB2_1899 Depth=2
	s_delay_alu instid0(SALU_CYCLE_1)
	s_or_b32 exec_lo, exec_lo, s11
.LBB2_1995:                             ;   in Loop: Header=BB2_1899 Depth=2
	s_delay_alu instid0(SALU_CYCLE_1) | instskip(NEXT) | instid1(VALU_DEP_1)
	s_or_b32 exec_lo, exec_lo, s10
	v_mul_f32_e32 v80, s29, v34
                                        ; implicit-def: $vgpr100
	s_mov_b32 s10, exec_lo
	s_delay_alu instid0(VALU_DEP_1) | instskip(SKIP_1) | instid1(VALU_DEP_2)
	v_and_b32_e32 v34, 0x7f800000, v80
	v_lshrrev_b32_e32 v81, 24, v80
	v_cmpx_ne_u64_e32 0x7f800000, v[34:35]
	s_xor_b32 s11, exec_lo, s10
	s_cbranch_execz .LBB2_2013
; %bb.1996:                             ;   in Loop: Header=BB2_1899 Depth=2
	v_and_b32_e32 v34, 0x7fffffff, v80
	v_and_b32_e32 v86, 0x80, v81
                                        ; implicit-def: $vgpr100
	s_mov_b32 s10, exec_lo
	s_delay_alu instid0(VALU_DEP_2)
	v_cmpx_gt_u64_e32 0x43e00001, v[34:35]
	s_xor_b32 s40, exec_lo, s10
	s_cbranch_execz .LBB2_2010
; %bb.1997:                             ;   in Loop: Header=BB2_1899 Depth=2
	v_mov_b32_e32 v100, 0
	s_mov_b32 s41, exec_lo
	v_cmpx_ne_u32_e32 0, v80
	s_cbranch_execz .LBB2_2009
; %bb.1998:                             ;   in Loop: Header=BB2_1899 Depth=2
	v_bfe_u32 v87, v80, 23, 8
	s_delay_alu instid0(VALU_DEP_1) | instskip(SKIP_1) | instid1(VALU_DEP_2)
	v_sub_nc_u32_e32 v34, 0x79, v87
	v_cmp_gt_u32_e32 vcc_lo, 0x7a, v87
	v_cndmask_b32_e32 v34, 0, v34, vcc_lo
	v_cmp_eq_u32_e32 vcc_lo, 0, v87
	s_delay_alu instid0(VALU_DEP_2) | instskip(SKIP_1) | instid1(VALU_DEP_2)
	v_cndmask_b32_e64 v97, v34, 0x78, vcc_lo
	v_and_b32_e32 v34, 0x7fffff, v80
	v_add_nc_u32_e32 v80, 20, v97
	s_delay_alu instid0(VALU_DEP_2) | instskip(SKIP_1) | instid1(VALU_DEP_3)
	v_or_b32_e32 v82, 0x800000, v34
	v_add_nc_u32_e32 v83, 19, v97
	v_lshlrev_b64_e64 v[80:81], v80, -1
	s_delay_alu instid0(VALU_DEP_3) | instskip(NEXT) | instid1(VALU_DEP_3)
	v_cndmask_b32_e32 v34, v82, v34, vcc_lo
	v_lshlrev_b64_e64 v[82:83], v83, 1
	s_delay_alu instid0(VALU_DEP_3) | instskip(NEXT) | instid1(VALU_DEP_3)
	v_bfi_b32 v99, v81, 0, 0
	v_bfi_b32 v98, v80, 0, v34
	v_lshrrev_b64 v[80:81], v97, v[34:35]
	s_delay_alu instid0(VALU_DEP_2) | instskip(NEXT) | instid1(VALU_DEP_2)
	v_cmp_eq_u64_e64 s10, v[98:99], v[82:83]
	v_mov_b64_e32 v[82:83], v[80:81]
	s_and_saveexec_b32 s42, s10
; %bb.1999:                             ;   in Loop: Header=BB2_1899 Depth=2
	v_bfe_u32 v34, v80, 20, 1
	s_delay_alu instid0(VALU_DEP_1) | instskip(NEXT) | instid1(VALU_DEP_1)
	v_add_nc_u64_e32 v[82:83], v[80:81], v[34:35]
	v_add_nc_u64_e32 v[82:83], -1, v[82:83]
; %bb.2000:                             ;   in Loop: Header=BB2_1899 Depth=2
	s_or_b32 exec_lo, exec_lo, s42
	v_add_nc_u32_e32 v34, 0xffffff81, v87
	v_lshrrev_b32_e32 v81, 23, v80
	s_mov_b32 s10, exec_lo
	s_delay_alu instid0(VALU_DEP_2) | instskip(NEXT) | instid1(VALU_DEP_1)
	v_cndmask_b32_e64 v34, v34, 0xffffff82, vcc_lo
	v_add3_u32 v83, v97, v34, v81
	v_and_b32_e32 v34, 0xfffff, v82
                                        ; implicit-def: $vgpr82
	s_delay_alu instid0(VALU_DEP_1) | instskip(NEXT) | instid1(VALU_DEP_1)
	v_dual_add_nc_u32 v87, 6, v83 :: v_dual_add_nc_u32 v34, v34, v80
                                        ; implicit-def: $vgpr80_vgpr81
	v_cmpx_ne_u32_e32 0, v87
	s_xor_b32 s10, exec_lo, s10
; %bb.2001:                             ;   in Loop: Header=BB2_1899 Depth=2
	s_delay_alu instid0(VALU_DEP_2) | instskip(SKIP_1) | instid1(VALU_DEP_1)
	v_cmp_lt_u64_e32 vcc_lo, 0xffffff, v[34:35]
	v_add_nc_u32_e32 v80, 7, v83
	v_cndmask_b32_e32 v82, v87, v80, vcc_lo
	v_cndmask_b32_e64 v80, 0, 1, vcc_lo
	s_delay_alu instid0(VALU_DEP_1)
	v_lshrrev_b64 v[80:81], v80, v[34:35]
; %bb.2002:                             ;   in Loop: Header=BB2_1899 Depth=2
	s_and_not1_saveexec_b32 s10, s10
; %bb.2003:                             ;   in Loop: Header=BB2_1899 Depth=2
	v_mov_b64_e32 v[80:81], v[34:35]
	v_bfe_u32 v82, v34, 23, 1
; %bb.2004:                             ;   in Loop: Header=BB2_1899 Depth=2
	s_or_b32 exec_lo, exec_lo, s10
	s_delay_alu instid0(VALU_DEP_2) | instskip(NEXT) | instid1(VALU_DEP_2)
	v_lshrrev_b64 v[80:81], 20, v[80:81]
	v_cmp_gt_i32_e32 vcc_lo, 16, v82
	v_cmp_ne_u32_e64 s10, 0, v82
                                        ; implicit-def: $vgpr100
	s_delay_alu instid0(VALU_DEP_3) | instskip(NEXT) | instid1(VALU_DEP_1)
	v_dual_cndmask_b32 v81, 0, v81 :: v_dual_cndmask_b32 v80, 7, v80
	v_cmp_ne_u64_e32 vcc_lo, 0, v[80:81]
	s_or_b32 s10, s10, vcc_lo
	s_delay_alu instid0(SALU_CYCLE_1) | instskip(NEXT) | instid1(SALU_CYCLE_1)
	s_and_saveexec_b32 s42, s10
	s_xor_b32 s10, exec_lo, s42
; %bb.2005:                             ;   in Loop: Header=BB2_1899 Depth=2
	v_min_i32_e32 v34, 15, v82
	s_delay_alu instid0(VALU_DEP_1) | instskip(NEXT) | instid1(VALU_DEP_1)
	v_lshl_or_b32 v34, v34, 3, v86
                                        ; implicit-def: $vgpr86
	v_and_or_b32 v100, v80, 7, v34
; %bb.2006:                             ;   in Loop: Header=BB2_1899 Depth=2
	s_and_not1_saveexec_b32 s10, s10
; %bb.2007:                             ;   in Loop: Header=BB2_1899 Depth=2
	v_mov_b32_e32 v100, v86
; %bb.2008:                             ;   in Loop: Header=BB2_1899 Depth=2
	s_or_b32 exec_lo, exec_lo, s10
.LBB2_2009:                             ;   in Loop: Header=BB2_1899 Depth=2
	s_delay_alu instid0(SALU_CYCLE_1)
	s_or_b32 exec_lo, exec_lo, s41
                                        ; implicit-def: $vgpr86
.LBB2_2010:                             ;   in Loop: Header=BB2_1899 Depth=2
	s_and_not1_saveexec_b32 s10, s40
; %bb.2011:                             ;   in Loop: Header=BB2_1899 Depth=2
	v_or_b32_e32 v100, 0x7e, v86
; %bb.2012:                             ;   in Loop: Header=BB2_1899 Depth=2
	s_or_b32 exec_lo, exec_lo, s10
                                        ; implicit-def: $vgpr81
.LBB2_2013:                             ;   in Loop: Header=BB2_1899 Depth=2
	s_and_not1_saveexec_b32 s10, s11
; %bb.2014:                             ;   in Loop: Header=BB2_1899 Depth=2
	v_or_b32_e32 v100, 0x7f, v81
; %bb.2015:                             ;   in Loop: Header=BB2_1899 Depth=2
	s_or_b32 exec_lo, exec_lo, s10
	flat_load_u8 v80, v[10:11] offset:128 th:TH_LOAD_NT
	v_mov_b32_e32 v34, 0
	s_mov_b32 s10, exec_lo
	s_wait_loadcnt_dscnt 0x0
	v_cmpx_ne_u16_e32 0, v80
	s_cbranch_execz .LBB2_2023
; %bb.2016:                             ;   in Loop: Header=BB2_1899 Depth=2
	v_bfrev_b32_e32 v34, 1
	s_mov_b32 s11, exec_lo
	v_cmpx_ne_u16_e32 0x80, v80
	s_cbranch_execz .LBB2_2022
; %bb.2017:                             ;   in Loop: Header=BB2_1899 Depth=2
	v_and_b32_e32 v81, 0xffff, v80
	v_mov_b32_e32 v34, 0x7f800001
	s_mov_b32 s40, exec_lo
	s_delay_alu instid0(VALU_DEP_2) | instskip(NEXT) | instid1(VALU_DEP_1)
	v_and_b32_e32 v82, 0x7f, v81
	v_cmpx_ne_u32_e32 0x7f, v82
	s_cbranch_execz .LBB2_2021
; %bb.2018:                             ;   in Loop: Header=BB2_1899 Depth=2
	v_dual_lshrrev_b32 v81, 3, v82 :: v_dual_bitop2_b32 v34, 7, v81 bitop3:0x40
	s_mov_b32 s41, exec_lo
	v_cmpx_gt_u32_e32 8, v82
; %bb.2019:                             ;   in Loop: Header=BB2_1899 Depth=2
	s_delay_alu instid0(VALU_DEP_2) | instskip(NEXT) | instid1(VALU_DEP_1)
	v_clz_i32_u32_e32 v81, v34
	v_min_u32_e32 v81, 32, v81
	s_delay_alu instid0(VALU_DEP_1) | instskip(NEXT) | instid1(VALU_DEP_1)
	v_subrev_nc_u32_e32 v82, 28, v81
	v_lshlrev_b64_e32 v[82:83], v82, v[34:35]
	s_delay_alu instid0(VALU_DEP_1)
	v_dual_sub_nc_u32 v81, 29, v81 :: v_dual_bitop2_b32 v34, 7, v82 bitop3:0x40
; %bb.2020:                             ;   in Loop: Header=BB2_1899 Depth=2
	s_or_b32 exec_lo, exec_lo, s41
	s_delay_alu instid0(VALU_DEP_1) | instskip(NEXT) | instid1(VALU_DEP_2)
	v_dual_lshlrev_b32 v80, 24, v80 :: v_dual_lshlrev_b32 v34, 20, v34
	v_lshl_add_u32 v81, v81, 23, 0x3c000000
	s_delay_alu instid0(VALU_DEP_2) | instskip(NEXT) | instid1(VALU_DEP_1)
	v_and_b32_e32 v80, 0x80000000, v80
	v_or3_b32 v34, v34, v80, v81
.LBB2_2021:                             ;   in Loop: Header=BB2_1899 Depth=2
	s_or_b32 exec_lo, exec_lo, s40
.LBB2_2022:                             ;   in Loop: Header=BB2_1899 Depth=2
	s_delay_alu instid0(SALU_CYCLE_1)
	s_or_b32 exec_lo, exec_lo, s11
.LBB2_2023:                             ;   in Loop: Header=BB2_1899 Depth=2
	s_delay_alu instid0(SALU_CYCLE_1) | instskip(NEXT) | instid1(VALU_DEP_1)
	s_or_b32 exec_lo, exec_lo, s10
	v_mul_f32_e32 v80, s29, v34
                                        ; implicit-def: $vgpr99
	s_mov_b32 s10, exec_lo
	s_delay_alu instid0(VALU_DEP_1) | instskip(SKIP_1) | instid1(VALU_DEP_2)
	v_and_b32_e32 v34, 0x7f800000, v80
	v_lshrrev_b32_e32 v81, 24, v80
	v_cmpx_ne_u64_e32 0x7f800000, v[34:35]
	s_xor_b32 s11, exec_lo, s10
	s_cbranch_execz .LBB2_2041
; %bb.2024:                             ;   in Loop: Header=BB2_1899 Depth=2
	v_and_b32_e32 v34, 0x7fffffff, v80
	v_and_b32_e32 v86, 0x80, v81
                                        ; implicit-def: $vgpr99
	s_mov_b32 s10, exec_lo
	s_delay_alu instid0(VALU_DEP_2)
	v_cmpx_gt_u64_e32 0x43e00001, v[34:35]
	s_xor_b32 s40, exec_lo, s10
	s_cbranch_execz .LBB2_2038
; %bb.2025:                             ;   in Loop: Header=BB2_1899 Depth=2
	v_mov_b32_e32 v99, 0
	s_mov_b32 s41, exec_lo
	v_cmpx_ne_u32_e32 0, v80
	s_cbranch_execz .LBB2_2037
; %bb.2026:                             ;   in Loop: Header=BB2_1899 Depth=2
	v_bfe_u32 v87, v80, 23, 8
	s_delay_alu instid0(VALU_DEP_1) | instskip(SKIP_1) | instid1(VALU_DEP_2)
	v_sub_nc_u32_e32 v34, 0x79, v87
	v_cmp_gt_u32_e32 vcc_lo, 0x7a, v87
	v_cndmask_b32_e32 v34, 0, v34, vcc_lo
	v_cmp_eq_u32_e32 vcc_lo, 0, v87
	s_delay_alu instid0(VALU_DEP_2) | instskip(SKIP_1) | instid1(VALU_DEP_2)
	v_cndmask_b32_e64 v97, v34, 0x78, vcc_lo
	v_and_b32_e32 v34, 0x7fffff, v80
	v_add_nc_u32_e32 v80, 20, v97
	s_delay_alu instid0(VALU_DEP_2) | instskip(SKIP_1) | instid1(VALU_DEP_3)
	v_or_b32_e32 v82, 0x800000, v34
	v_add_nc_u32_e32 v83, 19, v97
	v_lshlrev_b64_e64 v[80:81], v80, -1
	s_delay_alu instid0(VALU_DEP_3) | instskip(NEXT) | instid1(VALU_DEP_3)
	v_cndmask_b32_e32 v34, v82, v34, vcc_lo
	v_lshlrev_b64_e64 v[82:83], v83, 1
	s_delay_alu instid0(VALU_DEP_3) | instskip(NEXT) | instid1(VALU_DEP_3)
	v_bfi_b32 v99, v81, 0, 0
	v_bfi_b32 v98, v80, 0, v34
	v_lshrrev_b64 v[80:81], v97, v[34:35]
	s_delay_alu instid0(VALU_DEP_2) | instskip(NEXT) | instid1(VALU_DEP_2)
	v_cmp_eq_u64_e64 s10, v[98:99], v[82:83]
	v_mov_b64_e32 v[82:83], v[80:81]
	s_and_saveexec_b32 s42, s10
; %bb.2027:                             ;   in Loop: Header=BB2_1899 Depth=2
	v_bfe_u32 v34, v80, 20, 1
	s_delay_alu instid0(VALU_DEP_1) | instskip(NEXT) | instid1(VALU_DEP_1)
	v_add_nc_u64_e32 v[82:83], v[80:81], v[34:35]
	v_add_nc_u64_e32 v[82:83], -1, v[82:83]
; %bb.2028:                             ;   in Loop: Header=BB2_1899 Depth=2
	s_or_b32 exec_lo, exec_lo, s42
	v_add_nc_u32_e32 v34, 0xffffff81, v87
	v_lshrrev_b32_e32 v81, 23, v80
	s_mov_b32 s10, exec_lo
	s_delay_alu instid0(VALU_DEP_2) | instskip(NEXT) | instid1(VALU_DEP_1)
	v_cndmask_b32_e64 v34, v34, 0xffffff82, vcc_lo
	v_add3_u32 v83, v97, v34, v81
	v_and_b32_e32 v34, 0xfffff, v82
                                        ; implicit-def: $vgpr82
	s_delay_alu instid0(VALU_DEP_1) | instskip(NEXT) | instid1(VALU_DEP_1)
	v_dual_add_nc_u32 v87, 6, v83 :: v_dual_add_nc_u32 v34, v34, v80
                                        ; implicit-def: $vgpr80_vgpr81
	v_cmpx_ne_u32_e32 0, v87
	s_xor_b32 s10, exec_lo, s10
; %bb.2029:                             ;   in Loop: Header=BB2_1899 Depth=2
	s_delay_alu instid0(VALU_DEP_2) | instskip(SKIP_1) | instid1(VALU_DEP_1)
	v_cmp_lt_u64_e32 vcc_lo, 0xffffff, v[34:35]
	v_add_nc_u32_e32 v80, 7, v83
	v_cndmask_b32_e32 v82, v87, v80, vcc_lo
	v_cndmask_b32_e64 v80, 0, 1, vcc_lo
	s_delay_alu instid0(VALU_DEP_1)
	v_lshrrev_b64 v[80:81], v80, v[34:35]
; %bb.2030:                             ;   in Loop: Header=BB2_1899 Depth=2
	s_and_not1_saveexec_b32 s10, s10
; %bb.2031:                             ;   in Loop: Header=BB2_1899 Depth=2
	v_mov_b64_e32 v[80:81], v[34:35]
	v_bfe_u32 v82, v34, 23, 1
; %bb.2032:                             ;   in Loop: Header=BB2_1899 Depth=2
	s_or_b32 exec_lo, exec_lo, s10
	s_delay_alu instid0(VALU_DEP_2) | instskip(NEXT) | instid1(VALU_DEP_2)
	v_lshrrev_b64 v[80:81], 20, v[80:81]
	v_cmp_gt_i32_e32 vcc_lo, 16, v82
	v_cmp_ne_u32_e64 s10, 0, v82
                                        ; implicit-def: $vgpr99
	s_delay_alu instid0(VALU_DEP_3) | instskip(NEXT) | instid1(VALU_DEP_1)
	v_dual_cndmask_b32 v81, 0, v81 :: v_dual_cndmask_b32 v80, 7, v80
	v_cmp_ne_u64_e32 vcc_lo, 0, v[80:81]
	s_or_b32 s10, s10, vcc_lo
	s_delay_alu instid0(SALU_CYCLE_1) | instskip(NEXT) | instid1(SALU_CYCLE_1)
	s_and_saveexec_b32 s42, s10
	s_xor_b32 s10, exec_lo, s42
; %bb.2033:                             ;   in Loop: Header=BB2_1899 Depth=2
	v_min_i32_e32 v34, 15, v82
	s_delay_alu instid0(VALU_DEP_1) | instskip(NEXT) | instid1(VALU_DEP_1)
	v_lshl_or_b32 v34, v34, 3, v86
                                        ; implicit-def: $vgpr86
	v_and_or_b32 v99, v80, 7, v34
; %bb.2034:                             ;   in Loop: Header=BB2_1899 Depth=2
	s_and_not1_saveexec_b32 s10, s10
; %bb.2035:                             ;   in Loop: Header=BB2_1899 Depth=2
	v_mov_b32_e32 v99, v86
; %bb.2036:                             ;   in Loop: Header=BB2_1899 Depth=2
	s_or_b32 exec_lo, exec_lo, s10
.LBB2_2037:                             ;   in Loop: Header=BB2_1899 Depth=2
	s_delay_alu instid0(SALU_CYCLE_1)
	s_or_b32 exec_lo, exec_lo, s41
                                        ; implicit-def: $vgpr86
.LBB2_2038:                             ;   in Loop: Header=BB2_1899 Depth=2
	s_and_not1_saveexec_b32 s10, s40
; %bb.2039:                             ;   in Loop: Header=BB2_1899 Depth=2
	v_or_b32_e32 v99, 0x7e, v86
; %bb.2040:                             ;   in Loop: Header=BB2_1899 Depth=2
	s_or_b32 exec_lo, exec_lo, s10
                                        ; implicit-def: $vgpr81
.LBB2_2041:                             ;   in Loop: Header=BB2_1899 Depth=2
	s_and_not1_saveexec_b32 s10, s11
; %bb.2042:                             ;   in Loop: Header=BB2_1899 Depth=2
	v_or_b32_e32 v99, 0x7f, v81
; %bb.2043:                             ;   in Loop: Header=BB2_1899 Depth=2
	s_or_b32 exec_lo, exec_lo, s10
	flat_load_u8 v80, v[10:11] offset:160 th:TH_LOAD_NT
	v_mov_b32_e32 v34, 0
	s_mov_b32 s10, exec_lo
	s_wait_loadcnt_dscnt 0x0
	v_cmpx_ne_u16_e32 0, v80
	s_cbranch_execz .LBB2_2051
; %bb.2044:                             ;   in Loop: Header=BB2_1899 Depth=2
	v_bfrev_b32_e32 v34, 1
	s_mov_b32 s11, exec_lo
	v_cmpx_ne_u16_e32 0x80, v80
	s_cbranch_execz .LBB2_2050
; %bb.2045:                             ;   in Loop: Header=BB2_1899 Depth=2
	v_and_b32_e32 v81, 0xffff, v80
	v_mov_b32_e32 v34, 0x7f800001
	s_mov_b32 s40, exec_lo
	s_delay_alu instid0(VALU_DEP_2) | instskip(NEXT) | instid1(VALU_DEP_1)
	v_and_b32_e32 v82, 0x7f, v81
	v_cmpx_ne_u32_e32 0x7f, v82
	s_cbranch_execz .LBB2_2049
; %bb.2046:                             ;   in Loop: Header=BB2_1899 Depth=2
	v_dual_lshrrev_b32 v81, 3, v82 :: v_dual_bitop2_b32 v34, 7, v81 bitop3:0x40
	s_mov_b32 s41, exec_lo
	v_cmpx_gt_u32_e32 8, v82
; %bb.2047:                             ;   in Loop: Header=BB2_1899 Depth=2
	s_delay_alu instid0(VALU_DEP_2) | instskip(NEXT) | instid1(VALU_DEP_1)
	v_clz_i32_u32_e32 v81, v34
	v_min_u32_e32 v81, 32, v81
	s_delay_alu instid0(VALU_DEP_1) | instskip(NEXT) | instid1(VALU_DEP_1)
	v_subrev_nc_u32_e32 v82, 28, v81
	v_lshlrev_b64_e32 v[82:83], v82, v[34:35]
	s_delay_alu instid0(VALU_DEP_1)
	v_dual_sub_nc_u32 v81, 29, v81 :: v_dual_bitop2_b32 v34, 7, v82 bitop3:0x40
; %bb.2048:                             ;   in Loop: Header=BB2_1899 Depth=2
	s_or_b32 exec_lo, exec_lo, s41
	s_delay_alu instid0(VALU_DEP_1) | instskip(NEXT) | instid1(VALU_DEP_2)
	v_dual_lshlrev_b32 v80, 24, v80 :: v_dual_lshlrev_b32 v34, 20, v34
	v_lshl_add_u32 v81, v81, 23, 0x3c000000
	s_delay_alu instid0(VALU_DEP_2) | instskip(NEXT) | instid1(VALU_DEP_1)
	v_and_b32_e32 v80, 0x80000000, v80
	v_or3_b32 v34, v34, v80, v81
.LBB2_2049:                             ;   in Loop: Header=BB2_1899 Depth=2
	s_or_b32 exec_lo, exec_lo, s40
.LBB2_2050:                             ;   in Loop: Header=BB2_1899 Depth=2
	s_delay_alu instid0(SALU_CYCLE_1)
	s_or_b32 exec_lo, exec_lo, s11
.LBB2_2051:                             ;   in Loop: Header=BB2_1899 Depth=2
	s_delay_alu instid0(SALU_CYCLE_1) | instskip(NEXT) | instid1(VALU_DEP_1)
	s_or_b32 exec_lo, exec_lo, s10
	v_mul_f32_e32 v80, s29, v34
                                        ; implicit-def: $vgpr98
	s_mov_b32 s10, exec_lo
	s_delay_alu instid0(VALU_DEP_1) | instskip(SKIP_1) | instid1(VALU_DEP_2)
	v_and_b32_e32 v34, 0x7f800000, v80
	v_lshrrev_b32_e32 v81, 24, v80
	v_cmpx_ne_u64_e32 0x7f800000, v[34:35]
	s_xor_b32 s11, exec_lo, s10
	s_cbranch_execz .LBB2_2069
; %bb.2052:                             ;   in Loop: Header=BB2_1899 Depth=2
	v_and_b32_e32 v34, 0x7fffffff, v80
	v_and_b32_e32 v86, 0x80, v81
                                        ; implicit-def: $vgpr98
	s_mov_b32 s10, exec_lo
	s_delay_alu instid0(VALU_DEP_2)
	v_cmpx_gt_u64_e32 0x43e00001, v[34:35]
	s_xor_b32 s40, exec_lo, s10
	s_cbranch_execz .LBB2_2066
; %bb.2053:                             ;   in Loop: Header=BB2_1899 Depth=2
	v_mov_b32_e32 v98, 0
	s_mov_b32 s41, exec_lo
	v_cmpx_ne_u32_e32 0, v80
	s_cbranch_execz .LBB2_2065
; %bb.2054:                             ;   in Loop: Header=BB2_1899 Depth=2
	v_bfe_u32 v87, v80, 23, 8
	s_delay_alu instid0(VALU_DEP_1) | instskip(SKIP_1) | instid1(VALU_DEP_2)
	v_sub_nc_u32_e32 v34, 0x79, v87
	v_cmp_gt_u32_e32 vcc_lo, 0x7a, v87
	v_cndmask_b32_e32 v34, 0, v34, vcc_lo
	v_cmp_eq_u32_e32 vcc_lo, 0, v87
	s_delay_alu instid0(VALU_DEP_2) | instskip(SKIP_1) | instid1(VALU_DEP_2)
	v_cndmask_b32_e64 v97, v34, 0x78, vcc_lo
	v_and_b32_e32 v34, 0x7fffff, v80
	v_add_nc_u32_e32 v80, 20, v97
	s_delay_alu instid0(VALU_DEP_2) | instskip(SKIP_1) | instid1(VALU_DEP_3)
	v_or_b32_e32 v82, 0x800000, v34
	v_add_nc_u32_e32 v83, 19, v97
	v_lshlrev_b64_e64 v[80:81], v80, -1
	s_delay_alu instid0(VALU_DEP_3) | instskip(NEXT) | instid1(VALU_DEP_3)
	v_cndmask_b32_e32 v34, v82, v34, vcc_lo
	v_lshlrev_b64_e64 v[82:83], v83, 1
	s_delay_alu instid0(VALU_DEP_3) | instskip(NEXT) | instid1(VALU_DEP_3)
	v_bfi_b32 v41, v81, 0, 0
	v_bfi_b32 v40, v80, 0, v34
	v_lshrrev_b64 v[80:81], v97, v[34:35]
	s_delay_alu instid0(VALU_DEP_2) | instskip(NEXT) | instid1(VALU_DEP_2)
	v_cmp_eq_u64_e64 s10, v[40:41], v[82:83]
	v_mov_b64_e32 v[82:83], v[80:81]
	s_and_saveexec_b32 s42, s10
; %bb.2055:                             ;   in Loop: Header=BB2_1899 Depth=2
	v_bfe_u32 v34, v80, 20, 1
	s_delay_alu instid0(VALU_DEP_1) | instskip(NEXT) | instid1(VALU_DEP_1)
	v_add_nc_u64_e32 v[82:83], v[80:81], v[34:35]
	v_add_nc_u64_e32 v[82:83], -1, v[82:83]
; %bb.2056:                             ;   in Loop: Header=BB2_1899 Depth=2
	s_or_b32 exec_lo, exec_lo, s42
	v_add_nc_u32_e32 v34, 0xffffff81, v87
	v_lshrrev_b32_e32 v81, 23, v80
	s_mov_b32 s10, exec_lo
	s_delay_alu instid0(VALU_DEP_2) | instskip(NEXT) | instid1(VALU_DEP_1)
	v_cndmask_b32_e64 v34, v34, 0xffffff82, vcc_lo
	v_add3_u32 v83, v97, v34, v81
	v_and_b32_e32 v34, 0xfffff, v82
                                        ; implicit-def: $vgpr82
	s_delay_alu instid0(VALU_DEP_1) | instskip(NEXT) | instid1(VALU_DEP_1)
	v_dual_add_nc_u32 v87, 6, v83 :: v_dual_add_nc_u32 v34, v34, v80
                                        ; implicit-def: $vgpr80_vgpr81
	v_cmpx_ne_u32_e32 0, v87
	s_xor_b32 s10, exec_lo, s10
; %bb.2057:                             ;   in Loop: Header=BB2_1899 Depth=2
	s_delay_alu instid0(VALU_DEP_2) | instskip(SKIP_1) | instid1(VALU_DEP_1)
	v_cmp_lt_u64_e32 vcc_lo, 0xffffff, v[34:35]
	v_add_nc_u32_e32 v80, 7, v83
	v_cndmask_b32_e32 v82, v87, v80, vcc_lo
	v_cndmask_b32_e64 v80, 0, 1, vcc_lo
	s_delay_alu instid0(VALU_DEP_1)
	v_lshrrev_b64 v[80:81], v80, v[34:35]
; %bb.2058:                             ;   in Loop: Header=BB2_1899 Depth=2
	s_and_not1_saveexec_b32 s10, s10
; %bb.2059:                             ;   in Loop: Header=BB2_1899 Depth=2
	v_mov_b64_e32 v[80:81], v[34:35]
	v_bfe_u32 v82, v34, 23, 1
; %bb.2060:                             ;   in Loop: Header=BB2_1899 Depth=2
	s_or_b32 exec_lo, exec_lo, s10
	s_delay_alu instid0(VALU_DEP_2) | instskip(NEXT) | instid1(VALU_DEP_2)
	v_lshrrev_b64 v[80:81], 20, v[80:81]
	v_cmp_gt_i32_e32 vcc_lo, 16, v82
	v_cmp_ne_u32_e64 s10, 0, v82
                                        ; implicit-def: $vgpr98
	s_delay_alu instid0(VALU_DEP_3) | instskip(NEXT) | instid1(VALU_DEP_1)
	v_dual_cndmask_b32 v81, 0, v81 :: v_dual_cndmask_b32 v80, 7, v80
	v_cmp_ne_u64_e32 vcc_lo, 0, v[80:81]
	s_or_b32 s10, s10, vcc_lo
	s_delay_alu instid0(SALU_CYCLE_1) | instskip(NEXT) | instid1(SALU_CYCLE_1)
	s_and_saveexec_b32 s42, s10
	s_xor_b32 s10, exec_lo, s42
; %bb.2061:                             ;   in Loop: Header=BB2_1899 Depth=2
	v_min_i32_e32 v34, 15, v82
	s_delay_alu instid0(VALU_DEP_1) | instskip(NEXT) | instid1(VALU_DEP_1)
	v_lshl_or_b32 v34, v34, 3, v86
                                        ; implicit-def: $vgpr86
	v_and_or_b32 v98, v80, 7, v34
; %bb.2062:                             ;   in Loop: Header=BB2_1899 Depth=2
	s_and_not1_saveexec_b32 s10, s10
; %bb.2063:                             ;   in Loop: Header=BB2_1899 Depth=2
	v_mov_b32_e32 v98, v86
; %bb.2064:                             ;   in Loop: Header=BB2_1899 Depth=2
	s_or_b32 exec_lo, exec_lo, s10
.LBB2_2065:                             ;   in Loop: Header=BB2_1899 Depth=2
	s_delay_alu instid0(SALU_CYCLE_1)
	s_or_b32 exec_lo, exec_lo, s41
                                        ; implicit-def: $vgpr86
.LBB2_2066:                             ;   in Loop: Header=BB2_1899 Depth=2
	s_and_not1_saveexec_b32 s10, s40
; %bb.2067:                             ;   in Loop: Header=BB2_1899 Depth=2
	v_or_b32_e32 v98, 0x7e, v86
; %bb.2068:                             ;   in Loop: Header=BB2_1899 Depth=2
	s_or_b32 exec_lo, exec_lo, s10
                                        ; implicit-def: $vgpr81
.LBB2_2069:                             ;   in Loop: Header=BB2_1899 Depth=2
	s_and_not1_saveexec_b32 s10, s11
; %bb.2070:                             ;   in Loop: Header=BB2_1899 Depth=2
	v_or_b32_e32 v98, 0x7f, v81
; %bb.2071:                             ;   in Loop: Header=BB2_1899 Depth=2
	s_or_b32 exec_lo, exec_lo, s10
	flat_load_u8 v80, v[10:11] offset:192 th:TH_LOAD_NT
	v_mov_b32_e32 v34, 0
	s_mov_b32 s10, exec_lo
	s_wait_loadcnt_dscnt 0x0
	v_cmpx_ne_u16_e32 0, v80
	s_cbranch_execz .LBB2_2079
; %bb.2072:                             ;   in Loop: Header=BB2_1899 Depth=2
	v_bfrev_b32_e32 v34, 1
	s_mov_b32 s11, exec_lo
	v_cmpx_ne_u16_e32 0x80, v80
	s_cbranch_execz .LBB2_2078
; %bb.2073:                             ;   in Loop: Header=BB2_1899 Depth=2
	v_and_b32_e32 v81, 0xffff, v80
	v_mov_b32_e32 v34, 0x7f800001
	s_mov_b32 s40, exec_lo
	s_delay_alu instid0(VALU_DEP_2) | instskip(NEXT) | instid1(VALU_DEP_1)
	v_and_b32_e32 v82, 0x7f, v81
	v_cmpx_ne_u32_e32 0x7f, v82
	s_cbranch_execz .LBB2_2077
; %bb.2074:                             ;   in Loop: Header=BB2_1899 Depth=2
	v_dual_lshrrev_b32 v81, 3, v82 :: v_dual_bitop2_b32 v34, 7, v81 bitop3:0x40
	s_mov_b32 s41, exec_lo
	v_cmpx_gt_u32_e32 8, v82
; %bb.2075:                             ;   in Loop: Header=BB2_1899 Depth=2
	s_delay_alu instid0(VALU_DEP_2) | instskip(NEXT) | instid1(VALU_DEP_1)
	v_clz_i32_u32_e32 v81, v34
	v_min_u32_e32 v81, 32, v81
	s_delay_alu instid0(VALU_DEP_1) | instskip(NEXT) | instid1(VALU_DEP_1)
	v_subrev_nc_u32_e32 v82, 28, v81
	v_lshlrev_b64_e32 v[82:83], v82, v[34:35]
	s_delay_alu instid0(VALU_DEP_1)
	v_dual_sub_nc_u32 v81, 29, v81 :: v_dual_bitop2_b32 v34, 7, v82 bitop3:0x40
; %bb.2076:                             ;   in Loop: Header=BB2_1899 Depth=2
	s_or_b32 exec_lo, exec_lo, s41
	s_delay_alu instid0(VALU_DEP_1) | instskip(NEXT) | instid1(VALU_DEP_2)
	v_dual_lshlrev_b32 v80, 24, v80 :: v_dual_lshlrev_b32 v34, 20, v34
	v_lshl_add_u32 v81, v81, 23, 0x3c000000
	s_delay_alu instid0(VALU_DEP_2) | instskip(NEXT) | instid1(VALU_DEP_1)
	v_and_b32_e32 v80, 0x80000000, v80
	v_or3_b32 v34, v34, v80, v81
.LBB2_2077:                             ;   in Loop: Header=BB2_1899 Depth=2
	s_or_b32 exec_lo, exec_lo, s40
.LBB2_2078:                             ;   in Loop: Header=BB2_1899 Depth=2
	s_delay_alu instid0(SALU_CYCLE_1)
	s_or_b32 exec_lo, exec_lo, s11
.LBB2_2079:                             ;   in Loop: Header=BB2_1899 Depth=2
	s_delay_alu instid0(SALU_CYCLE_1) | instskip(NEXT) | instid1(VALU_DEP_1)
	s_or_b32 exec_lo, exec_lo, s10
	v_mul_f32_e32 v80, s29, v34
                                        ; implicit-def: $vgpr97
	s_mov_b32 s10, exec_lo
	s_delay_alu instid0(VALU_DEP_1) | instskip(SKIP_1) | instid1(VALU_DEP_2)
	v_and_b32_e32 v34, 0x7f800000, v80
	v_lshrrev_b32_e32 v81, 24, v80
	v_cmpx_ne_u64_e32 0x7f800000, v[34:35]
	s_xor_b32 s11, exec_lo, s10
	s_cbranch_execz .LBB2_2097
; %bb.2080:                             ;   in Loop: Header=BB2_1899 Depth=2
	v_and_b32_e32 v34, 0x7fffffff, v80
	v_and_b32_e32 v86, 0x80, v81
                                        ; implicit-def: $vgpr97
	s_mov_b32 s10, exec_lo
	s_delay_alu instid0(VALU_DEP_2)
	v_cmpx_gt_u64_e32 0x43e00001, v[34:35]
	s_xor_b32 s40, exec_lo, s10
	s_cbranch_execz .LBB2_2094
; %bb.2081:                             ;   in Loop: Header=BB2_1899 Depth=2
	v_mov_b32_e32 v97, 0
	s_mov_b32 s41, exec_lo
	v_cmpx_ne_u32_e32 0, v80
	s_cbranch_execz .LBB2_2093
; %bb.2082:                             ;   in Loop: Header=BB2_1899 Depth=2
	v_bfe_u32 v87, v80, 23, 8
	s_delay_alu instid0(VALU_DEP_1) | instskip(SKIP_1) | instid1(VALU_DEP_2)
	v_sub_nc_u32_e32 v34, 0x79, v87
	v_cmp_gt_u32_e32 vcc_lo, 0x7a, v87
	v_cndmask_b32_e32 v34, 0, v34, vcc_lo
	v_cmp_eq_u32_e32 vcc_lo, 0, v87
	s_delay_alu instid0(VALU_DEP_2) | instskip(SKIP_1) | instid1(VALU_DEP_2)
	v_cndmask_b32_e64 v97, v34, 0x78, vcc_lo
	v_and_b32_e32 v34, 0x7fffff, v80
	v_add_nc_u32_e32 v80, 20, v97
	s_delay_alu instid0(VALU_DEP_2) | instskip(SKIP_1) | instid1(VALU_DEP_3)
	v_or_b32_e32 v82, 0x800000, v34
	v_add_nc_u32_e32 v83, 19, v97
	v_lshlrev_b64_e64 v[80:81], v80, -1
	s_delay_alu instid0(VALU_DEP_3) | instskip(NEXT) | instid1(VALU_DEP_3)
	v_cndmask_b32_e32 v34, v82, v34, vcc_lo
	v_lshlrev_b64_e64 v[82:83], v83, 1
	s_delay_alu instid0(VALU_DEP_3) | instskip(NEXT) | instid1(VALU_DEP_3)
	v_bfi_b32 v41, v81, 0, 0
	v_bfi_b32 v40, v80, 0, v34
	v_lshrrev_b64 v[80:81], v97, v[34:35]
	s_delay_alu instid0(VALU_DEP_2) | instskip(NEXT) | instid1(VALU_DEP_2)
	v_cmp_eq_u64_e64 s10, v[40:41], v[82:83]
	v_mov_b64_e32 v[82:83], v[80:81]
	s_and_saveexec_b32 s42, s10
; %bb.2083:                             ;   in Loop: Header=BB2_1899 Depth=2
	v_bfe_u32 v34, v80, 20, 1
	s_delay_alu instid0(VALU_DEP_1) | instskip(NEXT) | instid1(VALU_DEP_1)
	v_add_nc_u64_e32 v[82:83], v[80:81], v[34:35]
	v_add_nc_u64_e32 v[82:83], -1, v[82:83]
; %bb.2084:                             ;   in Loop: Header=BB2_1899 Depth=2
	s_or_b32 exec_lo, exec_lo, s42
	v_add_nc_u32_e32 v34, 0xffffff81, v87
	v_lshrrev_b32_e32 v81, 23, v80
	s_mov_b32 s10, exec_lo
	s_delay_alu instid0(VALU_DEP_2) | instskip(NEXT) | instid1(VALU_DEP_1)
	v_cndmask_b32_e64 v34, v34, 0xffffff82, vcc_lo
	v_add3_u32 v83, v97, v34, v81
	v_and_b32_e32 v34, 0xfffff, v82
                                        ; implicit-def: $vgpr82
	s_delay_alu instid0(VALU_DEP_1) | instskip(NEXT) | instid1(VALU_DEP_1)
	v_dual_add_nc_u32 v87, 6, v83 :: v_dual_add_nc_u32 v34, v34, v80
                                        ; implicit-def: $vgpr80_vgpr81
	v_cmpx_ne_u32_e32 0, v87
	s_xor_b32 s10, exec_lo, s10
; %bb.2085:                             ;   in Loop: Header=BB2_1899 Depth=2
	s_delay_alu instid0(VALU_DEP_2) | instskip(SKIP_1) | instid1(VALU_DEP_1)
	v_cmp_lt_u64_e32 vcc_lo, 0xffffff, v[34:35]
	v_add_nc_u32_e32 v80, 7, v83
	v_cndmask_b32_e32 v82, v87, v80, vcc_lo
	v_cndmask_b32_e64 v80, 0, 1, vcc_lo
	s_delay_alu instid0(VALU_DEP_1)
	v_lshrrev_b64 v[80:81], v80, v[34:35]
; %bb.2086:                             ;   in Loop: Header=BB2_1899 Depth=2
	s_and_not1_saveexec_b32 s10, s10
; %bb.2087:                             ;   in Loop: Header=BB2_1899 Depth=2
	v_mov_b64_e32 v[80:81], v[34:35]
	v_bfe_u32 v82, v34, 23, 1
; %bb.2088:                             ;   in Loop: Header=BB2_1899 Depth=2
	s_or_b32 exec_lo, exec_lo, s10
	s_delay_alu instid0(VALU_DEP_2) | instskip(NEXT) | instid1(VALU_DEP_2)
	v_lshrrev_b64 v[80:81], 20, v[80:81]
	v_cmp_gt_i32_e32 vcc_lo, 16, v82
	v_cmp_ne_u32_e64 s10, 0, v82
                                        ; implicit-def: $vgpr97
	s_delay_alu instid0(VALU_DEP_3) | instskip(NEXT) | instid1(VALU_DEP_1)
	v_dual_cndmask_b32 v81, 0, v81 :: v_dual_cndmask_b32 v80, 7, v80
	v_cmp_ne_u64_e32 vcc_lo, 0, v[80:81]
	s_or_b32 s10, s10, vcc_lo
	s_delay_alu instid0(SALU_CYCLE_1) | instskip(NEXT) | instid1(SALU_CYCLE_1)
	s_and_saveexec_b32 s42, s10
	s_xor_b32 s10, exec_lo, s42
; %bb.2089:                             ;   in Loop: Header=BB2_1899 Depth=2
	v_min_i32_e32 v34, 15, v82
	s_delay_alu instid0(VALU_DEP_1) | instskip(NEXT) | instid1(VALU_DEP_1)
	v_lshl_or_b32 v34, v34, 3, v86
                                        ; implicit-def: $vgpr86
	v_and_or_b32 v97, v80, 7, v34
; %bb.2090:                             ;   in Loop: Header=BB2_1899 Depth=2
	s_and_not1_saveexec_b32 s10, s10
; %bb.2091:                             ;   in Loop: Header=BB2_1899 Depth=2
	v_mov_b32_e32 v97, v86
; %bb.2092:                             ;   in Loop: Header=BB2_1899 Depth=2
	s_or_b32 exec_lo, exec_lo, s10
.LBB2_2093:                             ;   in Loop: Header=BB2_1899 Depth=2
	s_delay_alu instid0(SALU_CYCLE_1)
	s_or_b32 exec_lo, exec_lo, s41
                                        ; implicit-def: $vgpr86
.LBB2_2094:                             ;   in Loop: Header=BB2_1899 Depth=2
	s_and_not1_saveexec_b32 s10, s40
; %bb.2095:                             ;   in Loop: Header=BB2_1899 Depth=2
	v_or_b32_e32 v97, 0x7e, v86
; %bb.2096:                             ;   in Loop: Header=BB2_1899 Depth=2
	s_or_b32 exec_lo, exec_lo, s10
                                        ; implicit-def: $vgpr81
.LBB2_2097:                             ;   in Loop: Header=BB2_1899 Depth=2
	s_and_not1_saveexec_b32 s10, s11
; %bb.2098:                             ;   in Loop: Header=BB2_1899 Depth=2
	v_or_b32_e32 v97, 0x7f, v81
; %bb.2099:                             ;   in Loop: Header=BB2_1899 Depth=2
	s_or_b32 exec_lo, exec_lo, s10
	flat_load_u8 v80, v[10:11] offset:224 th:TH_LOAD_NT
	v_mov_b32_e32 v34, 0
	s_mov_b32 s10, exec_lo
	s_wait_loadcnt_dscnt 0x0
	v_cmpx_ne_u16_e32 0, v80
	s_cbranch_execz .LBB2_2107
; %bb.2100:                             ;   in Loop: Header=BB2_1899 Depth=2
	v_bfrev_b32_e32 v34, 1
	s_mov_b32 s11, exec_lo
	v_cmpx_ne_u16_e32 0x80, v80
	s_cbranch_execz .LBB2_2106
; %bb.2101:                             ;   in Loop: Header=BB2_1899 Depth=2
	v_and_b32_e32 v81, 0xffff, v80
	v_mov_b32_e32 v34, 0x7f800001
	s_mov_b32 s40, exec_lo
	s_delay_alu instid0(VALU_DEP_2) | instskip(NEXT) | instid1(VALU_DEP_1)
	v_and_b32_e32 v82, 0x7f, v81
	v_cmpx_ne_u32_e32 0x7f, v82
	s_cbranch_execz .LBB2_2105
; %bb.2102:                             ;   in Loop: Header=BB2_1899 Depth=2
	v_dual_lshrrev_b32 v81, 3, v82 :: v_dual_bitop2_b32 v34, 7, v81 bitop3:0x40
	s_mov_b32 s41, exec_lo
	v_cmpx_gt_u32_e32 8, v82
; %bb.2103:                             ;   in Loop: Header=BB2_1899 Depth=2
	s_delay_alu instid0(VALU_DEP_2) | instskip(NEXT) | instid1(VALU_DEP_1)
	v_clz_i32_u32_e32 v81, v34
	v_min_u32_e32 v81, 32, v81
	s_delay_alu instid0(VALU_DEP_1) | instskip(NEXT) | instid1(VALU_DEP_1)
	v_subrev_nc_u32_e32 v82, 28, v81
	v_lshlrev_b64_e32 v[82:83], v82, v[34:35]
	s_delay_alu instid0(VALU_DEP_1)
	v_dual_sub_nc_u32 v81, 29, v81 :: v_dual_bitop2_b32 v34, 7, v82 bitop3:0x40
; %bb.2104:                             ;   in Loop: Header=BB2_1899 Depth=2
	s_or_b32 exec_lo, exec_lo, s41
	s_delay_alu instid0(VALU_DEP_1) | instskip(NEXT) | instid1(VALU_DEP_2)
	v_dual_lshlrev_b32 v80, 24, v80 :: v_dual_lshlrev_b32 v34, 20, v34
	v_lshl_add_u32 v81, v81, 23, 0x3c000000
	s_delay_alu instid0(VALU_DEP_2) | instskip(NEXT) | instid1(VALU_DEP_1)
	v_and_b32_e32 v80, 0x80000000, v80
	v_or3_b32 v34, v34, v80, v81
.LBB2_2105:                             ;   in Loop: Header=BB2_1899 Depth=2
	s_or_b32 exec_lo, exec_lo, s40
.LBB2_2106:                             ;   in Loop: Header=BB2_1899 Depth=2
	s_delay_alu instid0(SALU_CYCLE_1)
	s_or_b32 exec_lo, exec_lo, s11
.LBB2_2107:                             ;   in Loop: Header=BB2_1899 Depth=2
	s_delay_alu instid0(SALU_CYCLE_1) | instskip(NEXT) | instid1(VALU_DEP_1)
	s_or_b32 exec_lo, exec_lo, s10
	v_mul_f32_e32 v80, s29, v34
                                        ; implicit-def: $vgpr86
	s_mov_b32 s10, exec_lo
	s_delay_alu instid0(VALU_DEP_1) | instskip(SKIP_1) | instid1(VALU_DEP_2)
	v_and_b32_e32 v34, 0x7f800000, v80
	v_lshrrev_b32_e32 v81, 24, v80
	v_cmpx_ne_u64_e32 0x7f800000, v[34:35]
	s_xor_b32 s11, exec_lo, s10
	s_cbranch_execz .LBB2_2125
; %bb.2108:                             ;   in Loop: Header=BB2_1899 Depth=2
	v_and_b32_e32 v34, 0x7fffffff, v80
	v_and_b32_e32 v87, 0x80, v81
                                        ; implicit-def: $vgpr86
	s_mov_b32 s10, exec_lo
	s_delay_alu instid0(VALU_DEP_2)
	v_cmpx_gt_u64_e32 0x43e00001, v[34:35]
	s_xor_b32 s29, exec_lo, s10
	s_cbranch_execz .LBB2_2122
; %bb.2109:                             ;   in Loop: Header=BB2_1899 Depth=2
	v_mov_b32_e32 v86, 0
	s_mov_b32 s40, exec_lo
	v_cmpx_ne_u32_e32 0, v80
	s_cbranch_execz .LBB2_2121
; %bb.2110:                             ;   in Loop: Header=BB2_1899 Depth=2
	v_bfe_u32 v86, v80, 23, 8
	s_delay_alu instid0(VALU_DEP_1) | instskip(SKIP_1) | instid1(VALU_DEP_2)
	v_sub_nc_u32_e32 v34, 0x79, v86
	v_cmp_gt_u32_e32 vcc_lo, 0x7a, v86
	v_cndmask_b32_e32 v34, 0, v34, vcc_lo
	v_cmp_eq_u32_e32 vcc_lo, 0, v86
	s_delay_alu instid0(VALU_DEP_2) | instskip(SKIP_1) | instid1(VALU_DEP_2)
	v_cndmask_b32_e64 v118, v34, 0x78, vcc_lo
	v_and_b32_e32 v34, 0x7fffff, v80
	v_dual_add_nc_u32 v80, 20, v118 :: v_dual_add_nc_u32 v83, 19, v118
	s_delay_alu instid0(VALU_DEP_2) | instskip(NEXT) | instid1(VALU_DEP_2)
	v_or_b32_e32 v82, 0x800000, v34
	v_lshlrev_b64_e64 v[80:81], v80, -1
	s_delay_alu instid0(VALU_DEP_2) | instskip(NEXT) | instid1(VALU_DEP_4)
	v_cndmask_b32_e32 v34, v82, v34, vcc_lo
	v_lshlrev_b64_e64 v[82:83], v83, 1
	s_delay_alu instid0(VALU_DEP_3) | instskip(NEXT) | instid1(VALU_DEP_3)
	v_bfi_b32 v41, v81, 0, 0
	v_bfi_b32 v40, v80, 0, v34
	v_lshrrev_b64 v[80:81], v118, v[34:35]
	s_delay_alu instid0(VALU_DEP_2) | instskip(NEXT) | instid1(VALU_DEP_2)
	v_cmp_eq_u64_e64 s10, v[40:41], v[82:83]
	v_mov_b64_e32 v[82:83], v[80:81]
	s_and_saveexec_b32 s41, s10
; %bb.2111:                             ;   in Loop: Header=BB2_1899 Depth=2
	v_bfe_u32 v34, v80, 20, 1
	s_delay_alu instid0(VALU_DEP_1) | instskip(NEXT) | instid1(VALU_DEP_1)
	v_add_nc_u64_e32 v[82:83], v[80:81], v[34:35]
	v_add_nc_u64_e32 v[82:83], -1, v[82:83]
; %bb.2112:                             ;   in Loop: Header=BB2_1899 Depth=2
	s_or_b32 exec_lo, exec_lo, s41
	v_add_nc_u32_e32 v34, 0xffffff81, v86
	v_lshrrev_b32_e32 v81, 23, v80
	s_mov_b32 s10, exec_lo
	s_delay_alu instid0(VALU_DEP_2) | instskip(NEXT) | instid1(VALU_DEP_1)
	v_cndmask_b32_e64 v34, v34, 0xffffff82, vcc_lo
	v_add3_u32 v83, v118, v34, v81
	v_and_b32_e32 v34, 0xfffff, v82
                                        ; implicit-def: $vgpr82
	s_delay_alu instid0(VALU_DEP_1) | instskip(NEXT) | instid1(VALU_DEP_1)
	v_dual_add_nc_u32 v86, 6, v83 :: v_dual_add_nc_u32 v34, v34, v80
                                        ; implicit-def: $vgpr80_vgpr81
	v_cmpx_ne_u32_e32 0, v86
	s_xor_b32 s10, exec_lo, s10
; %bb.2113:                             ;   in Loop: Header=BB2_1899 Depth=2
	s_delay_alu instid0(VALU_DEP_2) | instskip(SKIP_1) | instid1(VALU_DEP_1)
	v_cmp_lt_u64_e32 vcc_lo, 0xffffff, v[34:35]
	v_add_nc_u32_e32 v80, 7, v83
	v_cndmask_b32_e32 v82, v86, v80, vcc_lo
	v_cndmask_b32_e64 v80, 0, 1, vcc_lo
	s_delay_alu instid0(VALU_DEP_1)
	v_lshrrev_b64 v[80:81], v80, v[34:35]
; %bb.2114:                             ;   in Loop: Header=BB2_1899 Depth=2
	s_and_not1_saveexec_b32 s10, s10
; %bb.2115:                             ;   in Loop: Header=BB2_1899 Depth=2
	v_mov_b64_e32 v[80:81], v[34:35]
	v_bfe_u32 v82, v34, 23, 1
; %bb.2116:                             ;   in Loop: Header=BB2_1899 Depth=2
	s_or_b32 exec_lo, exec_lo, s10
	s_delay_alu instid0(VALU_DEP_2) | instskip(NEXT) | instid1(VALU_DEP_2)
	v_lshrrev_b64 v[80:81], 20, v[80:81]
	v_cmp_gt_i32_e32 vcc_lo, 16, v82
	v_cmp_ne_u32_e64 s10, 0, v82
                                        ; implicit-def: $vgpr86
	s_delay_alu instid0(VALU_DEP_3) | instskip(NEXT) | instid1(VALU_DEP_1)
	v_dual_cndmask_b32 v81, 0, v81 :: v_dual_cndmask_b32 v80, 7, v80
	v_cmp_ne_u64_e32 vcc_lo, 0, v[80:81]
	s_or_b32 s10, s10, vcc_lo
	s_delay_alu instid0(SALU_CYCLE_1) | instskip(NEXT) | instid1(SALU_CYCLE_1)
	s_and_saveexec_b32 s41, s10
	s_xor_b32 s10, exec_lo, s41
; %bb.2117:                             ;   in Loop: Header=BB2_1899 Depth=2
	v_min_i32_e32 v34, 15, v82
	s_delay_alu instid0(VALU_DEP_1) | instskip(NEXT) | instid1(VALU_DEP_1)
	v_lshl_or_b32 v34, v34, 3, v87
                                        ; implicit-def: $vgpr87
	v_and_or_b32 v86, v80, 7, v34
; %bb.2118:                             ;   in Loop: Header=BB2_1899 Depth=2
	s_and_not1_saveexec_b32 s10, s10
; %bb.2119:                             ;   in Loop: Header=BB2_1899 Depth=2
	v_mov_b32_e32 v86, v87
; %bb.2120:                             ;   in Loop: Header=BB2_1899 Depth=2
	s_or_b32 exec_lo, exec_lo, s10
.LBB2_2121:                             ;   in Loop: Header=BB2_1899 Depth=2
	s_delay_alu instid0(SALU_CYCLE_1)
	s_or_b32 exec_lo, exec_lo, s40
                                        ; implicit-def: $vgpr87
.LBB2_2122:                             ;   in Loop: Header=BB2_1899 Depth=2
	s_and_not1_saveexec_b32 s10, s29
; %bb.2123:                             ;   in Loop: Header=BB2_1899 Depth=2
	v_or_b32_e32 v86, 0x7e, v87
; %bb.2124:                             ;   in Loop: Header=BB2_1899 Depth=2
	s_or_b32 exec_lo, exec_lo, s10
                                        ; implicit-def: $vgpr81
.LBB2_2125:                             ;   in Loop: Header=BB2_1899 Depth=2
	s_and_not1_saveexec_b32 s10, s11
; %bb.2126:                             ;   in Loop: Header=BB2_1899 Depth=2
	v_or_b32_e32 v86, 0x7f, v81
; %bb.2127:                             ;   in Loop: Header=BB2_1899 Depth=2
	s_or_b32 exec_lo, exec_lo, s10
	s_clause 0x7
	flat_load_u8 v80, v[12:13] th:TH_LOAD_NT
	flat_load_u8 v44, v[12:13] offset:32 th:TH_LOAD_NT
	flat_load_u8 v43, v[12:13] offset:64 th:TH_LOAD_NT
	;; [unrolled: 1-line block ×7, first 2 shown]
	v_and_b32_e32 v34, 0xff, v96
	v_dual_mov_b32 v81, 0 :: v_dual_mov_b32 v82, 0
	s_mov_b32 s10, exec_lo
	s_wait_xcnt 0x0
	s_delay_alu instid0(VALU_DEP_2)
	v_cmpx_ne_u16_e32 0, v34
	s_cbranch_execz .LBB2_2135
; %bb.2128:                             ;   in Loop: Header=BB2_1899 Depth=2
	v_bfrev_b32_e32 v82, 1
	s_mov_b32 s11, exec_lo
	v_cmpx_ne_u16_e32 0x80, v34
	s_cbranch_execz .LBB2_2134
; %bb.2129:                             ;   in Loop: Header=BB2_1899 Depth=2
	v_and_b32_e32 v83, 0x7f, v96
	v_mov_b32_e32 v82, 0x7f800001
	s_mov_b32 s29, exec_lo
	s_delay_alu instid0(VALU_DEP_2)
	v_cmpx_ne_u32_e32 0x7f, v83
	s_cbranch_execz .LBB2_2133
; %bb.2130:                             ;   in Loop: Header=BB2_1899 Depth=2
	v_dual_lshrrev_b32 v82, 3, v83 :: v_dual_bitop2_b32 v34, 7, v34 bitop3:0x40
	s_mov_b32 s40, exec_lo
	v_cmpx_gt_u32_e32 8, v83
; %bb.2131:                             ;   in Loop: Header=BB2_1899 Depth=2
	s_delay_alu instid0(VALU_DEP_2) | instskip(NEXT) | instid1(VALU_DEP_1)
	v_clz_i32_u32_e32 v82, v34
	v_min_u32_e32 v82, 32, v82
	s_delay_alu instid0(VALU_DEP_1) | instskip(SKIP_1) | instid1(VALU_DEP_2)
	v_subrev_nc_u32_e32 v83, 28, v82
	v_sub_nc_u32_e32 v82, 29, v82
	v_lshlrev_b64_e32 v[46:47], v83, v[34:35]
	s_delay_alu instid0(VALU_DEP_1)
	v_and_b32_e32 v34, 7, v46
; %bb.2132:                             ;   in Loop: Header=BB2_1899 Depth=2
	s_or_b32 exec_lo, exec_lo, s40
	s_delay_alu instid0(VALU_DEP_1) | instskip(SKIP_1) | instid1(VALU_DEP_2)
	v_dual_lshlrev_b32 v83, 24, v96 :: v_dual_lshlrev_b32 v34, 20, v34
	v_lshl_add_u32 v82, v82, 23, 0x3c000000
	v_and_b32_e32 v83, 0x80000000, v83
	s_delay_alu instid0(VALU_DEP_1)
	v_or3_b32 v82, v34, v83, v82
.LBB2_2133:                             ;   in Loop: Header=BB2_1899 Depth=2
	s_or_b32 exec_lo, exec_lo, s29
.LBB2_2134:                             ;   in Loop: Header=BB2_1899 Depth=2
	s_delay_alu instid0(SALU_CYCLE_1)
	s_or_b32 exec_lo, exec_lo, s11
.LBB2_2135:                             ;   in Loop: Header=BB2_1899 Depth=2
	s_delay_alu instid0(SALU_CYCLE_1) | instskip(SKIP_3) | instid1(VALU_DEP_1)
	s_or_b32 exec_lo, exec_lo, s10
	s_wait_loadcnt_dscnt 0x707
	v_and_b32_e32 v34, 0xff, v80
	s_mov_b32 s10, exec_lo
	v_cmpx_ne_u16_e32 0, v34
	s_cbranch_execz .LBB2_2143
; %bb.2136:                             ;   in Loop: Header=BB2_1899 Depth=2
	v_bfrev_b32_e32 v81, 1
	s_mov_b32 s11, exec_lo
	v_cmpx_ne_u16_e32 0x80, v34
	s_cbranch_execz .LBB2_2142
; %bb.2137:                             ;   in Loop: Header=BB2_1899 Depth=2
	v_and_b32_e32 v83, 0x7f, v80
	v_mov_b32_e32 v81, 0x7f800001
	s_mov_b32 s29, exec_lo
	s_delay_alu instid0(VALU_DEP_2)
	v_cmpx_ne_u32_e32 0x7f, v83
	s_cbranch_execz .LBB2_2141
; %bb.2138:                             ;   in Loop: Header=BB2_1899 Depth=2
	v_dual_lshrrev_b32 v81, 3, v83 :: v_dual_bitop2_b32 v34, 7, v34 bitop3:0x40
	s_mov_b32 s40, exec_lo
	v_cmpx_gt_u32_e32 8, v83
; %bb.2139:                             ;   in Loop: Header=BB2_1899 Depth=2
	s_delay_alu instid0(VALU_DEP_2) | instskip(NEXT) | instid1(VALU_DEP_1)
	v_clz_i32_u32_e32 v81, v34
	v_min_u32_e32 v81, 32, v81
	s_delay_alu instid0(VALU_DEP_1) | instskip(NEXT) | instid1(VALU_DEP_1)
	v_subrev_nc_u32_e32 v83, 28, v81
	v_lshlrev_b64_e32 v[46:47], v83, v[34:35]
	s_delay_alu instid0(VALU_DEP_1)
	v_dual_sub_nc_u32 v81, 29, v81 :: v_dual_bitop2_b32 v34, 7, v46 bitop3:0x40
; %bb.2140:                             ;   in Loop: Header=BB2_1899 Depth=2
	s_or_b32 exec_lo, exec_lo, s40
	s_delay_alu instid0(VALU_DEP_1) | instskip(NEXT) | instid1(VALU_DEP_2)
	v_dual_lshlrev_b32 v80, 24, v80 :: v_dual_lshlrev_b32 v34, 20, v34
	v_lshl_add_u32 v81, v81, 23, 0x3c000000
	s_delay_alu instid0(VALU_DEP_2) | instskip(NEXT) | instid1(VALU_DEP_1)
	v_and_b32_e32 v80, 0x80000000, v80
	v_or3_b32 v81, v34, v80, v81
.LBB2_2141:                             ;   in Loop: Header=BB2_1899 Depth=2
	s_or_b32 exec_lo, exec_lo, s29
.LBB2_2142:                             ;   in Loop: Header=BB2_1899 Depth=2
	s_delay_alu instid0(SALU_CYCLE_1)
	s_or_b32 exec_lo, exec_lo, s11
.LBB2_2143:                             ;   in Loop: Header=BB2_1899 Depth=2
	s_delay_alu instid0(SALU_CYCLE_1) | instskip(NEXT) | instid1(VALU_DEP_1)
	s_or_b32 exec_lo, exec_lo, s10
	v_add_f32_e32 v80, v82, v81
                                        ; implicit-def: $vgpr96
	s_mov_b32 s10, exec_lo
	s_delay_alu instid0(VALU_DEP_1) | instskip(SKIP_1) | instid1(VALU_DEP_2)
	v_and_b32_e32 v34, 0x7f800000, v80
	v_lshrrev_b32_e32 v81, 24, v80
	v_cmpx_ne_u64_e32 0x7f800000, v[34:35]
	s_xor_b32 s11, exec_lo, s10
	s_cbranch_execz .LBB2_2161
; %bb.2144:                             ;   in Loop: Header=BB2_1899 Depth=2
	v_and_b32_e32 v34, 0x7fffffff, v80
	v_and_b32_e32 v45, 0x80, v81
                                        ; implicit-def: $vgpr96
	s_mov_b32 s10, exec_lo
	s_delay_alu instid0(VALU_DEP_2)
	v_cmpx_gt_u64_e32 0x43e00001, v[34:35]
	s_xor_b32 s29, exec_lo, s10
	s_cbranch_execz .LBB2_2158
; %bb.2145:                             ;   in Loop: Header=BB2_1899 Depth=2
	v_mov_b32_e32 v96, 0
	s_mov_b32 s40, exec_lo
	v_cmpx_ne_u32_e32 0, v80
	s_cbranch_execz .LBB2_2157
; %bb.2146:                             ;   in Loop: Header=BB2_1899 Depth=2
	v_bfe_u32 v96, v80, 23, 8
	s_delay_alu instid0(VALU_DEP_1) | instskip(SKIP_1) | instid1(VALU_DEP_2)
	v_sub_nc_u32_e32 v34, 0x79, v96
	v_cmp_gt_u32_e32 vcc_lo, 0x7a, v96
	v_cndmask_b32_e32 v34, 0, v34, vcc_lo
	v_cmp_eq_u32_e32 vcc_lo, 0, v96
	s_delay_alu instid0(VALU_DEP_2) | instskip(SKIP_1) | instid1(VALU_DEP_2)
	v_cndmask_b32_e64 v46, v34, 0x78, vcc_lo
	v_and_b32_e32 v34, 0x7fffff, v80
	v_dual_add_nc_u32 v80, 20, v46 :: v_dual_add_nc_u32 v83, 19, v46
	s_delay_alu instid0(VALU_DEP_2) | instskip(NEXT) | instid1(VALU_DEP_2)
	v_or_b32_e32 v82, 0x800000, v34
	v_lshlrev_b64_e64 v[80:81], v80, -1
	s_delay_alu instid0(VALU_DEP_2) | instskip(NEXT) | instid1(VALU_DEP_4)
	v_cndmask_b32_e32 v34, v82, v34, vcc_lo
	v_lshlrev_b64_e64 v[82:83], v83, 1
	s_delay_alu instid0(VALU_DEP_3) | instskip(NEXT) | instid1(VALU_DEP_3)
	v_bfi_b32 v57, v81, 0, 0
	v_bfi_b32 v56, v80, 0, v34
	v_lshrrev_b64 v[80:81], v46, v[34:35]
	s_delay_alu instid0(VALU_DEP_2) | instskip(NEXT) | instid1(VALU_DEP_2)
	v_cmp_eq_u64_e64 s10, v[56:57], v[82:83]
	v_mov_b64_e32 v[82:83], v[80:81]
	s_and_saveexec_b32 s41, s10
; %bb.2147:                             ;   in Loop: Header=BB2_1899 Depth=2
	v_bfe_u32 v34, v80, 20, 1
	s_delay_alu instid0(VALU_DEP_1) | instskip(NEXT) | instid1(VALU_DEP_1)
	v_add_nc_u64_e32 v[82:83], v[80:81], v[34:35]
	v_add_nc_u64_e32 v[82:83], -1, v[82:83]
; %bb.2148:                             ;   in Loop: Header=BB2_1899 Depth=2
	s_or_b32 exec_lo, exec_lo, s41
	v_add_nc_u32_e32 v34, 0xffffff81, v96
	v_lshrrev_b32_e32 v81, 23, v80
	s_mov_b32 s10, exec_lo
	s_delay_alu instid0(VALU_DEP_2) | instskip(NEXT) | instid1(VALU_DEP_1)
	v_cndmask_b32_e64 v34, v34, 0xffffff82, vcc_lo
	v_add3_u32 v83, v46, v34, v81
	v_and_b32_e32 v34, 0xfffff, v82
                                        ; implicit-def: $vgpr82
	s_delay_alu instid0(VALU_DEP_1) | instskip(NEXT) | instid1(VALU_DEP_1)
	v_dual_add_nc_u32 v96, 6, v83 :: v_dual_add_nc_u32 v34, v34, v80
                                        ; implicit-def: $vgpr80_vgpr81
	v_cmpx_ne_u32_e32 0, v96
	s_xor_b32 s10, exec_lo, s10
; %bb.2149:                             ;   in Loop: Header=BB2_1899 Depth=2
	s_delay_alu instid0(VALU_DEP_2) | instskip(SKIP_1) | instid1(VALU_DEP_1)
	v_cmp_lt_u64_e32 vcc_lo, 0xffffff, v[34:35]
	v_add_nc_u32_e32 v80, 7, v83
	v_cndmask_b32_e32 v82, v96, v80, vcc_lo
	v_cndmask_b32_e64 v80, 0, 1, vcc_lo
	s_delay_alu instid0(VALU_DEP_1)
	v_lshrrev_b64 v[80:81], v80, v[34:35]
; %bb.2150:                             ;   in Loop: Header=BB2_1899 Depth=2
	s_and_not1_saveexec_b32 s10, s10
; %bb.2151:                             ;   in Loop: Header=BB2_1899 Depth=2
	v_mov_b64_e32 v[80:81], v[34:35]
	v_bfe_u32 v82, v34, 23, 1
; %bb.2152:                             ;   in Loop: Header=BB2_1899 Depth=2
	s_or_b32 exec_lo, exec_lo, s10
	s_delay_alu instid0(VALU_DEP_2) | instskip(NEXT) | instid1(VALU_DEP_2)
	v_lshrrev_b64 v[80:81], 20, v[80:81]
	v_cmp_gt_i32_e32 vcc_lo, 16, v82
	v_cmp_ne_u32_e64 s10, 0, v82
                                        ; implicit-def: $vgpr96
	s_delay_alu instid0(VALU_DEP_3) | instskip(NEXT) | instid1(VALU_DEP_1)
	v_dual_cndmask_b32 v81, 0, v81 :: v_dual_cndmask_b32 v80, 7, v80
	v_cmp_ne_u64_e32 vcc_lo, 0, v[80:81]
	s_or_b32 s10, s10, vcc_lo
	s_delay_alu instid0(SALU_CYCLE_1) | instskip(NEXT) | instid1(SALU_CYCLE_1)
	s_and_saveexec_b32 s41, s10
	s_xor_b32 s10, exec_lo, s41
; %bb.2153:                             ;   in Loop: Header=BB2_1899 Depth=2
	v_min_i32_e32 v34, 15, v82
	s_delay_alu instid0(VALU_DEP_1) | instskip(NEXT) | instid1(VALU_DEP_1)
	v_lshl_or_b32 v34, v34, 3, v45
                                        ; implicit-def: $vgpr45
	v_and_or_b32 v96, v80, 7, v34
; %bb.2154:                             ;   in Loop: Header=BB2_1899 Depth=2
	s_and_not1_saveexec_b32 s10, s10
; %bb.2155:                             ;   in Loop: Header=BB2_1899 Depth=2
	v_mov_b32_e32 v96, v45
; %bb.2156:                             ;   in Loop: Header=BB2_1899 Depth=2
	s_or_b32 exec_lo, exec_lo, s10
.LBB2_2157:                             ;   in Loop: Header=BB2_1899 Depth=2
	s_delay_alu instid0(SALU_CYCLE_1)
	s_or_b32 exec_lo, exec_lo, s40
                                        ; implicit-def: $vgpr45
.LBB2_2158:                             ;   in Loop: Header=BB2_1899 Depth=2
	s_and_not1_saveexec_b32 s10, s29
; %bb.2159:                             ;   in Loop: Header=BB2_1899 Depth=2
	v_or_b32_e32 v96, 0x7e, v45
; %bb.2160:                             ;   in Loop: Header=BB2_1899 Depth=2
	s_or_b32 exec_lo, exec_lo, s10
                                        ; implicit-def: $vgpr81
.LBB2_2161:                             ;   in Loop: Header=BB2_1899 Depth=2
	s_and_not1_saveexec_b32 s10, s11
; %bb.2162:                             ;   in Loop: Header=BB2_1899 Depth=2
	v_or_b32_e32 v96, 0x7f, v81
; %bb.2163:                             ;   in Loop: Header=BB2_1899 Depth=2
	s_or_b32 exec_lo, exec_lo, s10
	v_and_b32_e32 v34, 0xff, v119
	v_dual_mov_b32 v80, 0 :: v_dual_mov_b32 v81, 0
	s_mov_b32 s10, exec_lo
	s_delay_alu instid0(VALU_DEP_2)
	v_cmpx_ne_u16_e32 0, v34
	s_cbranch_execz .LBB2_2171
; %bb.2164:                             ;   in Loop: Header=BB2_1899 Depth=2
	v_bfrev_b32_e32 v81, 1
	s_mov_b32 s11, exec_lo
	v_cmpx_ne_u16_e32 0x80, v34
	s_cbranch_execz .LBB2_2170
; %bb.2165:                             ;   in Loop: Header=BB2_1899 Depth=2
	v_and_b32_e32 v82, 0x7f, v119
	v_mov_b32_e32 v81, 0x7f800001
	s_mov_b32 s29, exec_lo
	s_delay_alu instid0(VALU_DEP_2)
	v_cmpx_ne_u32_e32 0x7f, v82
	s_cbranch_execz .LBB2_2169
; %bb.2166:                             ;   in Loop: Header=BB2_1899 Depth=2
	v_and_b32_e32 v34, 7, v34
	v_lshrrev_b32_e32 v81, 3, v82
	s_mov_b32 s40, exec_lo
	v_cmpx_gt_u32_e32 8, v82
; %bb.2167:                             ;   in Loop: Header=BB2_1899 Depth=2
	s_delay_alu instid0(VALU_DEP_3) | instskip(NEXT) | instid1(VALU_DEP_1)
	v_clz_i32_u32_e32 v81, v34
	v_min_u32_e32 v81, 32, v81
	s_delay_alu instid0(VALU_DEP_1) | instskip(NEXT) | instid1(VALU_DEP_1)
	v_subrev_nc_u32_e32 v82, 28, v81
	v_lshlrev_b64_e32 v[82:83], v82, v[34:35]
	s_delay_alu instid0(VALU_DEP_1)
	v_dual_sub_nc_u32 v81, 29, v81 :: v_dual_bitop2_b32 v34, 7, v82 bitop3:0x40
; %bb.2168:                             ;   in Loop: Header=BB2_1899 Depth=2
	s_or_b32 exec_lo, exec_lo, s40
	s_delay_alu instid0(VALU_DEP_1) | instskip(NEXT) | instid1(VALU_DEP_2)
	v_dual_lshlrev_b32 v82, 24, v119 :: v_dual_lshlrev_b32 v34, 20, v34
	v_lshl_add_u32 v81, v81, 23, 0x3c000000
	s_delay_alu instid0(VALU_DEP_2) | instskip(NEXT) | instid1(VALU_DEP_1)
	v_and_b32_e32 v82, 0x80000000, v82
	v_or3_b32 v81, v34, v82, v81
.LBB2_2169:                             ;   in Loop: Header=BB2_1899 Depth=2
	s_or_b32 exec_lo, exec_lo, s29
.LBB2_2170:                             ;   in Loop: Header=BB2_1899 Depth=2
	s_delay_alu instid0(SALU_CYCLE_1)
	s_or_b32 exec_lo, exec_lo, s11
.LBB2_2171:                             ;   in Loop: Header=BB2_1899 Depth=2
	s_delay_alu instid0(SALU_CYCLE_1) | instskip(SKIP_3) | instid1(VALU_DEP_1)
	s_or_b32 exec_lo, exec_lo, s10
	s_wait_loadcnt_dscnt 0x606
	v_and_b32_e32 v34, 0xff, v44
	s_mov_b32 s10, exec_lo
	v_cmpx_ne_u16_e32 0, v34
	s_cbranch_execz .LBB2_2179
; %bb.2172:                             ;   in Loop: Header=BB2_1899 Depth=2
	v_bfrev_b32_e32 v80, 1
	s_mov_b32 s11, exec_lo
	v_cmpx_ne_u16_e32 0x80, v34
	s_cbranch_execz .LBB2_2178
; %bb.2173:                             ;   in Loop: Header=BB2_1899 Depth=2
	v_and_b32_e32 v82, 0x7f, v44
	v_mov_b32_e32 v80, 0x7f800001
	s_mov_b32 s29, exec_lo
	s_delay_alu instid0(VALU_DEP_2)
	v_cmpx_ne_u32_e32 0x7f, v82
	s_cbranch_execz .LBB2_2177
; %bb.2174:                             ;   in Loop: Header=BB2_1899 Depth=2
	v_and_b32_e32 v34, 7, v34
	v_lshrrev_b32_e32 v80, 3, v82
	s_mov_b32 s40, exec_lo
	v_cmpx_gt_u32_e32 8, v82
; %bb.2175:                             ;   in Loop: Header=BB2_1899 Depth=2
	s_delay_alu instid0(VALU_DEP_3) | instskip(NEXT) | instid1(VALU_DEP_1)
	v_clz_i32_u32_e32 v80, v34
	v_min_u32_e32 v80, 32, v80
	s_delay_alu instid0(VALU_DEP_1) | instskip(NEXT) | instid1(VALU_DEP_1)
	v_subrev_nc_u32_e32 v82, 28, v80
	v_lshlrev_b64_e32 v[82:83], v82, v[34:35]
	s_delay_alu instid0(VALU_DEP_1)
	v_dual_sub_nc_u32 v80, 29, v80 :: v_dual_bitop2_b32 v34, 7, v82 bitop3:0x40
; %bb.2176:                             ;   in Loop: Header=BB2_1899 Depth=2
	s_or_b32 exec_lo, exec_lo, s40
	s_delay_alu instid0(VALU_DEP_1) | instskip(NEXT) | instid1(VALU_DEP_2)
	v_dual_lshlrev_b32 v82, 24, v44 :: v_dual_lshlrev_b32 v34, 20, v34
	v_lshl_add_u32 v80, v80, 23, 0x3c000000
	s_delay_alu instid0(VALU_DEP_2) | instskip(NEXT) | instid1(VALU_DEP_1)
	v_and_b32_e32 v82, 0x80000000, v82
	v_or3_b32 v80, v34, v82, v80
.LBB2_2177:                             ;   in Loop: Header=BB2_1899 Depth=2
	s_or_b32 exec_lo, exec_lo, s29
.LBB2_2178:                             ;   in Loop: Header=BB2_1899 Depth=2
	s_delay_alu instid0(SALU_CYCLE_1)
	s_or_b32 exec_lo, exec_lo, s11
.LBB2_2179:                             ;   in Loop: Header=BB2_1899 Depth=2
	s_delay_alu instid0(SALU_CYCLE_1) | instskip(NEXT) | instid1(VALU_DEP_1)
	s_or_b32 exec_lo, exec_lo, s10
	v_add_f32_e32 v80, v81, v80
                                        ; implicit-def: $vgpr119
	s_mov_b32 s10, exec_lo
	s_delay_alu instid0(VALU_DEP_1) | instskip(SKIP_1) | instid1(VALU_DEP_2)
	v_and_b32_e32 v34, 0x7f800000, v80
	v_lshrrev_b32_e32 v81, 24, v80
	v_cmpx_ne_u64_e32 0x7f800000, v[34:35]
	s_xor_b32 s11, exec_lo, s10
	s_cbranch_execz .LBB2_2197
; %bb.2180:                             ;   in Loop: Header=BB2_1899 Depth=2
	v_and_b32_e32 v34, 0x7fffffff, v80
	v_and_b32_e32 v44, 0x80, v81
                                        ; implicit-def: $vgpr119
	s_mov_b32 s10, exec_lo
	s_delay_alu instid0(VALU_DEP_2)
	v_cmpx_gt_u64_e32 0x43e00001, v[34:35]
	s_xor_b32 s29, exec_lo, s10
	s_cbranch_execz .LBB2_2194
; %bb.2181:                             ;   in Loop: Header=BB2_1899 Depth=2
	v_mov_b32_e32 v119, 0
	s_mov_b32 s40, exec_lo
	v_cmpx_ne_u32_e32 0, v80
	s_cbranch_execz .LBB2_2193
; %bb.2182:                             ;   in Loop: Header=BB2_1899 Depth=2
	v_bfe_u32 v119, v80, 23, 8
	s_delay_alu instid0(VALU_DEP_1) | instskip(SKIP_1) | instid1(VALU_DEP_2)
	v_sub_nc_u32_e32 v34, 0x79, v119
	v_cmp_gt_u32_e32 vcc_lo, 0x7a, v119
	v_cndmask_b32_e32 v34, 0, v34, vcc_lo
	v_cmp_eq_u32_e32 vcc_lo, 0, v119
	s_delay_alu instid0(VALU_DEP_2) | instskip(SKIP_1) | instid1(VALU_DEP_2)
	v_cndmask_b32_e64 v45, v34, 0x78, vcc_lo
	v_and_b32_e32 v34, 0x7fffff, v80
	v_add_nc_u32_e32 v80, 20, v45
	s_delay_alu instid0(VALU_DEP_2) | instskip(SKIP_1) | instid1(VALU_DEP_3)
	v_or_b32_e32 v82, 0x800000, v34
	v_add_nc_u32_e32 v83, 19, v45
	v_lshlrev_b64_e64 v[80:81], v80, -1
	s_delay_alu instid0(VALU_DEP_3) | instskip(NEXT) | instid1(VALU_DEP_3)
	v_cndmask_b32_e32 v34, v82, v34, vcc_lo
	v_lshlrev_b64_e64 v[82:83], v83, 1
	s_delay_alu instid0(VALU_DEP_3) | instskip(NEXT) | instid1(VALU_DEP_3)
	v_bfi_b32 v47, v81, 0, 0
	v_bfi_b32 v46, v80, 0, v34
	v_lshrrev_b64 v[80:81], v45, v[34:35]
	s_delay_alu instid0(VALU_DEP_2) | instskip(NEXT) | instid1(VALU_DEP_2)
	v_cmp_eq_u64_e64 s10, v[46:47], v[82:83]
	v_mov_b64_e32 v[82:83], v[80:81]
	s_and_saveexec_b32 s41, s10
; %bb.2183:                             ;   in Loop: Header=BB2_1899 Depth=2
	v_bfe_u32 v34, v80, 20, 1
	s_delay_alu instid0(VALU_DEP_1) | instskip(NEXT) | instid1(VALU_DEP_1)
	v_add_nc_u64_e32 v[82:83], v[80:81], v[34:35]
	v_add_nc_u64_e32 v[82:83], -1, v[82:83]
; %bb.2184:                             ;   in Loop: Header=BB2_1899 Depth=2
	s_or_b32 exec_lo, exec_lo, s41
	v_add_nc_u32_e32 v34, 0xffffff81, v119
	v_lshrrev_b32_e32 v81, 23, v80
	s_mov_b32 s10, exec_lo
	s_delay_alu instid0(VALU_DEP_2) | instskip(NEXT) | instid1(VALU_DEP_1)
	v_cndmask_b32_e64 v34, v34, 0xffffff82, vcc_lo
	v_add3_u32 v83, v45, v34, v81
	v_and_b32_e32 v34, 0xfffff, v82
                                        ; implicit-def: $vgpr82
	s_delay_alu instid0(VALU_DEP_1) | instskip(NEXT) | instid1(VALU_DEP_1)
	v_dual_add_nc_u32 v119, 6, v83 :: v_dual_add_nc_u32 v34, v34, v80
                                        ; implicit-def: $vgpr80_vgpr81
	v_cmpx_ne_u32_e32 0, v119
	s_xor_b32 s10, exec_lo, s10
; %bb.2185:                             ;   in Loop: Header=BB2_1899 Depth=2
	s_delay_alu instid0(VALU_DEP_2) | instskip(SKIP_1) | instid1(VALU_DEP_1)
	v_cmp_lt_u64_e32 vcc_lo, 0xffffff, v[34:35]
	v_add_nc_u32_e32 v80, 7, v83
	v_cndmask_b32_e32 v82, v119, v80, vcc_lo
	v_cndmask_b32_e64 v80, 0, 1, vcc_lo
	s_delay_alu instid0(VALU_DEP_1)
	v_lshrrev_b64 v[80:81], v80, v[34:35]
; %bb.2186:                             ;   in Loop: Header=BB2_1899 Depth=2
	s_and_not1_saveexec_b32 s10, s10
; %bb.2187:                             ;   in Loop: Header=BB2_1899 Depth=2
	v_mov_b64_e32 v[80:81], v[34:35]
	v_bfe_u32 v82, v34, 23, 1
; %bb.2188:                             ;   in Loop: Header=BB2_1899 Depth=2
	s_or_b32 exec_lo, exec_lo, s10
	s_delay_alu instid0(VALU_DEP_2) | instskip(NEXT) | instid1(VALU_DEP_2)
	v_lshrrev_b64 v[80:81], 20, v[80:81]
	v_cmp_gt_i32_e32 vcc_lo, 16, v82
	v_cmp_ne_u32_e64 s10, 0, v82
                                        ; implicit-def: $vgpr119
	s_delay_alu instid0(VALU_DEP_3) | instskip(NEXT) | instid1(VALU_DEP_1)
	v_dual_cndmask_b32 v81, 0, v81 :: v_dual_cndmask_b32 v80, 7, v80
	v_cmp_ne_u64_e32 vcc_lo, 0, v[80:81]
	s_or_b32 s10, s10, vcc_lo
	s_delay_alu instid0(SALU_CYCLE_1) | instskip(NEXT) | instid1(SALU_CYCLE_1)
	s_and_saveexec_b32 s41, s10
	s_xor_b32 s10, exec_lo, s41
; %bb.2189:                             ;   in Loop: Header=BB2_1899 Depth=2
	v_min_i32_e32 v34, 15, v82
	s_delay_alu instid0(VALU_DEP_1) | instskip(NEXT) | instid1(VALU_DEP_1)
	v_lshl_or_b32 v34, v34, 3, v44
                                        ; implicit-def: $vgpr44
	v_and_or_b32 v119, v80, 7, v34
; %bb.2190:                             ;   in Loop: Header=BB2_1899 Depth=2
	s_and_not1_saveexec_b32 s10, s10
; %bb.2191:                             ;   in Loop: Header=BB2_1899 Depth=2
	v_mov_b32_e32 v119, v44
; %bb.2192:                             ;   in Loop: Header=BB2_1899 Depth=2
	s_or_b32 exec_lo, exec_lo, s10
.LBB2_2193:                             ;   in Loop: Header=BB2_1899 Depth=2
	s_delay_alu instid0(SALU_CYCLE_1)
	s_or_b32 exec_lo, exec_lo, s40
                                        ; implicit-def: $vgpr44
.LBB2_2194:                             ;   in Loop: Header=BB2_1899 Depth=2
	s_and_not1_saveexec_b32 s10, s29
; %bb.2195:                             ;   in Loop: Header=BB2_1899 Depth=2
	v_or_b32_e32 v119, 0x7e, v44
; %bb.2196:                             ;   in Loop: Header=BB2_1899 Depth=2
	s_or_b32 exec_lo, exec_lo, s10
                                        ; implicit-def: $vgpr81
.LBB2_2197:                             ;   in Loop: Header=BB2_1899 Depth=2
	s_and_not1_saveexec_b32 s10, s11
; %bb.2198:                             ;   in Loop: Header=BB2_1899 Depth=2
	v_or_b32_e32 v119, 0x7f, v81
; %bb.2199:                             ;   in Loop: Header=BB2_1899 Depth=2
	s_or_b32 exec_lo, exec_lo, s10
	v_and_b32_e32 v34, 0xff, v101
	v_dual_mov_b32 v80, 0 :: v_dual_mov_b32 v81, 0
	s_mov_b32 s10, exec_lo
	s_delay_alu instid0(VALU_DEP_2)
	v_cmpx_ne_u16_e32 0, v34
	s_cbranch_execz .LBB2_2207
; %bb.2200:                             ;   in Loop: Header=BB2_1899 Depth=2
	v_bfrev_b32_e32 v81, 1
	s_mov_b32 s11, exec_lo
	v_cmpx_ne_u16_e32 0x80, v34
	s_cbranch_execz .LBB2_2206
; %bb.2201:                             ;   in Loop: Header=BB2_1899 Depth=2
	v_and_b32_e32 v82, 0x7f, v101
	v_mov_b32_e32 v81, 0x7f800001
	s_mov_b32 s29, exec_lo
	s_delay_alu instid0(VALU_DEP_2)
	v_cmpx_ne_u32_e32 0x7f, v82
	s_cbranch_execz .LBB2_2205
; %bb.2202:                             ;   in Loop: Header=BB2_1899 Depth=2
	v_and_b32_e32 v34, 7, v34
	v_lshrrev_b32_e32 v81, 3, v82
	s_mov_b32 s40, exec_lo
	v_cmpx_gt_u32_e32 8, v82
; %bb.2203:                             ;   in Loop: Header=BB2_1899 Depth=2
	s_delay_alu instid0(VALU_DEP_3) | instskip(NEXT) | instid1(VALU_DEP_1)
	v_clz_i32_u32_e32 v81, v34
	v_min_u32_e32 v81, 32, v81
	s_delay_alu instid0(VALU_DEP_1) | instskip(NEXT) | instid1(VALU_DEP_1)
	v_subrev_nc_u32_e32 v82, 28, v81
	v_lshlrev_b64_e32 v[82:83], v82, v[34:35]
	s_delay_alu instid0(VALU_DEP_1)
	v_dual_sub_nc_u32 v81, 29, v81 :: v_dual_bitop2_b32 v34, 7, v82 bitop3:0x40
; %bb.2204:                             ;   in Loop: Header=BB2_1899 Depth=2
	s_or_b32 exec_lo, exec_lo, s40
	s_delay_alu instid0(VALU_DEP_1) | instskip(NEXT) | instid1(VALU_DEP_2)
	v_dual_lshlrev_b32 v82, 24, v101 :: v_dual_lshlrev_b32 v34, 20, v34
	v_lshl_add_u32 v81, v81, 23, 0x3c000000
	s_delay_alu instid0(VALU_DEP_2) | instskip(NEXT) | instid1(VALU_DEP_1)
	v_and_b32_e32 v82, 0x80000000, v82
	v_or3_b32 v81, v34, v82, v81
.LBB2_2205:                             ;   in Loop: Header=BB2_1899 Depth=2
	s_or_b32 exec_lo, exec_lo, s29
.LBB2_2206:                             ;   in Loop: Header=BB2_1899 Depth=2
	s_delay_alu instid0(SALU_CYCLE_1)
	s_or_b32 exec_lo, exec_lo, s11
.LBB2_2207:                             ;   in Loop: Header=BB2_1899 Depth=2
	s_delay_alu instid0(SALU_CYCLE_1) | instskip(SKIP_3) | instid1(VALU_DEP_1)
	s_or_b32 exec_lo, exec_lo, s10
	s_wait_loadcnt_dscnt 0x505
	v_and_b32_e32 v34, 0xff, v43
	s_mov_b32 s10, exec_lo
	v_cmpx_ne_u16_e32 0, v34
	s_cbranch_execz .LBB2_2215
; %bb.2208:                             ;   in Loop: Header=BB2_1899 Depth=2
	v_bfrev_b32_e32 v80, 1
	s_mov_b32 s11, exec_lo
	v_cmpx_ne_u16_e32 0x80, v34
	s_cbranch_execz .LBB2_2214
; %bb.2209:                             ;   in Loop: Header=BB2_1899 Depth=2
	v_and_b32_e32 v82, 0x7f, v43
	v_mov_b32_e32 v80, 0x7f800001
	s_mov_b32 s29, exec_lo
	s_delay_alu instid0(VALU_DEP_2)
	v_cmpx_ne_u32_e32 0x7f, v82
	s_cbranch_execz .LBB2_2213
; %bb.2210:                             ;   in Loop: Header=BB2_1899 Depth=2
	v_and_b32_e32 v34, 7, v34
	v_lshrrev_b32_e32 v80, 3, v82
	s_mov_b32 s40, exec_lo
	v_cmpx_gt_u32_e32 8, v82
; %bb.2211:                             ;   in Loop: Header=BB2_1899 Depth=2
	s_delay_alu instid0(VALU_DEP_3) | instskip(NEXT) | instid1(VALU_DEP_1)
	v_clz_i32_u32_e32 v80, v34
	v_min_u32_e32 v80, 32, v80
	s_delay_alu instid0(VALU_DEP_1) | instskip(NEXT) | instid1(VALU_DEP_1)
	v_subrev_nc_u32_e32 v82, 28, v80
	v_lshlrev_b64_e32 v[82:83], v82, v[34:35]
	s_delay_alu instid0(VALU_DEP_1)
	v_dual_sub_nc_u32 v80, 29, v80 :: v_dual_bitop2_b32 v34, 7, v82 bitop3:0x40
; %bb.2212:                             ;   in Loop: Header=BB2_1899 Depth=2
	s_or_b32 exec_lo, exec_lo, s40
	s_delay_alu instid0(VALU_DEP_1) | instskip(NEXT) | instid1(VALU_DEP_2)
	v_dual_lshlrev_b32 v82, 24, v43 :: v_dual_lshlrev_b32 v34, 20, v34
	v_lshl_add_u32 v80, v80, 23, 0x3c000000
	s_delay_alu instid0(VALU_DEP_2) | instskip(NEXT) | instid1(VALU_DEP_1)
	v_and_b32_e32 v82, 0x80000000, v82
	v_or3_b32 v80, v34, v82, v80
.LBB2_2213:                             ;   in Loop: Header=BB2_1899 Depth=2
	s_or_b32 exec_lo, exec_lo, s29
.LBB2_2214:                             ;   in Loop: Header=BB2_1899 Depth=2
	s_delay_alu instid0(SALU_CYCLE_1)
	s_or_b32 exec_lo, exec_lo, s11
.LBB2_2215:                             ;   in Loop: Header=BB2_1899 Depth=2
	s_delay_alu instid0(SALU_CYCLE_1) | instskip(NEXT) | instid1(VALU_DEP_1)
	s_or_b32 exec_lo, exec_lo, s10
	v_add_f32_e32 v80, v81, v80
                                        ; implicit-def: $vgpr101
	s_mov_b32 s10, exec_lo
	s_delay_alu instid0(VALU_DEP_1) | instskip(SKIP_1) | instid1(VALU_DEP_2)
	v_and_b32_e32 v34, 0x7f800000, v80
	v_lshrrev_b32_e32 v81, 24, v80
	v_cmpx_ne_u64_e32 0x7f800000, v[34:35]
	s_xor_b32 s11, exec_lo, s10
	s_cbranch_execz .LBB2_2233
; %bb.2216:                             ;   in Loop: Header=BB2_1899 Depth=2
	v_and_b32_e32 v34, 0x7fffffff, v80
	v_and_b32_e32 v43, 0x80, v81
                                        ; implicit-def: $vgpr101
	s_mov_b32 s10, exec_lo
	s_delay_alu instid0(VALU_DEP_2)
	v_cmpx_gt_u64_e32 0x43e00001, v[34:35]
	s_xor_b32 s29, exec_lo, s10
	s_cbranch_execz .LBB2_2230
; %bb.2217:                             ;   in Loop: Header=BB2_1899 Depth=2
	v_mov_b32_e32 v101, 0
	s_mov_b32 s40, exec_lo
	v_cmpx_ne_u32_e32 0, v80
	s_cbranch_execz .LBB2_2229
; %bb.2218:                             ;   in Loop: Header=BB2_1899 Depth=2
	v_bfe_u32 v101, v80, 23, 8
	s_delay_alu instid0(VALU_DEP_1) | instskip(SKIP_1) | instid1(VALU_DEP_2)
	v_sub_nc_u32_e32 v34, 0x79, v101
	v_cmp_gt_u32_e32 vcc_lo, 0x7a, v101
	v_cndmask_b32_e32 v34, 0, v34, vcc_lo
	v_cmp_eq_u32_e32 vcc_lo, 0, v101
	s_delay_alu instid0(VALU_DEP_2) | instskip(SKIP_1) | instid1(VALU_DEP_2)
	v_cndmask_b32_e64 v44, v34, 0x78, vcc_lo
	v_and_b32_e32 v34, 0x7fffff, v80
	v_add_nc_u32_e32 v80, 20, v44
	s_delay_alu instid0(VALU_DEP_2) | instskip(SKIP_1) | instid1(VALU_DEP_3)
	v_or_b32_e32 v82, 0x800000, v34
	v_add_nc_u32_e32 v83, 19, v44
	v_lshlrev_b64_e64 v[80:81], v80, -1
	s_delay_alu instid0(VALU_DEP_3) | instskip(NEXT) | instid1(VALU_DEP_3)
	v_cndmask_b32_e32 v34, v82, v34, vcc_lo
	v_lshlrev_b64_e64 v[82:83], v83, 1
	s_delay_alu instid0(VALU_DEP_3) | instskip(NEXT) | instid1(VALU_DEP_3)
	v_bfi_b32 v47, v81, 0, 0
	v_bfi_b32 v46, v80, 0, v34
	v_lshrrev_b64 v[80:81], v44, v[34:35]
	s_delay_alu instid0(VALU_DEP_2) | instskip(NEXT) | instid1(VALU_DEP_2)
	v_cmp_eq_u64_e64 s10, v[46:47], v[82:83]
	v_mov_b64_e32 v[82:83], v[80:81]
	s_and_saveexec_b32 s41, s10
; %bb.2219:                             ;   in Loop: Header=BB2_1899 Depth=2
	v_bfe_u32 v34, v80, 20, 1
	s_delay_alu instid0(VALU_DEP_1) | instskip(NEXT) | instid1(VALU_DEP_1)
	v_add_nc_u64_e32 v[82:83], v[80:81], v[34:35]
	v_add_nc_u64_e32 v[82:83], -1, v[82:83]
; %bb.2220:                             ;   in Loop: Header=BB2_1899 Depth=2
	s_or_b32 exec_lo, exec_lo, s41
	v_add_nc_u32_e32 v34, 0xffffff81, v101
	v_lshrrev_b32_e32 v81, 23, v80
	s_mov_b32 s10, exec_lo
	s_delay_alu instid0(VALU_DEP_2) | instskip(NEXT) | instid1(VALU_DEP_1)
	v_cndmask_b32_e64 v34, v34, 0xffffff82, vcc_lo
	v_add3_u32 v83, v44, v34, v81
	v_and_b32_e32 v34, 0xfffff, v82
                                        ; implicit-def: $vgpr82
	s_delay_alu instid0(VALU_DEP_1) | instskip(NEXT) | instid1(VALU_DEP_1)
	v_dual_add_nc_u32 v101, 6, v83 :: v_dual_add_nc_u32 v34, v34, v80
                                        ; implicit-def: $vgpr80_vgpr81
	v_cmpx_ne_u32_e32 0, v101
	s_xor_b32 s10, exec_lo, s10
; %bb.2221:                             ;   in Loop: Header=BB2_1899 Depth=2
	s_delay_alu instid0(VALU_DEP_2) | instskip(SKIP_1) | instid1(VALU_DEP_1)
	v_cmp_lt_u64_e32 vcc_lo, 0xffffff, v[34:35]
	v_add_nc_u32_e32 v80, 7, v83
	v_cndmask_b32_e32 v82, v101, v80, vcc_lo
	v_cndmask_b32_e64 v80, 0, 1, vcc_lo
	s_delay_alu instid0(VALU_DEP_1)
	v_lshrrev_b64 v[80:81], v80, v[34:35]
; %bb.2222:                             ;   in Loop: Header=BB2_1899 Depth=2
	s_and_not1_saveexec_b32 s10, s10
; %bb.2223:                             ;   in Loop: Header=BB2_1899 Depth=2
	v_mov_b64_e32 v[80:81], v[34:35]
	v_bfe_u32 v82, v34, 23, 1
; %bb.2224:                             ;   in Loop: Header=BB2_1899 Depth=2
	s_or_b32 exec_lo, exec_lo, s10
	s_delay_alu instid0(VALU_DEP_2) | instskip(NEXT) | instid1(VALU_DEP_2)
	v_lshrrev_b64 v[80:81], 20, v[80:81]
	v_cmp_gt_i32_e32 vcc_lo, 16, v82
	v_cmp_ne_u32_e64 s10, 0, v82
                                        ; implicit-def: $vgpr101
	s_delay_alu instid0(VALU_DEP_3) | instskip(NEXT) | instid1(VALU_DEP_1)
	v_dual_cndmask_b32 v81, 0, v81 :: v_dual_cndmask_b32 v80, 7, v80
	v_cmp_ne_u64_e32 vcc_lo, 0, v[80:81]
	s_or_b32 s10, s10, vcc_lo
	s_delay_alu instid0(SALU_CYCLE_1) | instskip(NEXT) | instid1(SALU_CYCLE_1)
	s_and_saveexec_b32 s41, s10
	s_xor_b32 s10, exec_lo, s41
; %bb.2225:                             ;   in Loop: Header=BB2_1899 Depth=2
	v_min_i32_e32 v34, 15, v82
	s_delay_alu instid0(VALU_DEP_1) | instskip(NEXT) | instid1(VALU_DEP_1)
	v_lshl_or_b32 v34, v34, 3, v43
                                        ; implicit-def: $vgpr43
	v_and_or_b32 v101, v80, 7, v34
; %bb.2226:                             ;   in Loop: Header=BB2_1899 Depth=2
	s_and_not1_saveexec_b32 s10, s10
; %bb.2227:                             ;   in Loop: Header=BB2_1899 Depth=2
	v_mov_b32_e32 v101, v43
; %bb.2228:                             ;   in Loop: Header=BB2_1899 Depth=2
	s_or_b32 exec_lo, exec_lo, s10
.LBB2_2229:                             ;   in Loop: Header=BB2_1899 Depth=2
	s_delay_alu instid0(SALU_CYCLE_1)
	s_or_b32 exec_lo, exec_lo, s40
                                        ; implicit-def: $vgpr43
.LBB2_2230:                             ;   in Loop: Header=BB2_1899 Depth=2
	s_and_not1_saveexec_b32 s10, s29
; %bb.2231:                             ;   in Loop: Header=BB2_1899 Depth=2
	v_or_b32_e32 v101, 0x7e, v43
; %bb.2232:                             ;   in Loop: Header=BB2_1899 Depth=2
	s_or_b32 exec_lo, exec_lo, s10
                                        ; implicit-def: $vgpr81
.LBB2_2233:                             ;   in Loop: Header=BB2_1899 Depth=2
	s_and_not1_saveexec_b32 s10, s11
; %bb.2234:                             ;   in Loop: Header=BB2_1899 Depth=2
	v_or_b32_e32 v101, 0x7f, v81
; %bb.2235:                             ;   in Loop: Header=BB2_1899 Depth=2
	s_or_b32 exec_lo, exec_lo, s10
	v_and_b32_e32 v34, 0xff, v100
	v_dual_mov_b32 v80, 0 :: v_dual_mov_b32 v81, 0
	s_mov_b32 s10, exec_lo
	s_delay_alu instid0(VALU_DEP_2)
	v_cmpx_ne_u16_e32 0, v34
	s_cbranch_execz .LBB2_2243
; %bb.2236:                             ;   in Loop: Header=BB2_1899 Depth=2
	v_bfrev_b32_e32 v81, 1
	s_mov_b32 s11, exec_lo
	v_cmpx_ne_u16_e32 0x80, v34
	s_cbranch_execz .LBB2_2242
; %bb.2237:                             ;   in Loop: Header=BB2_1899 Depth=2
	v_and_b32_e32 v82, 0x7f, v100
	v_mov_b32_e32 v81, 0x7f800001
	s_mov_b32 s29, exec_lo
	s_delay_alu instid0(VALU_DEP_2)
	v_cmpx_ne_u32_e32 0x7f, v82
	s_cbranch_execz .LBB2_2241
; %bb.2238:                             ;   in Loop: Header=BB2_1899 Depth=2
	v_and_b32_e32 v34, 7, v34
	v_lshrrev_b32_e32 v81, 3, v82
	s_mov_b32 s40, exec_lo
	v_cmpx_gt_u32_e32 8, v82
; %bb.2239:                             ;   in Loop: Header=BB2_1899 Depth=2
	s_delay_alu instid0(VALU_DEP_3) | instskip(NEXT) | instid1(VALU_DEP_1)
	v_clz_i32_u32_e32 v81, v34
	v_min_u32_e32 v81, 32, v81
	s_delay_alu instid0(VALU_DEP_1) | instskip(NEXT) | instid1(VALU_DEP_1)
	v_subrev_nc_u32_e32 v82, 28, v81
	v_lshlrev_b64_e32 v[82:83], v82, v[34:35]
	s_delay_alu instid0(VALU_DEP_1)
	v_dual_sub_nc_u32 v81, 29, v81 :: v_dual_bitop2_b32 v34, 7, v82 bitop3:0x40
; %bb.2240:                             ;   in Loop: Header=BB2_1899 Depth=2
	s_or_b32 exec_lo, exec_lo, s40
	s_delay_alu instid0(VALU_DEP_1) | instskip(NEXT) | instid1(VALU_DEP_2)
	v_dual_lshlrev_b32 v82, 24, v100 :: v_dual_lshlrev_b32 v34, 20, v34
	v_lshl_add_u32 v81, v81, 23, 0x3c000000
	s_delay_alu instid0(VALU_DEP_2) | instskip(NEXT) | instid1(VALU_DEP_1)
	v_and_b32_e32 v82, 0x80000000, v82
	v_or3_b32 v81, v34, v82, v81
.LBB2_2241:                             ;   in Loop: Header=BB2_1899 Depth=2
	s_or_b32 exec_lo, exec_lo, s29
.LBB2_2242:                             ;   in Loop: Header=BB2_1899 Depth=2
	s_delay_alu instid0(SALU_CYCLE_1)
	s_or_b32 exec_lo, exec_lo, s11
.LBB2_2243:                             ;   in Loop: Header=BB2_1899 Depth=2
	s_delay_alu instid0(SALU_CYCLE_1) | instskip(SKIP_3) | instid1(VALU_DEP_1)
	s_or_b32 exec_lo, exec_lo, s10
	s_wait_loadcnt_dscnt 0x404
	v_and_b32_e32 v34, 0xff, v42
	s_mov_b32 s10, exec_lo
	v_cmpx_ne_u16_e32 0, v34
	s_cbranch_execz .LBB2_2251
; %bb.2244:                             ;   in Loop: Header=BB2_1899 Depth=2
	v_bfrev_b32_e32 v80, 1
	s_mov_b32 s11, exec_lo
	v_cmpx_ne_u16_e32 0x80, v34
	s_cbranch_execz .LBB2_2250
; %bb.2245:                             ;   in Loop: Header=BB2_1899 Depth=2
	v_and_b32_e32 v82, 0x7f, v42
	v_mov_b32_e32 v80, 0x7f800001
	s_mov_b32 s29, exec_lo
	s_delay_alu instid0(VALU_DEP_2)
	v_cmpx_ne_u32_e32 0x7f, v82
	s_cbranch_execz .LBB2_2249
; %bb.2246:                             ;   in Loop: Header=BB2_1899 Depth=2
	v_and_b32_e32 v34, 7, v34
	v_lshrrev_b32_e32 v80, 3, v82
	s_mov_b32 s40, exec_lo
	v_cmpx_gt_u32_e32 8, v82
; %bb.2247:                             ;   in Loop: Header=BB2_1899 Depth=2
	s_delay_alu instid0(VALU_DEP_3) | instskip(NEXT) | instid1(VALU_DEP_1)
	v_clz_i32_u32_e32 v80, v34
	v_min_u32_e32 v80, 32, v80
	s_delay_alu instid0(VALU_DEP_1) | instskip(NEXT) | instid1(VALU_DEP_1)
	v_subrev_nc_u32_e32 v82, 28, v80
	v_lshlrev_b64_e32 v[82:83], v82, v[34:35]
	s_delay_alu instid0(VALU_DEP_1)
	v_dual_sub_nc_u32 v80, 29, v80 :: v_dual_bitop2_b32 v34, 7, v82 bitop3:0x40
; %bb.2248:                             ;   in Loop: Header=BB2_1899 Depth=2
	s_or_b32 exec_lo, exec_lo, s40
	v_lshlrev_b32_e32 v82, 24, v42
	s_delay_alu instid0(VALU_DEP_2) | instskip(NEXT) | instid1(VALU_DEP_3)
	v_lshlrev_b32_e32 v34, 20, v34
	v_lshl_add_u32 v80, v80, 23, 0x3c000000
	s_delay_alu instid0(VALU_DEP_3) | instskip(NEXT) | instid1(VALU_DEP_1)
	v_and_b32_e32 v82, 0x80000000, v82
	v_or3_b32 v80, v34, v82, v80
.LBB2_2249:                             ;   in Loop: Header=BB2_1899 Depth=2
	s_or_b32 exec_lo, exec_lo, s29
.LBB2_2250:                             ;   in Loop: Header=BB2_1899 Depth=2
	s_delay_alu instid0(SALU_CYCLE_1)
	s_or_b32 exec_lo, exec_lo, s11
.LBB2_2251:                             ;   in Loop: Header=BB2_1899 Depth=2
	s_delay_alu instid0(SALU_CYCLE_1) | instskip(NEXT) | instid1(VALU_DEP_1)
	s_or_b32 exec_lo, exec_lo, s10
	v_add_f32_e32 v80, v81, v80
                                        ; implicit-def: $vgpr100
	s_mov_b32 s10, exec_lo
	s_delay_alu instid0(VALU_DEP_1) | instskip(SKIP_1) | instid1(VALU_DEP_2)
	v_and_b32_e32 v34, 0x7f800000, v80
	v_lshrrev_b32_e32 v81, 24, v80
	v_cmpx_ne_u64_e32 0x7f800000, v[34:35]
	s_xor_b32 s11, exec_lo, s10
	s_cbranch_execz .LBB2_2269
; %bb.2252:                             ;   in Loop: Header=BB2_1899 Depth=2
	v_and_b32_e32 v34, 0x7fffffff, v80
	v_and_b32_e32 v42, 0x80, v81
                                        ; implicit-def: $vgpr100
	s_mov_b32 s10, exec_lo
	s_delay_alu instid0(VALU_DEP_2)
	v_cmpx_gt_u64_e32 0x43e00001, v[34:35]
	s_xor_b32 s29, exec_lo, s10
	s_cbranch_execz .LBB2_2266
; %bb.2253:                             ;   in Loop: Header=BB2_1899 Depth=2
	v_mov_b32_e32 v100, 0
	s_mov_b32 s40, exec_lo
	v_cmpx_ne_u32_e32 0, v80
	s_cbranch_execz .LBB2_2265
; %bb.2254:                             ;   in Loop: Header=BB2_1899 Depth=2
	v_bfe_u32 v100, v80, 23, 8
	s_delay_alu instid0(VALU_DEP_1) | instskip(SKIP_1) | instid1(VALU_DEP_2)
	v_sub_nc_u32_e32 v34, 0x79, v100
	v_cmp_gt_u32_e32 vcc_lo, 0x7a, v100
	v_cndmask_b32_e32 v34, 0, v34, vcc_lo
	v_cmp_eq_u32_e32 vcc_lo, 0, v100
	s_delay_alu instid0(VALU_DEP_2) | instskip(SKIP_1) | instid1(VALU_DEP_2)
	v_cndmask_b32_e64 v43, v34, 0x78, vcc_lo
	v_and_b32_e32 v34, 0x7fffff, v80
	v_add_nc_u32_e32 v80, 20, v43
	s_delay_alu instid0(VALU_DEP_2) | instskip(SKIP_1) | instid1(VALU_DEP_3)
	v_or_b32_e32 v82, 0x800000, v34
	v_add_nc_u32_e32 v83, 19, v43
	v_lshlrev_b64_e64 v[80:81], v80, -1
	s_delay_alu instid0(VALU_DEP_3) | instskip(NEXT) | instid1(VALU_DEP_3)
	v_cndmask_b32_e32 v34, v82, v34, vcc_lo
	v_lshlrev_b64_e64 v[82:83], v83, 1
	s_delay_alu instid0(VALU_DEP_3) | instskip(NEXT) | instid1(VALU_DEP_3)
	v_bfi_b32 v45, v81, 0, 0
	v_bfi_b32 v44, v80, 0, v34
	v_lshrrev_b64 v[80:81], v43, v[34:35]
	s_delay_alu instid0(VALU_DEP_2) | instskip(NEXT) | instid1(VALU_DEP_2)
	v_cmp_eq_u64_e64 s10, v[44:45], v[82:83]
	v_mov_b64_e32 v[82:83], v[80:81]
	s_and_saveexec_b32 s41, s10
; %bb.2255:                             ;   in Loop: Header=BB2_1899 Depth=2
	v_bfe_u32 v34, v80, 20, 1
	s_delay_alu instid0(VALU_DEP_1) | instskip(NEXT) | instid1(VALU_DEP_1)
	v_add_nc_u64_e32 v[82:83], v[80:81], v[34:35]
	v_add_nc_u64_e32 v[82:83], -1, v[82:83]
; %bb.2256:                             ;   in Loop: Header=BB2_1899 Depth=2
	s_or_b32 exec_lo, exec_lo, s41
	v_add_nc_u32_e32 v34, 0xffffff81, v100
	v_lshrrev_b32_e32 v81, 23, v80
	s_mov_b32 s10, exec_lo
	s_delay_alu instid0(VALU_DEP_2) | instskip(NEXT) | instid1(VALU_DEP_1)
	v_cndmask_b32_e64 v34, v34, 0xffffff82, vcc_lo
	v_add3_u32 v83, v43, v34, v81
	v_and_b32_e32 v34, 0xfffff, v82
                                        ; implicit-def: $vgpr82
	s_delay_alu instid0(VALU_DEP_1) | instskip(NEXT) | instid1(VALU_DEP_1)
	v_dual_add_nc_u32 v100, 6, v83 :: v_dual_add_nc_u32 v34, v34, v80
                                        ; implicit-def: $vgpr80_vgpr81
	v_cmpx_ne_u32_e32 0, v100
	s_xor_b32 s10, exec_lo, s10
; %bb.2257:                             ;   in Loop: Header=BB2_1899 Depth=2
	s_delay_alu instid0(VALU_DEP_2) | instskip(SKIP_1) | instid1(VALU_DEP_1)
	v_cmp_lt_u64_e32 vcc_lo, 0xffffff, v[34:35]
	v_add_nc_u32_e32 v80, 7, v83
	v_cndmask_b32_e32 v82, v100, v80, vcc_lo
	v_cndmask_b32_e64 v80, 0, 1, vcc_lo
	s_delay_alu instid0(VALU_DEP_1)
	v_lshrrev_b64 v[80:81], v80, v[34:35]
; %bb.2258:                             ;   in Loop: Header=BB2_1899 Depth=2
	s_and_not1_saveexec_b32 s10, s10
; %bb.2259:                             ;   in Loop: Header=BB2_1899 Depth=2
	v_mov_b64_e32 v[80:81], v[34:35]
	v_bfe_u32 v82, v34, 23, 1
; %bb.2260:                             ;   in Loop: Header=BB2_1899 Depth=2
	s_or_b32 exec_lo, exec_lo, s10
	s_delay_alu instid0(VALU_DEP_2) | instskip(NEXT) | instid1(VALU_DEP_2)
	v_lshrrev_b64 v[80:81], 20, v[80:81]
	v_cmp_gt_i32_e32 vcc_lo, 16, v82
	v_cmp_ne_u32_e64 s10, 0, v82
                                        ; implicit-def: $vgpr100
	s_delay_alu instid0(VALU_DEP_3) | instskip(NEXT) | instid1(VALU_DEP_1)
	v_dual_cndmask_b32 v81, 0, v81 :: v_dual_cndmask_b32 v80, 7, v80
	v_cmp_ne_u64_e32 vcc_lo, 0, v[80:81]
	s_or_b32 s10, s10, vcc_lo
	s_delay_alu instid0(SALU_CYCLE_1) | instskip(NEXT) | instid1(SALU_CYCLE_1)
	s_and_saveexec_b32 s41, s10
	s_xor_b32 s10, exec_lo, s41
; %bb.2261:                             ;   in Loop: Header=BB2_1899 Depth=2
	v_min_i32_e32 v34, 15, v82
	s_delay_alu instid0(VALU_DEP_1) | instskip(NEXT) | instid1(VALU_DEP_1)
	v_lshl_or_b32 v34, v34, 3, v42
                                        ; implicit-def: $vgpr42
	v_and_or_b32 v100, v80, 7, v34
; %bb.2262:                             ;   in Loop: Header=BB2_1899 Depth=2
	s_and_not1_saveexec_b32 s10, s10
; %bb.2263:                             ;   in Loop: Header=BB2_1899 Depth=2
	v_mov_b32_e32 v100, v42
; %bb.2264:                             ;   in Loop: Header=BB2_1899 Depth=2
	s_or_b32 exec_lo, exec_lo, s10
.LBB2_2265:                             ;   in Loop: Header=BB2_1899 Depth=2
	s_delay_alu instid0(SALU_CYCLE_1)
	s_or_b32 exec_lo, exec_lo, s40
                                        ; implicit-def: $vgpr42
.LBB2_2266:                             ;   in Loop: Header=BB2_1899 Depth=2
	s_and_not1_saveexec_b32 s10, s29
; %bb.2267:                             ;   in Loop: Header=BB2_1899 Depth=2
	v_or_b32_e32 v100, 0x7e, v42
; %bb.2268:                             ;   in Loop: Header=BB2_1899 Depth=2
	s_or_b32 exec_lo, exec_lo, s10
                                        ; implicit-def: $vgpr81
.LBB2_2269:                             ;   in Loop: Header=BB2_1899 Depth=2
	s_and_not1_saveexec_b32 s10, s11
; %bb.2270:                             ;   in Loop: Header=BB2_1899 Depth=2
	v_or_b32_e32 v100, 0x7f, v81
; %bb.2271:                             ;   in Loop: Header=BB2_1899 Depth=2
	s_or_b32 exec_lo, exec_lo, s10
	v_and_b32_e32 v34, 0xff, v99
	v_dual_mov_b32 v80, 0 :: v_dual_mov_b32 v81, 0
	s_mov_b32 s10, exec_lo
	s_delay_alu instid0(VALU_DEP_2)
	v_cmpx_ne_u16_e32 0, v34
	s_cbranch_execz .LBB2_2279
; %bb.2272:                             ;   in Loop: Header=BB2_1899 Depth=2
	v_bfrev_b32_e32 v81, 1
	s_mov_b32 s11, exec_lo
	v_cmpx_ne_u16_e32 0x80, v34
	s_cbranch_execz .LBB2_2278
; %bb.2273:                             ;   in Loop: Header=BB2_1899 Depth=2
	v_and_b32_e32 v82, 0x7f, v99
	v_mov_b32_e32 v81, 0x7f800001
	s_mov_b32 s29, exec_lo
	s_delay_alu instid0(VALU_DEP_2)
	v_cmpx_ne_u32_e32 0x7f, v82
	s_cbranch_execz .LBB2_2277
; %bb.2274:                             ;   in Loop: Header=BB2_1899 Depth=2
	v_and_b32_e32 v34, 7, v34
	v_lshrrev_b32_e32 v81, 3, v82
	s_mov_b32 s40, exec_lo
	v_cmpx_gt_u32_e32 8, v82
; %bb.2275:                             ;   in Loop: Header=BB2_1899 Depth=2
	s_delay_alu instid0(VALU_DEP_3) | instskip(NEXT) | instid1(VALU_DEP_1)
	v_clz_i32_u32_e32 v81, v34
	v_min_u32_e32 v81, 32, v81
	s_delay_alu instid0(VALU_DEP_1) | instskip(NEXT) | instid1(VALU_DEP_1)
	v_subrev_nc_u32_e32 v82, 28, v81
	v_lshlrev_b64_e32 v[82:83], v82, v[34:35]
	s_delay_alu instid0(VALU_DEP_1)
	v_dual_sub_nc_u32 v81, 29, v81 :: v_dual_bitop2_b32 v34, 7, v82 bitop3:0x40
; %bb.2276:                             ;   in Loop: Header=BB2_1899 Depth=2
	s_or_b32 exec_lo, exec_lo, s40
	s_delay_alu instid0(VALU_DEP_1) | instskip(NEXT) | instid1(VALU_DEP_2)
	v_dual_lshlrev_b32 v82, 24, v99 :: v_dual_lshlrev_b32 v34, 20, v34
	v_lshl_add_u32 v81, v81, 23, 0x3c000000
	s_delay_alu instid0(VALU_DEP_2) | instskip(NEXT) | instid1(VALU_DEP_1)
	v_and_b32_e32 v82, 0x80000000, v82
	v_or3_b32 v81, v34, v82, v81
.LBB2_2277:                             ;   in Loop: Header=BB2_1899 Depth=2
	s_or_b32 exec_lo, exec_lo, s29
.LBB2_2278:                             ;   in Loop: Header=BB2_1899 Depth=2
	s_delay_alu instid0(SALU_CYCLE_1)
	s_or_b32 exec_lo, exec_lo, s11
.LBB2_2279:                             ;   in Loop: Header=BB2_1899 Depth=2
	s_delay_alu instid0(SALU_CYCLE_1) | instskip(SKIP_3) | instid1(VALU_DEP_1)
	s_or_b32 exec_lo, exec_lo, s10
	s_wait_loadcnt_dscnt 0x303
	v_and_b32_e32 v34, 0xff, v41
	s_mov_b32 s10, exec_lo
	v_cmpx_ne_u16_e32 0, v34
	s_cbranch_execz .LBB2_2287
; %bb.2280:                             ;   in Loop: Header=BB2_1899 Depth=2
	v_bfrev_b32_e32 v80, 1
	s_mov_b32 s11, exec_lo
	v_cmpx_ne_u16_e32 0x80, v34
	s_cbranch_execz .LBB2_2286
; %bb.2281:                             ;   in Loop: Header=BB2_1899 Depth=2
	v_and_b32_e32 v82, 0x7f, v41
	v_mov_b32_e32 v80, 0x7f800001
	s_mov_b32 s29, exec_lo
	s_delay_alu instid0(VALU_DEP_2)
	v_cmpx_ne_u32_e32 0x7f, v82
	s_cbranch_execz .LBB2_2285
; %bb.2282:                             ;   in Loop: Header=BB2_1899 Depth=2
	v_and_b32_e32 v34, 7, v34
	v_lshrrev_b32_e32 v80, 3, v82
	s_mov_b32 s40, exec_lo
	v_cmpx_gt_u32_e32 8, v82
; %bb.2283:                             ;   in Loop: Header=BB2_1899 Depth=2
	s_delay_alu instid0(VALU_DEP_3) | instskip(NEXT) | instid1(VALU_DEP_1)
	v_clz_i32_u32_e32 v80, v34
	v_min_u32_e32 v80, 32, v80
	s_delay_alu instid0(VALU_DEP_1) | instskip(NEXT) | instid1(VALU_DEP_1)
	v_subrev_nc_u32_e32 v82, 28, v80
	v_lshlrev_b64_e32 v[82:83], v82, v[34:35]
	s_delay_alu instid0(VALU_DEP_1)
	v_dual_sub_nc_u32 v80, 29, v80 :: v_dual_bitop2_b32 v34, 7, v82 bitop3:0x40
; %bb.2284:                             ;   in Loop: Header=BB2_1899 Depth=2
	s_or_b32 exec_lo, exec_lo, s40
	s_delay_alu instid0(VALU_DEP_1) | instskip(NEXT) | instid1(VALU_DEP_2)
	v_dual_lshlrev_b32 v82, 24, v41 :: v_dual_lshlrev_b32 v34, 20, v34
	v_lshl_add_u32 v80, v80, 23, 0x3c000000
	s_delay_alu instid0(VALU_DEP_2) | instskip(NEXT) | instid1(VALU_DEP_1)
	v_and_b32_e32 v82, 0x80000000, v82
	v_or3_b32 v80, v34, v82, v80
.LBB2_2285:                             ;   in Loop: Header=BB2_1899 Depth=2
	s_or_b32 exec_lo, exec_lo, s29
.LBB2_2286:                             ;   in Loop: Header=BB2_1899 Depth=2
	s_delay_alu instid0(SALU_CYCLE_1)
	s_or_b32 exec_lo, exec_lo, s11
.LBB2_2287:                             ;   in Loop: Header=BB2_1899 Depth=2
	s_delay_alu instid0(SALU_CYCLE_1) | instskip(NEXT) | instid1(VALU_DEP_1)
	s_or_b32 exec_lo, exec_lo, s10
	v_add_f32_e32 v80, v81, v80
                                        ; implicit-def: $vgpr99
	s_mov_b32 s10, exec_lo
	s_delay_alu instid0(VALU_DEP_1) | instskip(SKIP_1) | instid1(VALU_DEP_2)
	v_and_b32_e32 v34, 0x7f800000, v80
	v_lshrrev_b32_e32 v81, 24, v80
	v_cmpx_ne_u64_e32 0x7f800000, v[34:35]
	s_xor_b32 s11, exec_lo, s10
	s_cbranch_execz .LBB2_2305
; %bb.2288:                             ;   in Loop: Header=BB2_1899 Depth=2
	v_and_b32_e32 v34, 0x7fffffff, v80
	v_and_b32_e32 v41, 0x80, v81
                                        ; implicit-def: $vgpr99
	s_mov_b32 s10, exec_lo
	s_delay_alu instid0(VALU_DEP_2)
	v_cmpx_gt_u64_e32 0x43e00001, v[34:35]
	s_xor_b32 s29, exec_lo, s10
	s_cbranch_execz .LBB2_2302
; %bb.2289:                             ;   in Loop: Header=BB2_1899 Depth=2
	v_mov_b32_e32 v99, 0
	s_mov_b32 s40, exec_lo
	v_cmpx_ne_u32_e32 0, v80
	s_cbranch_execz .LBB2_2301
; %bb.2290:                             ;   in Loop: Header=BB2_1899 Depth=2
	v_bfe_u32 v99, v80, 23, 8
	s_delay_alu instid0(VALU_DEP_1) | instskip(SKIP_1) | instid1(VALU_DEP_2)
	v_sub_nc_u32_e32 v34, 0x79, v99
	v_cmp_gt_u32_e32 vcc_lo, 0x7a, v99
	v_cndmask_b32_e32 v34, 0, v34, vcc_lo
	v_cmp_eq_u32_e32 vcc_lo, 0, v99
	s_delay_alu instid0(VALU_DEP_2) | instskip(SKIP_1) | instid1(VALU_DEP_2)
	v_cndmask_b32_e64 v42, v34, 0x78, vcc_lo
	v_and_b32_e32 v34, 0x7fffff, v80
	v_dual_add_nc_u32 v80, 20, v42 :: v_dual_add_nc_u32 v83, 19, v42
	s_delay_alu instid0(VALU_DEP_2) | instskip(NEXT) | instid1(VALU_DEP_2)
	v_or_b32_e32 v82, 0x800000, v34
	v_lshlrev_b64_e64 v[80:81], v80, -1
	s_delay_alu instid0(VALU_DEP_2) | instskip(NEXT) | instid1(VALU_DEP_4)
	v_cndmask_b32_e32 v34, v82, v34, vcc_lo
	v_lshlrev_b64_e64 v[82:83], v83, 1
	s_delay_alu instid0(VALU_DEP_3) | instskip(NEXT) | instid1(VALU_DEP_3)
	v_bfi_b32 v45, v81, 0, 0
	v_bfi_b32 v44, v80, 0, v34
	v_lshrrev_b64 v[80:81], v42, v[34:35]
	s_delay_alu instid0(VALU_DEP_2) | instskip(NEXT) | instid1(VALU_DEP_2)
	v_cmp_eq_u64_e64 s10, v[44:45], v[82:83]
	v_mov_b64_e32 v[82:83], v[80:81]
	s_and_saveexec_b32 s41, s10
; %bb.2291:                             ;   in Loop: Header=BB2_1899 Depth=2
	v_bfe_u32 v34, v80, 20, 1
	s_delay_alu instid0(VALU_DEP_1) | instskip(NEXT) | instid1(VALU_DEP_1)
	v_add_nc_u64_e32 v[82:83], v[80:81], v[34:35]
	v_add_nc_u64_e32 v[82:83], -1, v[82:83]
; %bb.2292:                             ;   in Loop: Header=BB2_1899 Depth=2
	s_or_b32 exec_lo, exec_lo, s41
	v_add_nc_u32_e32 v34, 0xffffff81, v99
	v_lshrrev_b32_e32 v81, 23, v80
	s_mov_b32 s10, exec_lo
	s_delay_alu instid0(VALU_DEP_2) | instskip(NEXT) | instid1(VALU_DEP_1)
	v_cndmask_b32_e64 v34, v34, 0xffffff82, vcc_lo
	v_add3_u32 v83, v42, v34, v81
	v_and_b32_e32 v34, 0xfffff, v82
                                        ; implicit-def: $vgpr82
	s_delay_alu instid0(VALU_DEP_1) | instskip(NEXT) | instid1(VALU_DEP_1)
	v_dual_add_nc_u32 v99, 6, v83 :: v_dual_add_nc_u32 v34, v34, v80
                                        ; implicit-def: $vgpr80_vgpr81
	v_cmpx_ne_u32_e32 0, v99
	s_xor_b32 s10, exec_lo, s10
; %bb.2293:                             ;   in Loop: Header=BB2_1899 Depth=2
	s_delay_alu instid0(VALU_DEP_2) | instskip(SKIP_1) | instid1(VALU_DEP_1)
	v_cmp_lt_u64_e32 vcc_lo, 0xffffff, v[34:35]
	v_add_nc_u32_e32 v80, 7, v83
	v_cndmask_b32_e32 v82, v99, v80, vcc_lo
	v_cndmask_b32_e64 v80, 0, 1, vcc_lo
	s_delay_alu instid0(VALU_DEP_1)
	v_lshrrev_b64 v[80:81], v80, v[34:35]
; %bb.2294:                             ;   in Loop: Header=BB2_1899 Depth=2
	s_and_not1_saveexec_b32 s10, s10
; %bb.2295:                             ;   in Loop: Header=BB2_1899 Depth=2
	v_mov_b64_e32 v[80:81], v[34:35]
	v_bfe_u32 v82, v34, 23, 1
; %bb.2296:                             ;   in Loop: Header=BB2_1899 Depth=2
	s_or_b32 exec_lo, exec_lo, s10
	s_delay_alu instid0(VALU_DEP_2) | instskip(NEXT) | instid1(VALU_DEP_2)
	v_lshrrev_b64 v[80:81], 20, v[80:81]
	v_cmp_gt_i32_e32 vcc_lo, 16, v82
	v_cmp_ne_u32_e64 s10, 0, v82
                                        ; implicit-def: $vgpr99
	s_delay_alu instid0(VALU_DEP_3) | instskip(NEXT) | instid1(VALU_DEP_1)
	v_dual_cndmask_b32 v81, 0, v81 :: v_dual_cndmask_b32 v80, 7, v80
	v_cmp_ne_u64_e32 vcc_lo, 0, v[80:81]
	s_or_b32 s10, s10, vcc_lo
	s_delay_alu instid0(SALU_CYCLE_1) | instskip(NEXT) | instid1(SALU_CYCLE_1)
	s_and_saveexec_b32 s41, s10
	s_xor_b32 s10, exec_lo, s41
; %bb.2297:                             ;   in Loop: Header=BB2_1899 Depth=2
	v_min_i32_e32 v34, 15, v82
	s_delay_alu instid0(VALU_DEP_1) | instskip(NEXT) | instid1(VALU_DEP_1)
	v_lshl_or_b32 v34, v34, 3, v41
                                        ; implicit-def: $vgpr41
	v_and_or_b32 v99, v80, 7, v34
; %bb.2298:                             ;   in Loop: Header=BB2_1899 Depth=2
	s_and_not1_saveexec_b32 s10, s10
; %bb.2299:                             ;   in Loop: Header=BB2_1899 Depth=2
	v_mov_b32_e32 v99, v41
; %bb.2300:                             ;   in Loop: Header=BB2_1899 Depth=2
	s_or_b32 exec_lo, exec_lo, s10
.LBB2_2301:                             ;   in Loop: Header=BB2_1899 Depth=2
	s_delay_alu instid0(SALU_CYCLE_1)
	s_or_b32 exec_lo, exec_lo, s40
                                        ; implicit-def: $vgpr41
.LBB2_2302:                             ;   in Loop: Header=BB2_1899 Depth=2
	s_and_not1_saveexec_b32 s10, s29
; %bb.2303:                             ;   in Loop: Header=BB2_1899 Depth=2
	v_or_b32_e32 v99, 0x7e, v41
; %bb.2304:                             ;   in Loop: Header=BB2_1899 Depth=2
	s_or_b32 exec_lo, exec_lo, s10
                                        ; implicit-def: $vgpr81
.LBB2_2305:                             ;   in Loop: Header=BB2_1899 Depth=2
	s_and_not1_saveexec_b32 s10, s11
; %bb.2306:                             ;   in Loop: Header=BB2_1899 Depth=2
	v_or_b32_e32 v99, 0x7f, v81
; %bb.2307:                             ;   in Loop: Header=BB2_1899 Depth=2
	s_or_b32 exec_lo, exec_lo, s10
	v_and_b32_e32 v34, 0xff, v98
	v_dual_mov_b32 v80, 0 :: v_dual_mov_b32 v81, 0
	s_mov_b32 s10, exec_lo
	s_delay_alu instid0(VALU_DEP_2)
	v_cmpx_ne_u16_e32 0, v34
	s_cbranch_execz .LBB2_2315
; %bb.2308:                             ;   in Loop: Header=BB2_1899 Depth=2
	v_bfrev_b32_e32 v81, 1
	s_mov_b32 s11, exec_lo
	v_cmpx_ne_u16_e32 0x80, v34
	s_cbranch_execz .LBB2_2314
; %bb.2309:                             ;   in Loop: Header=BB2_1899 Depth=2
	v_and_b32_e32 v82, 0x7f, v98
	v_mov_b32_e32 v81, 0x7f800001
	s_mov_b32 s29, exec_lo
	s_delay_alu instid0(VALU_DEP_2)
	v_cmpx_ne_u32_e32 0x7f, v82
	s_cbranch_execz .LBB2_2313
; %bb.2310:                             ;   in Loop: Header=BB2_1899 Depth=2
	v_and_b32_e32 v34, 7, v34
	v_lshrrev_b32_e32 v81, 3, v82
	s_mov_b32 s40, exec_lo
	v_cmpx_gt_u32_e32 8, v82
; %bb.2311:                             ;   in Loop: Header=BB2_1899 Depth=2
	s_delay_alu instid0(VALU_DEP_3) | instskip(NEXT) | instid1(VALU_DEP_1)
	v_clz_i32_u32_e32 v81, v34
	v_min_u32_e32 v81, 32, v81
	s_delay_alu instid0(VALU_DEP_1) | instskip(NEXT) | instid1(VALU_DEP_1)
	v_subrev_nc_u32_e32 v82, 28, v81
	v_lshlrev_b64_e32 v[82:83], v82, v[34:35]
	s_delay_alu instid0(VALU_DEP_1)
	v_dual_sub_nc_u32 v81, 29, v81 :: v_dual_bitop2_b32 v34, 7, v82 bitop3:0x40
; %bb.2312:                             ;   in Loop: Header=BB2_1899 Depth=2
	s_or_b32 exec_lo, exec_lo, s40
	v_lshlrev_b32_e32 v82, 24, v98
	s_delay_alu instid0(VALU_DEP_2) | instskip(NEXT) | instid1(VALU_DEP_3)
	v_lshlrev_b32_e32 v34, 20, v34
	v_lshl_add_u32 v81, v81, 23, 0x3c000000
	s_delay_alu instid0(VALU_DEP_3) | instskip(NEXT) | instid1(VALU_DEP_1)
	v_and_b32_e32 v82, 0x80000000, v82
	v_or3_b32 v81, v34, v82, v81
.LBB2_2313:                             ;   in Loop: Header=BB2_1899 Depth=2
	s_or_b32 exec_lo, exec_lo, s29
.LBB2_2314:                             ;   in Loop: Header=BB2_1899 Depth=2
	s_delay_alu instid0(SALU_CYCLE_1)
	s_or_b32 exec_lo, exec_lo, s11
.LBB2_2315:                             ;   in Loop: Header=BB2_1899 Depth=2
	s_delay_alu instid0(SALU_CYCLE_1) | instskip(SKIP_3) | instid1(VALU_DEP_1)
	s_or_b32 exec_lo, exec_lo, s10
	s_wait_loadcnt_dscnt 0x202
	v_and_b32_e32 v34, 0xff, v40
	s_mov_b32 s10, exec_lo
	v_cmpx_ne_u16_e32 0, v34
	s_cbranch_execz .LBB2_2323
; %bb.2316:                             ;   in Loop: Header=BB2_1899 Depth=2
	v_bfrev_b32_e32 v80, 1
	s_mov_b32 s11, exec_lo
	v_cmpx_ne_u16_e32 0x80, v34
	s_cbranch_execz .LBB2_2322
; %bb.2317:                             ;   in Loop: Header=BB2_1899 Depth=2
	v_and_b32_e32 v82, 0x7f, v40
	v_mov_b32_e32 v80, 0x7f800001
	s_mov_b32 s29, exec_lo
	s_delay_alu instid0(VALU_DEP_2)
	v_cmpx_ne_u32_e32 0x7f, v82
	s_cbranch_execz .LBB2_2321
; %bb.2318:                             ;   in Loop: Header=BB2_1899 Depth=2
	v_and_b32_e32 v34, 7, v34
	v_lshrrev_b32_e32 v80, 3, v82
	s_mov_b32 s40, exec_lo
	v_cmpx_gt_u32_e32 8, v82
; %bb.2319:                             ;   in Loop: Header=BB2_1899 Depth=2
	s_delay_alu instid0(VALU_DEP_3) | instskip(NEXT) | instid1(VALU_DEP_1)
	v_clz_i32_u32_e32 v80, v34
	v_min_u32_e32 v80, 32, v80
	s_delay_alu instid0(VALU_DEP_1) | instskip(NEXT) | instid1(VALU_DEP_1)
	v_subrev_nc_u32_e32 v82, 28, v80
	v_lshlrev_b64_e32 v[82:83], v82, v[34:35]
	s_delay_alu instid0(VALU_DEP_1)
	v_dual_sub_nc_u32 v80, 29, v80 :: v_dual_bitop2_b32 v34, 7, v82 bitop3:0x40
; %bb.2320:                             ;   in Loop: Header=BB2_1899 Depth=2
	s_or_b32 exec_lo, exec_lo, s40
	s_delay_alu instid0(VALU_DEP_1) | instskip(NEXT) | instid1(VALU_DEP_2)
	v_dual_lshlrev_b32 v82, 24, v40 :: v_dual_lshlrev_b32 v34, 20, v34
	v_lshl_add_u32 v80, v80, 23, 0x3c000000
	s_delay_alu instid0(VALU_DEP_2) | instskip(NEXT) | instid1(VALU_DEP_1)
	v_and_b32_e32 v82, 0x80000000, v82
	v_or3_b32 v80, v34, v82, v80
.LBB2_2321:                             ;   in Loop: Header=BB2_1899 Depth=2
	s_or_b32 exec_lo, exec_lo, s29
.LBB2_2322:                             ;   in Loop: Header=BB2_1899 Depth=2
	s_delay_alu instid0(SALU_CYCLE_1)
	s_or_b32 exec_lo, exec_lo, s11
.LBB2_2323:                             ;   in Loop: Header=BB2_1899 Depth=2
	s_delay_alu instid0(SALU_CYCLE_1) | instskip(NEXT) | instid1(VALU_DEP_1)
	s_or_b32 exec_lo, exec_lo, s10
	v_add_f32_e32 v80, v81, v80
                                        ; implicit-def: $vgpr98
	s_mov_b32 s10, exec_lo
	s_delay_alu instid0(VALU_DEP_1) | instskip(SKIP_1) | instid1(VALU_DEP_2)
	v_and_b32_e32 v34, 0x7f800000, v80
	v_lshrrev_b32_e32 v81, 24, v80
	v_cmpx_ne_u64_e32 0x7f800000, v[34:35]
	s_xor_b32 s11, exec_lo, s10
	s_cbranch_execz .LBB2_2341
; %bb.2324:                             ;   in Loop: Header=BB2_1899 Depth=2
	v_and_b32_e32 v34, 0x7fffffff, v80
	v_and_b32_e32 v40, 0x80, v81
                                        ; implicit-def: $vgpr98
	s_mov_b32 s10, exec_lo
	s_delay_alu instid0(VALU_DEP_2)
	v_cmpx_gt_u64_e32 0x43e00001, v[34:35]
	s_xor_b32 s29, exec_lo, s10
	s_cbranch_execz .LBB2_2338
; %bb.2325:                             ;   in Loop: Header=BB2_1899 Depth=2
	v_mov_b32_e32 v98, 0
	s_mov_b32 s40, exec_lo
	v_cmpx_ne_u32_e32 0, v80
	s_cbranch_execz .LBB2_2337
; %bb.2326:                             ;   in Loop: Header=BB2_1899 Depth=2
	v_bfe_u32 v98, v80, 23, 8
	s_delay_alu instid0(VALU_DEP_1) | instskip(SKIP_1) | instid1(VALU_DEP_2)
	v_sub_nc_u32_e32 v34, 0x79, v98
	v_cmp_gt_u32_e32 vcc_lo, 0x7a, v98
	v_cndmask_b32_e32 v34, 0, v34, vcc_lo
	v_cmp_eq_u32_e32 vcc_lo, 0, v98
	s_delay_alu instid0(VALU_DEP_2) | instskip(SKIP_1) | instid1(VALU_DEP_2)
	v_cndmask_b32_e64 v41, v34, 0x78, vcc_lo
	v_and_b32_e32 v34, 0x7fffff, v80
	v_add_nc_u32_e32 v80, 20, v41
	s_delay_alu instid0(VALU_DEP_2) | instskip(SKIP_1) | instid1(VALU_DEP_3)
	v_or_b32_e32 v82, 0x800000, v34
	v_add_nc_u32_e32 v83, 19, v41
	v_lshlrev_b64_e64 v[80:81], v80, -1
	s_delay_alu instid0(VALU_DEP_3) | instskip(NEXT) | instid1(VALU_DEP_3)
	v_cndmask_b32_e32 v34, v82, v34, vcc_lo
	v_lshlrev_b64_e64 v[82:83], v83, 1
	s_delay_alu instid0(VALU_DEP_3) | instskip(NEXT) | instid1(VALU_DEP_3)
	v_bfi_b32 v43, v81, 0, 0
	v_bfi_b32 v42, v80, 0, v34
	v_lshrrev_b64 v[80:81], v41, v[34:35]
	s_delay_alu instid0(VALU_DEP_2) | instskip(NEXT) | instid1(VALU_DEP_2)
	v_cmp_eq_u64_e64 s10, v[42:43], v[82:83]
	v_mov_b64_e32 v[82:83], v[80:81]
	s_and_saveexec_b32 s41, s10
; %bb.2327:                             ;   in Loop: Header=BB2_1899 Depth=2
	v_bfe_u32 v34, v80, 20, 1
	s_delay_alu instid0(VALU_DEP_1) | instskip(NEXT) | instid1(VALU_DEP_1)
	v_add_nc_u64_e32 v[82:83], v[80:81], v[34:35]
	v_add_nc_u64_e32 v[82:83], -1, v[82:83]
; %bb.2328:                             ;   in Loop: Header=BB2_1899 Depth=2
	s_or_b32 exec_lo, exec_lo, s41
	v_add_nc_u32_e32 v34, 0xffffff81, v98
	v_lshrrev_b32_e32 v81, 23, v80
	s_mov_b32 s10, exec_lo
	s_delay_alu instid0(VALU_DEP_2) | instskip(NEXT) | instid1(VALU_DEP_1)
	v_cndmask_b32_e64 v34, v34, 0xffffff82, vcc_lo
	v_add3_u32 v83, v41, v34, v81
	v_and_b32_e32 v34, 0xfffff, v82
                                        ; implicit-def: $vgpr82
	s_delay_alu instid0(VALU_DEP_1) | instskip(NEXT) | instid1(VALU_DEP_1)
	v_dual_add_nc_u32 v98, 6, v83 :: v_dual_add_nc_u32 v34, v34, v80
                                        ; implicit-def: $vgpr80_vgpr81
	v_cmpx_ne_u32_e32 0, v98
	s_xor_b32 s10, exec_lo, s10
; %bb.2329:                             ;   in Loop: Header=BB2_1899 Depth=2
	s_delay_alu instid0(VALU_DEP_2) | instskip(SKIP_1) | instid1(VALU_DEP_1)
	v_cmp_lt_u64_e32 vcc_lo, 0xffffff, v[34:35]
	v_add_nc_u32_e32 v80, 7, v83
	v_cndmask_b32_e32 v82, v98, v80, vcc_lo
	v_cndmask_b32_e64 v80, 0, 1, vcc_lo
	s_delay_alu instid0(VALU_DEP_1)
	v_lshrrev_b64 v[80:81], v80, v[34:35]
; %bb.2330:                             ;   in Loop: Header=BB2_1899 Depth=2
	s_and_not1_saveexec_b32 s10, s10
; %bb.2331:                             ;   in Loop: Header=BB2_1899 Depth=2
	v_mov_b64_e32 v[80:81], v[34:35]
	v_bfe_u32 v82, v34, 23, 1
; %bb.2332:                             ;   in Loop: Header=BB2_1899 Depth=2
	s_or_b32 exec_lo, exec_lo, s10
	s_delay_alu instid0(VALU_DEP_2) | instskip(NEXT) | instid1(VALU_DEP_2)
	v_lshrrev_b64 v[80:81], 20, v[80:81]
	v_cmp_gt_i32_e32 vcc_lo, 16, v82
	v_cmp_ne_u32_e64 s10, 0, v82
                                        ; implicit-def: $vgpr98
	s_delay_alu instid0(VALU_DEP_3) | instskip(NEXT) | instid1(VALU_DEP_1)
	v_dual_cndmask_b32 v81, 0, v81 :: v_dual_cndmask_b32 v80, 7, v80
	v_cmp_ne_u64_e32 vcc_lo, 0, v[80:81]
	s_or_b32 s10, s10, vcc_lo
	s_delay_alu instid0(SALU_CYCLE_1) | instskip(NEXT) | instid1(SALU_CYCLE_1)
	s_and_saveexec_b32 s41, s10
	s_xor_b32 s10, exec_lo, s41
; %bb.2333:                             ;   in Loop: Header=BB2_1899 Depth=2
	v_min_i32_e32 v34, 15, v82
	s_delay_alu instid0(VALU_DEP_1) | instskip(NEXT) | instid1(VALU_DEP_1)
	v_lshl_or_b32 v34, v34, 3, v40
                                        ; implicit-def: $vgpr40
	v_and_or_b32 v98, v80, 7, v34
; %bb.2334:                             ;   in Loop: Header=BB2_1899 Depth=2
	s_and_not1_saveexec_b32 s10, s10
; %bb.2335:                             ;   in Loop: Header=BB2_1899 Depth=2
	v_mov_b32_e32 v98, v40
; %bb.2336:                             ;   in Loop: Header=BB2_1899 Depth=2
	s_or_b32 exec_lo, exec_lo, s10
.LBB2_2337:                             ;   in Loop: Header=BB2_1899 Depth=2
	s_delay_alu instid0(SALU_CYCLE_1)
	s_or_b32 exec_lo, exec_lo, s40
                                        ; implicit-def: $vgpr40
.LBB2_2338:                             ;   in Loop: Header=BB2_1899 Depth=2
	s_and_not1_saveexec_b32 s10, s29
; %bb.2339:                             ;   in Loop: Header=BB2_1899 Depth=2
	v_or_b32_e32 v98, 0x7e, v40
; %bb.2340:                             ;   in Loop: Header=BB2_1899 Depth=2
	s_or_b32 exec_lo, exec_lo, s10
                                        ; implicit-def: $vgpr81
.LBB2_2341:                             ;   in Loop: Header=BB2_1899 Depth=2
	s_and_not1_saveexec_b32 s10, s11
; %bb.2342:                             ;   in Loop: Header=BB2_1899 Depth=2
	v_or_b32_e32 v98, 0x7f, v81
; %bb.2343:                             ;   in Loop: Header=BB2_1899 Depth=2
	s_or_b32 exec_lo, exec_lo, s10
	v_and_b32_e32 v34, 0xff, v97
	v_dual_mov_b32 v80, 0 :: v_dual_mov_b32 v81, 0
	s_mov_b32 s10, exec_lo
	s_delay_alu instid0(VALU_DEP_2)
	v_cmpx_ne_u16_e32 0, v34
	s_cbranch_execz .LBB2_2351
; %bb.2344:                             ;   in Loop: Header=BB2_1899 Depth=2
	v_bfrev_b32_e32 v81, 1
	s_mov_b32 s11, exec_lo
	v_cmpx_ne_u16_e32 0x80, v34
	s_cbranch_execz .LBB2_2350
; %bb.2345:                             ;   in Loop: Header=BB2_1899 Depth=2
	v_and_b32_e32 v82, 0x7f, v97
	v_mov_b32_e32 v81, 0x7f800001
	s_mov_b32 s29, exec_lo
	s_delay_alu instid0(VALU_DEP_2)
	v_cmpx_ne_u32_e32 0x7f, v82
	s_cbranch_execz .LBB2_2349
; %bb.2346:                             ;   in Loop: Header=BB2_1899 Depth=2
	v_and_b32_e32 v34, 7, v34
	v_lshrrev_b32_e32 v81, 3, v82
	s_mov_b32 s40, exec_lo
	v_cmpx_gt_u32_e32 8, v82
; %bb.2347:                             ;   in Loop: Header=BB2_1899 Depth=2
	s_delay_alu instid0(VALU_DEP_3) | instskip(NEXT) | instid1(VALU_DEP_1)
	v_clz_i32_u32_e32 v81, v34
	v_min_u32_e32 v81, 32, v81
	s_delay_alu instid0(VALU_DEP_1) | instskip(NEXT) | instid1(VALU_DEP_1)
	v_subrev_nc_u32_e32 v82, 28, v81
	v_lshlrev_b64_e32 v[82:83], v82, v[34:35]
	s_delay_alu instid0(VALU_DEP_1)
	v_dual_sub_nc_u32 v81, 29, v81 :: v_dual_bitop2_b32 v34, 7, v82 bitop3:0x40
; %bb.2348:                             ;   in Loop: Header=BB2_1899 Depth=2
	s_or_b32 exec_lo, exec_lo, s40
	s_delay_alu instid0(VALU_DEP_1) | instskip(NEXT) | instid1(VALU_DEP_2)
	v_dual_lshlrev_b32 v82, 24, v97 :: v_dual_lshlrev_b32 v34, 20, v34
	v_lshl_add_u32 v81, v81, 23, 0x3c000000
	s_delay_alu instid0(VALU_DEP_2) | instskip(NEXT) | instid1(VALU_DEP_1)
	v_and_b32_e32 v82, 0x80000000, v82
	v_or3_b32 v81, v34, v82, v81
.LBB2_2349:                             ;   in Loop: Header=BB2_1899 Depth=2
	s_or_b32 exec_lo, exec_lo, s29
.LBB2_2350:                             ;   in Loop: Header=BB2_1899 Depth=2
	s_delay_alu instid0(SALU_CYCLE_1)
	s_or_b32 exec_lo, exec_lo, s11
.LBB2_2351:                             ;   in Loop: Header=BB2_1899 Depth=2
	s_delay_alu instid0(SALU_CYCLE_1) | instskip(SKIP_3) | instid1(VALU_DEP_1)
	s_or_b32 exec_lo, exec_lo, s10
	s_wait_loadcnt_dscnt 0x101
	v_and_b32_e32 v34, 0xff, v118
	s_mov_b32 s10, exec_lo
	v_cmpx_ne_u16_e32 0, v34
	s_cbranch_execz .LBB2_2359
; %bb.2352:                             ;   in Loop: Header=BB2_1899 Depth=2
	v_bfrev_b32_e32 v80, 1
	s_mov_b32 s11, exec_lo
	v_cmpx_ne_u16_e32 0x80, v34
	s_cbranch_execz .LBB2_2358
; %bb.2353:                             ;   in Loop: Header=BB2_1899 Depth=2
	v_and_b32_e32 v82, 0x7f, v118
	v_mov_b32_e32 v80, 0x7f800001
	s_mov_b32 s29, exec_lo
	s_delay_alu instid0(VALU_DEP_2)
	v_cmpx_ne_u32_e32 0x7f, v82
	s_cbranch_execz .LBB2_2357
; %bb.2354:                             ;   in Loop: Header=BB2_1899 Depth=2
	v_and_b32_e32 v34, 7, v34
	v_lshrrev_b32_e32 v80, 3, v82
	s_mov_b32 s40, exec_lo
	v_cmpx_gt_u32_e32 8, v82
; %bb.2355:                             ;   in Loop: Header=BB2_1899 Depth=2
	s_delay_alu instid0(VALU_DEP_3) | instskip(NEXT) | instid1(VALU_DEP_1)
	v_clz_i32_u32_e32 v80, v34
	v_min_u32_e32 v80, 32, v80
	s_delay_alu instid0(VALU_DEP_1) | instskip(NEXT) | instid1(VALU_DEP_1)
	v_subrev_nc_u32_e32 v82, 28, v80
	v_lshlrev_b64_e32 v[82:83], v82, v[34:35]
	s_delay_alu instid0(VALU_DEP_1)
	v_dual_sub_nc_u32 v80, 29, v80 :: v_dual_bitop2_b32 v34, 7, v82 bitop3:0x40
; %bb.2356:                             ;   in Loop: Header=BB2_1899 Depth=2
	s_or_b32 exec_lo, exec_lo, s40
	v_lshlrev_b32_e32 v82, 24, v118
	s_delay_alu instid0(VALU_DEP_2) | instskip(NEXT) | instid1(VALU_DEP_3)
	v_lshlrev_b32_e32 v34, 20, v34
	v_lshl_add_u32 v80, v80, 23, 0x3c000000
	s_delay_alu instid0(VALU_DEP_3) | instskip(NEXT) | instid1(VALU_DEP_1)
	v_and_b32_e32 v82, 0x80000000, v82
	v_or3_b32 v80, v34, v82, v80
.LBB2_2357:                             ;   in Loop: Header=BB2_1899 Depth=2
	s_or_b32 exec_lo, exec_lo, s29
.LBB2_2358:                             ;   in Loop: Header=BB2_1899 Depth=2
	s_delay_alu instid0(SALU_CYCLE_1)
	s_or_b32 exec_lo, exec_lo, s11
.LBB2_2359:                             ;   in Loop: Header=BB2_1899 Depth=2
	s_delay_alu instid0(SALU_CYCLE_1) | instskip(NEXT) | instid1(VALU_DEP_1)
	s_or_b32 exec_lo, exec_lo, s10
	v_add_f32_e32 v80, v81, v80
                                        ; implicit-def: $vgpr97
	s_mov_b32 s10, exec_lo
	s_delay_alu instid0(VALU_DEP_1) | instskip(SKIP_1) | instid1(VALU_DEP_2)
	v_and_b32_e32 v34, 0x7f800000, v80
	v_lshrrev_b32_e32 v81, 24, v80
	v_cmpx_ne_u64_e32 0x7f800000, v[34:35]
	s_xor_b32 s11, exec_lo, s10
	s_cbranch_execz .LBB2_2377
; %bb.2360:                             ;   in Loop: Header=BB2_1899 Depth=2
	v_and_b32_e32 v34, 0x7fffffff, v80
	v_and_b32_e32 v118, 0x80, v81
                                        ; implicit-def: $vgpr97
	s_mov_b32 s10, exec_lo
	s_delay_alu instid0(VALU_DEP_2)
	v_cmpx_gt_u64_e32 0x43e00001, v[34:35]
	s_xor_b32 s29, exec_lo, s10
	s_cbranch_execz .LBB2_2374
; %bb.2361:                             ;   in Loop: Header=BB2_1899 Depth=2
	v_mov_b32_e32 v97, 0
	s_mov_b32 s40, exec_lo
	v_cmpx_ne_u32_e32 0, v80
	s_cbranch_execz .LBB2_2373
; %bb.2362:                             ;   in Loop: Header=BB2_1899 Depth=2
	v_bfe_u32 v97, v80, 23, 8
	s_delay_alu instid0(VALU_DEP_1) | instskip(SKIP_1) | instid1(VALU_DEP_2)
	v_sub_nc_u32_e32 v34, 0x79, v97
	v_cmp_gt_u32_e32 vcc_lo, 0x7a, v97
	v_cndmask_b32_e32 v34, 0, v34, vcc_lo
	v_cmp_eq_u32_e32 vcc_lo, 0, v97
	s_delay_alu instid0(VALU_DEP_2) | instskip(SKIP_1) | instid1(VALU_DEP_2)
	v_cndmask_b32_e64 v40, v34, 0x78, vcc_lo
	v_and_b32_e32 v34, 0x7fffff, v80
	v_add_nc_u32_e32 v80, 20, v40
	s_delay_alu instid0(VALU_DEP_2) | instskip(SKIP_1) | instid1(VALU_DEP_3)
	v_or_b32_e32 v82, 0x800000, v34
	v_add_nc_u32_e32 v83, 19, v40
	v_lshlrev_b64_e64 v[80:81], v80, -1
	s_delay_alu instid0(VALU_DEP_3) | instskip(NEXT) | instid1(VALU_DEP_3)
	v_cndmask_b32_e32 v34, v82, v34, vcc_lo
	v_lshlrev_b64_e64 v[82:83], v83, 1
	s_delay_alu instid0(VALU_DEP_3) | instskip(NEXT) | instid1(VALU_DEP_3)
	v_bfi_b32 v43, v81, 0, 0
	v_bfi_b32 v42, v80, 0, v34
	v_lshrrev_b64 v[80:81], v40, v[34:35]
	s_delay_alu instid0(VALU_DEP_2) | instskip(NEXT) | instid1(VALU_DEP_2)
	v_cmp_eq_u64_e64 s10, v[42:43], v[82:83]
	v_mov_b64_e32 v[82:83], v[80:81]
	s_and_saveexec_b32 s41, s10
; %bb.2363:                             ;   in Loop: Header=BB2_1899 Depth=2
	v_bfe_u32 v34, v80, 20, 1
	s_delay_alu instid0(VALU_DEP_1) | instskip(NEXT) | instid1(VALU_DEP_1)
	v_add_nc_u64_e32 v[82:83], v[80:81], v[34:35]
	v_add_nc_u64_e32 v[82:83], -1, v[82:83]
; %bb.2364:                             ;   in Loop: Header=BB2_1899 Depth=2
	s_or_b32 exec_lo, exec_lo, s41
	v_add_nc_u32_e32 v34, 0xffffff81, v97
	v_lshrrev_b32_e32 v81, 23, v80
	s_mov_b32 s10, exec_lo
	s_delay_alu instid0(VALU_DEP_2) | instskip(NEXT) | instid1(VALU_DEP_1)
	v_cndmask_b32_e64 v34, v34, 0xffffff82, vcc_lo
	v_add3_u32 v83, v40, v34, v81
	v_and_b32_e32 v34, 0xfffff, v82
                                        ; implicit-def: $vgpr82
	s_delay_alu instid0(VALU_DEP_1) | instskip(NEXT) | instid1(VALU_DEP_1)
	v_dual_add_nc_u32 v97, 6, v83 :: v_dual_add_nc_u32 v34, v34, v80
                                        ; implicit-def: $vgpr80_vgpr81
	v_cmpx_ne_u32_e32 0, v97
	s_xor_b32 s10, exec_lo, s10
; %bb.2365:                             ;   in Loop: Header=BB2_1899 Depth=2
	s_delay_alu instid0(VALU_DEP_2) | instskip(SKIP_1) | instid1(VALU_DEP_1)
	v_cmp_lt_u64_e32 vcc_lo, 0xffffff, v[34:35]
	v_add_nc_u32_e32 v80, 7, v83
	v_cndmask_b32_e32 v82, v97, v80, vcc_lo
	v_cndmask_b32_e64 v80, 0, 1, vcc_lo
	s_delay_alu instid0(VALU_DEP_1)
	v_lshrrev_b64 v[80:81], v80, v[34:35]
; %bb.2366:                             ;   in Loop: Header=BB2_1899 Depth=2
	s_and_not1_saveexec_b32 s10, s10
; %bb.2367:                             ;   in Loop: Header=BB2_1899 Depth=2
	v_mov_b64_e32 v[80:81], v[34:35]
	v_bfe_u32 v82, v34, 23, 1
; %bb.2368:                             ;   in Loop: Header=BB2_1899 Depth=2
	s_or_b32 exec_lo, exec_lo, s10
	s_delay_alu instid0(VALU_DEP_2) | instskip(NEXT) | instid1(VALU_DEP_2)
	v_lshrrev_b64 v[80:81], 20, v[80:81]
	v_cmp_gt_i32_e32 vcc_lo, 16, v82
	v_cmp_ne_u32_e64 s10, 0, v82
                                        ; implicit-def: $vgpr97
	s_delay_alu instid0(VALU_DEP_3) | instskip(NEXT) | instid1(VALU_DEP_1)
	v_dual_cndmask_b32 v81, 0, v81 :: v_dual_cndmask_b32 v80, 7, v80
	v_cmp_ne_u64_e32 vcc_lo, 0, v[80:81]
	s_or_b32 s10, s10, vcc_lo
	s_delay_alu instid0(SALU_CYCLE_1) | instskip(NEXT) | instid1(SALU_CYCLE_1)
	s_and_saveexec_b32 s41, s10
	s_xor_b32 s10, exec_lo, s41
; %bb.2369:                             ;   in Loop: Header=BB2_1899 Depth=2
	v_min_i32_e32 v34, 15, v82
	s_delay_alu instid0(VALU_DEP_1) | instskip(NEXT) | instid1(VALU_DEP_1)
	v_lshl_or_b32 v34, v34, 3, v118
                                        ; implicit-def: $vgpr118
	v_and_or_b32 v97, v80, 7, v34
; %bb.2370:                             ;   in Loop: Header=BB2_1899 Depth=2
	s_and_not1_saveexec_b32 s10, s10
; %bb.2371:                             ;   in Loop: Header=BB2_1899 Depth=2
	v_mov_b32_e32 v97, v118
; %bb.2372:                             ;   in Loop: Header=BB2_1899 Depth=2
	s_or_b32 exec_lo, exec_lo, s10
.LBB2_2373:                             ;   in Loop: Header=BB2_1899 Depth=2
	s_delay_alu instid0(SALU_CYCLE_1)
	s_or_b32 exec_lo, exec_lo, s40
                                        ; implicit-def: $vgpr118
.LBB2_2374:                             ;   in Loop: Header=BB2_1899 Depth=2
	s_and_not1_saveexec_b32 s10, s29
; %bb.2375:                             ;   in Loop: Header=BB2_1899 Depth=2
	v_or_b32_e32 v97, 0x7e, v118
; %bb.2376:                             ;   in Loop: Header=BB2_1899 Depth=2
	s_or_b32 exec_lo, exec_lo, s10
                                        ; implicit-def: $vgpr81
.LBB2_2377:                             ;   in Loop: Header=BB2_1899 Depth=2
	s_and_not1_saveexec_b32 s10, s11
; %bb.2378:                             ;   in Loop: Header=BB2_1899 Depth=2
	v_or_b32_e32 v97, 0x7f, v81
; %bb.2379:                             ;   in Loop: Header=BB2_1899 Depth=2
	s_or_b32 exec_lo, exec_lo, s10
	v_and_b32_e32 v34, 0xff, v86
	v_dual_mov_b32 v80, 0 :: v_dual_mov_b32 v81, 0
	s_mov_b32 s10, exec_lo
	s_delay_alu instid0(VALU_DEP_2)
	v_cmpx_ne_u16_e32 0, v34
	s_cbranch_execz .LBB2_2387
; %bb.2380:                             ;   in Loop: Header=BB2_1899 Depth=2
	v_bfrev_b32_e32 v81, 1
	s_mov_b32 s11, exec_lo
	v_cmpx_ne_u16_e32 0x80, v34
	s_cbranch_execz .LBB2_2386
; %bb.2381:                             ;   in Loop: Header=BB2_1899 Depth=2
	v_and_b32_e32 v82, 0x7f, v86
	v_mov_b32_e32 v81, 0x7f800001
	s_mov_b32 s29, exec_lo
	s_delay_alu instid0(VALU_DEP_2)
	v_cmpx_ne_u32_e32 0x7f, v82
	s_cbranch_execz .LBB2_2385
; %bb.2382:                             ;   in Loop: Header=BB2_1899 Depth=2
	v_and_b32_e32 v34, 7, v34
	v_lshrrev_b32_e32 v81, 3, v82
	s_mov_b32 s40, exec_lo
	v_cmpx_gt_u32_e32 8, v82
; %bb.2383:                             ;   in Loop: Header=BB2_1899 Depth=2
	s_delay_alu instid0(VALU_DEP_3) | instskip(NEXT) | instid1(VALU_DEP_1)
	v_clz_i32_u32_e32 v81, v34
	v_min_u32_e32 v81, 32, v81
	s_delay_alu instid0(VALU_DEP_1) | instskip(NEXT) | instid1(VALU_DEP_1)
	v_subrev_nc_u32_e32 v82, 28, v81
	v_lshlrev_b64_e32 v[82:83], v82, v[34:35]
	s_delay_alu instid0(VALU_DEP_1)
	v_dual_sub_nc_u32 v81, 29, v81 :: v_dual_bitop2_b32 v34, 7, v82 bitop3:0x40
; %bb.2384:                             ;   in Loop: Header=BB2_1899 Depth=2
	s_or_b32 exec_lo, exec_lo, s40
	v_lshlrev_b32_e32 v82, 24, v86
	s_delay_alu instid0(VALU_DEP_2) | instskip(NEXT) | instid1(VALU_DEP_3)
	v_lshlrev_b32_e32 v34, 20, v34
	v_lshl_add_u32 v81, v81, 23, 0x3c000000
	s_delay_alu instid0(VALU_DEP_3) | instskip(NEXT) | instid1(VALU_DEP_1)
	v_and_b32_e32 v82, 0x80000000, v82
	v_or3_b32 v81, v34, v82, v81
.LBB2_2385:                             ;   in Loop: Header=BB2_1899 Depth=2
	s_or_b32 exec_lo, exec_lo, s29
.LBB2_2386:                             ;   in Loop: Header=BB2_1899 Depth=2
	s_delay_alu instid0(SALU_CYCLE_1)
	s_or_b32 exec_lo, exec_lo, s11
.LBB2_2387:                             ;   in Loop: Header=BB2_1899 Depth=2
	s_delay_alu instid0(SALU_CYCLE_1) | instskip(SKIP_3) | instid1(VALU_DEP_1)
	s_or_b32 exec_lo, exec_lo, s10
	s_wait_loadcnt_dscnt 0x0
	v_and_b32_e32 v34, 0xff, v87
	s_mov_b32 s10, exec_lo
	v_cmpx_ne_u16_e32 0, v34
	s_cbranch_execz .LBB2_2395
; %bb.2388:                             ;   in Loop: Header=BB2_1899 Depth=2
	v_bfrev_b32_e32 v80, 1
	s_mov_b32 s11, exec_lo
	v_cmpx_ne_u16_e32 0x80, v34
	s_cbranch_execz .LBB2_2394
; %bb.2389:                             ;   in Loop: Header=BB2_1899 Depth=2
	v_and_b32_e32 v82, 0x7f, v87
	v_mov_b32_e32 v80, 0x7f800001
	s_mov_b32 s29, exec_lo
	s_delay_alu instid0(VALU_DEP_2)
	v_cmpx_ne_u32_e32 0x7f, v82
	s_cbranch_execz .LBB2_2393
; %bb.2390:                             ;   in Loop: Header=BB2_1899 Depth=2
	v_and_b32_e32 v34, 7, v34
	v_lshrrev_b32_e32 v80, 3, v82
	s_mov_b32 s40, exec_lo
	v_cmpx_gt_u32_e32 8, v82
; %bb.2391:                             ;   in Loop: Header=BB2_1899 Depth=2
	s_delay_alu instid0(VALU_DEP_3) | instskip(NEXT) | instid1(VALU_DEP_1)
	v_clz_i32_u32_e32 v80, v34
	v_min_u32_e32 v80, 32, v80
	s_delay_alu instid0(VALU_DEP_1) | instskip(NEXT) | instid1(VALU_DEP_1)
	v_subrev_nc_u32_e32 v82, 28, v80
	v_lshlrev_b64_e32 v[82:83], v82, v[34:35]
	s_delay_alu instid0(VALU_DEP_1)
	v_dual_sub_nc_u32 v80, 29, v80 :: v_dual_bitop2_b32 v34, 7, v82 bitop3:0x40
; %bb.2392:                             ;   in Loop: Header=BB2_1899 Depth=2
	s_or_b32 exec_lo, exec_lo, s40
	s_delay_alu instid0(VALU_DEP_1) | instskip(NEXT) | instid1(VALU_DEP_2)
	v_dual_lshlrev_b32 v82, 24, v87 :: v_dual_lshlrev_b32 v34, 20, v34
	v_lshl_add_u32 v80, v80, 23, 0x3c000000
	s_delay_alu instid0(VALU_DEP_2) | instskip(NEXT) | instid1(VALU_DEP_1)
	v_and_b32_e32 v82, 0x80000000, v82
	v_or3_b32 v80, v34, v82, v80
.LBB2_2393:                             ;   in Loop: Header=BB2_1899 Depth=2
	s_or_b32 exec_lo, exec_lo, s29
.LBB2_2394:                             ;   in Loop: Header=BB2_1899 Depth=2
	s_delay_alu instid0(SALU_CYCLE_1)
	s_or_b32 exec_lo, exec_lo, s11
.LBB2_2395:                             ;   in Loop: Header=BB2_1899 Depth=2
	s_delay_alu instid0(SALU_CYCLE_1) | instskip(NEXT) | instid1(VALU_DEP_1)
	s_or_b32 exec_lo, exec_lo, s10
	v_add_f32_e32 v80, v81, v80
	s_delay_alu instid0(VALU_DEP_1) | instskip(SKIP_1) | instid1(VALU_DEP_2)
	v_and_b32_e32 v34, 0x7f800000, v80
	v_lshrrev_b32_e32 v81, 24, v80
	v_cmp_ne_u64_e32 vcc_lo, 0x7f800000, v[34:35]
                                        ; implicit-def: $vgpr34
	s_and_saveexec_b32 s10, vcc_lo
	s_delay_alu instid0(SALU_CYCLE_1)
	s_xor_b32 s11, exec_lo, s10
	s_cbranch_execz .LBB2_2413
; %bb.2396:                             ;   in Loop: Header=BB2_1899 Depth=2
	v_and_b32_e32 v34, 0x7fffffff, v80
	v_and_b32_e32 v86, 0x80, v81
	s_delay_alu instid0(VALU_DEP_2) | instskip(SKIP_1) | instid1(SALU_CYCLE_1)
	v_cmp_gt_u64_e32 vcc_lo, 0x43e00001, v[34:35]
                                        ; implicit-def: $vgpr34
	s_and_saveexec_b32 s10, vcc_lo
	s_xor_b32 s29, exec_lo, s10
	s_cbranch_execz .LBB2_2410
; %bb.2397:                             ;   in Loop: Header=BB2_1899 Depth=2
	v_mov_b32_e32 v34, 0
	s_mov_b32 s40, exec_lo
	v_cmpx_ne_u32_e32 0, v80
	s_cbranch_execz .LBB2_2409
; %bb.2398:                             ;   in Loop: Header=BB2_1899 Depth=2
	v_bfe_u32 v87, v80, 23, 8
	s_delay_alu instid0(VALU_DEP_1) | instskip(SKIP_1) | instid1(VALU_DEP_2)
	v_sub_nc_u32_e32 v34, 0x79, v87
	v_cmp_gt_u32_e32 vcc_lo, 0x7a, v87
	v_cndmask_b32_e32 v34, 0, v34, vcc_lo
	v_cmp_eq_u32_e32 vcc_lo, 0, v87
	s_delay_alu instid0(VALU_DEP_2) | instskip(SKIP_1) | instid1(VALU_DEP_2)
	v_cndmask_b32_e64 v118, v34, 0x78, vcc_lo
	v_and_b32_e32 v34, 0x7fffff, v80
	v_dual_add_nc_u32 v80, 20, v118 :: v_dual_add_nc_u32 v83, 19, v118
	s_delay_alu instid0(VALU_DEP_2) | instskip(NEXT) | instid1(VALU_DEP_2)
	v_or_b32_e32 v82, 0x800000, v34
	v_lshlrev_b64_e64 v[80:81], v80, -1
	s_delay_alu instid0(VALU_DEP_2) | instskip(NEXT) | instid1(VALU_DEP_4)
	v_cndmask_b32_e32 v34, v82, v34, vcc_lo
	v_lshlrev_b64_e64 v[82:83], v83, 1
	s_delay_alu instid0(VALU_DEP_3) | instskip(NEXT) | instid1(VALU_DEP_3)
	v_bfi_b32 v41, v81, 0, 0
	v_bfi_b32 v40, v80, 0, v34
	v_lshrrev_b64 v[80:81], v118, v[34:35]
	s_delay_alu instid0(VALU_DEP_2) | instskip(NEXT) | instid1(VALU_DEP_2)
	v_cmp_eq_u64_e64 s10, v[40:41], v[82:83]
	v_mov_b64_e32 v[82:83], v[80:81]
	s_and_saveexec_b32 s41, s10
; %bb.2399:                             ;   in Loop: Header=BB2_1899 Depth=2
	v_bfe_u32 v34, v80, 20, 1
	s_delay_alu instid0(VALU_DEP_1) | instskip(NEXT) | instid1(VALU_DEP_1)
	v_add_nc_u64_e32 v[82:83], v[80:81], v[34:35]
	v_add_nc_u64_e32 v[82:83], -1, v[82:83]
; %bb.2400:                             ;   in Loop: Header=BB2_1899 Depth=2
	s_or_b32 exec_lo, exec_lo, s41
	v_add_nc_u32_e32 v34, 0xffffff81, v87
	v_lshrrev_b32_e32 v81, 23, v80
	s_mov_b32 s10, exec_lo
	s_delay_alu instid0(VALU_DEP_2) | instskip(NEXT) | instid1(VALU_DEP_1)
	v_cndmask_b32_e64 v34, v34, 0xffffff82, vcc_lo
	v_add3_u32 v83, v118, v34, v81
	v_and_b32_e32 v34, 0xfffff, v82
                                        ; implicit-def: $vgpr82
	s_delay_alu instid0(VALU_DEP_1) | instskip(NEXT) | instid1(VALU_DEP_1)
	v_dual_add_nc_u32 v87, 6, v83 :: v_dual_add_nc_u32 v34, v34, v80
                                        ; implicit-def: $vgpr80_vgpr81
	v_cmpx_ne_u32_e32 0, v87
	s_xor_b32 s10, exec_lo, s10
; %bb.2401:                             ;   in Loop: Header=BB2_1899 Depth=2
	s_delay_alu instid0(VALU_DEP_2) | instskip(SKIP_1) | instid1(VALU_DEP_1)
	v_cmp_lt_u64_e32 vcc_lo, 0xffffff, v[34:35]
	v_add_nc_u32_e32 v80, 7, v83
	v_cndmask_b32_e32 v82, v87, v80, vcc_lo
	v_cndmask_b32_e64 v80, 0, 1, vcc_lo
	s_delay_alu instid0(VALU_DEP_1)
	v_lshrrev_b64 v[80:81], v80, v[34:35]
; %bb.2402:                             ;   in Loop: Header=BB2_1899 Depth=2
	s_and_not1_saveexec_b32 s10, s10
; %bb.2403:                             ;   in Loop: Header=BB2_1899 Depth=2
	v_mov_b64_e32 v[80:81], v[34:35]
	v_bfe_u32 v82, v34, 23, 1
; %bb.2404:                             ;   in Loop: Header=BB2_1899 Depth=2
	s_or_b32 exec_lo, exec_lo, s10
	s_delay_alu instid0(VALU_DEP_2) | instskip(NEXT) | instid1(VALU_DEP_2)
	v_lshrrev_b64 v[80:81], 20, v[80:81]
	v_cmp_gt_i32_e32 vcc_lo, 16, v82
	v_cmp_ne_u32_e64 s10, 0, v82
                                        ; implicit-def: $vgpr34
	s_delay_alu instid0(VALU_DEP_3) | instskip(NEXT) | instid1(VALU_DEP_1)
	v_dual_cndmask_b32 v81, 0, v81 :: v_dual_cndmask_b32 v80, 7, v80
	v_cmp_ne_u64_e32 vcc_lo, 0, v[80:81]
	s_or_b32 s10, s10, vcc_lo
	s_delay_alu instid0(SALU_CYCLE_1) | instskip(NEXT) | instid1(SALU_CYCLE_1)
	s_and_saveexec_b32 s41, s10
	s_xor_b32 s10, exec_lo, s41
; %bb.2405:                             ;   in Loop: Header=BB2_1899 Depth=2
	v_min_i32_e32 v34, 15, v82
	s_delay_alu instid0(VALU_DEP_1) | instskip(NEXT) | instid1(VALU_DEP_1)
	v_lshl_or_b32 v34, v34, 3, v86
                                        ; implicit-def: $vgpr86
	v_and_or_b32 v34, v80, 7, v34
; %bb.2406:                             ;   in Loop: Header=BB2_1899 Depth=2
	s_and_not1_saveexec_b32 s10, s10
; %bb.2407:                             ;   in Loop: Header=BB2_1899 Depth=2
	v_mov_b32_e32 v34, v86
; %bb.2408:                             ;   in Loop: Header=BB2_1899 Depth=2
	s_or_b32 exec_lo, exec_lo, s10
.LBB2_2409:                             ;   in Loop: Header=BB2_1899 Depth=2
	s_delay_alu instid0(SALU_CYCLE_1)
	s_or_b32 exec_lo, exec_lo, s40
                                        ; implicit-def: $vgpr86
.LBB2_2410:                             ;   in Loop: Header=BB2_1899 Depth=2
	s_and_not1_saveexec_b32 s10, s29
; %bb.2411:                             ;   in Loop: Header=BB2_1899 Depth=2
	v_or_b32_e32 v34, 0x7e, v86
; %bb.2412:                             ;   in Loop: Header=BB2_1899 Depth=2
	s_or_b32 exec_lo, exec_lo, s10
                                        ; implicit-def: $vgpr81
.LBB2_2413:                             ;   in Loop: Header=BB2_1899 Depth=2
	s_and_not1_saveexec_b32 s10, s11
	s_cbranch_execz .LBB2_1898
; %bb.2414:                             ;   in Loop: Header=BB2_1899 Depth=2
	v_or_b32_e32 v34, 0x7f, v81
	s_branch .LBB2_1898
.LBB2_2415:                             ;   in Loop: Header=BB2_49 Depth=1
	s_or_b32 exec_lo, exec_lo, s28
.LBB2_2416:                             ;   in Loop: Header=BB2_49 Depth=1
	s_delay_alu instid0(SALU_CYCLE_1) | instskip(SKIP_1) | instid1(VALU_DEP_1)
	s_or_b32 exec_lo, exec_lo, s27
	v_and_b32_e32 v10, 0x3fffff00, v117
	v_cmp_ne_u32_e32 vcc_lo, v117, v10
	s_and_b32 exec_lo, exec_lo, vcc_lo
	s_cbranch_execz .LBB2_2488
; %bb.2417:                             ;   in Loop: Header=BB2_49 Depth=1
	v_dual_lshlrev_b32 v11, 5, v84 :: v_dual_lshlrev_b32 v12, 5, v85
	s_delay_alu instid0(VALU_DEP_1) | instskip(NEXT) | instid1(VALU_DEP_1)
	v_sub_nc_u32_e32 v11, v30, v11
	v_sub_nc_u32_e32 v11, v11, v12
	v_and_b32_e32 v12, 0xff, v117
	s_delay_alu instid0(VALU_DEP_1) | instskip(NEXT) | instid1(VALU_DEP_1)
	v_sub_nc_u32_e32 v30, v12, v11
	v_cmp_lt_i32_e32 vcc_lo, 0, v30
	s_and_b32 exec_lo, exec_lo, vcc_lo
	s_cbranch_execz .LBB2_2488
; %bb.2418:                             ;   in Loop: Header=BB2_49 Depth=1
	s_trap 2
	ds_load_b128 v[80:83], v0
	ds_load_b64 v[70:71], v0
	v_add3_u32 v84, v10, v69, v11
	s_mov_b32 s27, 0
	s_delay_alu instid0(VALU_DEP_1) | instskip(SKIP_1) | instid1(VALU_DEP_1)
	v_ashrrev_i32_e32 v85, 31, v84
	s_wait_dscnt 0x1
	v_add_nc_u64_e32 v[10:11], v[80:81], v[84:85]
	v_add_nc_u64_e32 v[12:13], v[82:83], v[84:85]
	s_wait_dscnt 0x0
	v_add_nc_u64_e32 v[70:71], v[70:71], v[84:85]
	s_branch .LBB2_2420
.LBB2_2419:                             ;   in Loop: Header=BB2_2420 Depth=2
	s_or_b32 exec_lo, exec_lo, s10
	v_sub_nc_u32_e32 v30, v30, v52
	flat_store_b8 v[70:71], v34 th:TH_STORE_NT
	v_add_nc_u64_e32 v[10:11], v[10:11], v[52:53]
	v_add_nc_u64_e32 v[12:13], v[12:13], v[52:53]
	s_wait_xcnt 0x0
	v_add_nc_u64_e32 v[70:71], v[70:71], v[52:53]
	v_cmp_gt_i32_e32 vcc_lo, 1, v30
	s_or_b32 s27, vcc_lo, s27
	s_delay_alu instid0(SALU_CYCLE_1)
	s_and_not1_b32 exec_lo, exec_lo, s27
	s_cbranch_execz .LBB2_2488
.LBB2_2420:                             ;   Parent Loop BB2_49 Depth=1
                                        ; =>  This Inner Loop Header: Depth=2
	s_trap 2
	ds_load_b64 v[80:81], v0
	s_mov_b32 s28, 0
	s_wait_dscnt 0x0
	v_and_b32_e32 v34, 0xff, v80
	v_readfirstlane_b32 s10, v80
	v_readfirstlane_b32 s11, v81
	s_delay_alu instid0(VALU_DEP_3)
	v_cmp_eq_u32_e32 vcc_lo, 0, v34
	s_cbranch_vccnz .LBB2_2424
; %bb.2421:                             ;   in Loop: Header=BB2_2420 Depth=2
	v_cmp_eq_u32_e32 vcc_lo, 0x80, v34
	s_brev_b32 s28, 1
	s_cbranch_vccnz .LBB2_2424
; %bb.2422:                             ;   in Loop: Header=BB2_2420 Depth=2
	s_and_b32 s29, s10, 0x7f
	s_mov_b32 s28, 0x7f800001
	s_cmp_eq_u32 s29, 0x7f
	s_cbranch_scc1 .LBB2_2424
; %bb.2423:                             ;   in Loop: Header=BB2_2420 Depth=2
	s_and_b32 s28, s10, 7
	s_lshr_b32 s40, s29, 3
	s_clz_i32_u32 s28, s28
	s_delay_alu instid0(SALU_CYCLE_1) | instskip(NEXT) | instid1(SALU_CYCLE_1)
	s_min_u32 s28, s28, 32
	s_sub_co_i32 s41, s28, 28
	s_sub_co_i32 s28, 29, s28
	s_cmp_lt_u32 s29, 8
	s_cselect_b32 s29, s41, 0
	s_cselect_b32 s40, s28, s40
	s_lshl_b64 s[28:29], s[10:11], s29
	s_lshl_b32 s10, s10, 24
	s_lshl_b32 s11, s28, 20
	;; [unrolled: 1-line block ×3, first 2 shown]
	s_and_b32 s11, s11, 0x700000
	s_and_b32 s10, s10, 0x80000000
	s_add_co_i32 s28, s28, 0x3c000000
	s_or_b32 s10, s11, s10
	s_delay_alu instid0(SALU_CYCLE_1)
	s_or_b32 s28, s28, s10
.LBB2_2424:                             ;   in Loop: Header=BB2_2420 Depth=2
	flat_load_u8 v69, v[10:11] th:TH_LOAD_NT
	v_mov_b32_e32 v34, 0
	s_mov_b32 s10, exec_lo
	s_wait_loadcnt_dscnt 0x0
	v_cmpx_ne_u16_e32 0, v69
	s_cbranch_execz .LBB2_2432
; %bb.2425:                             ;   in Loop: Header=BB2_2420 Depth=2
	v_bfrev_b32_e32 v34, 1
	s_mov_b32 s11, exec_lo
	v_cmpx_ne_u16_e32 0x80, v69
	s_cbranch_execz .LBB2_2431
; %bb.2426:                             ;   in Loop: Header=BB2_2420 Depth=2
	v_and_b32_e32 v80, 0xffff, v69
	v_mov_b32_e32 v34, 0x7f800001
	s_mov_b32 s29, exec_lo
	s_delay_alu instid0(VALU_DEP_2) | instskip(NEXT) | instid1(VALU_DEP_1)
	v_and_b32_e32 v81, 0x7f, v80
	v_cmpx_ne_u32_e32 0x7f, v81
	s_cbranch_execz .LBB2_2430
; %bb.2427:                             ;   in Loop: Header=BB2_2420 Depth=2
	v_dual_lshrrev_b32 v80, 3, v81 :: v_dual_bitop2_b32 v34, 7, v80 bitop3:0x40
	s_mov_b32 s40, exec_lo
	v_cmpx_gt_u32_e32 8, v81
; %bb.2428:                             ;   in Loop: Header=BB2_2420 Depth=2
	s_delay_alu instid0(VALU_DEP_2) | instskip(NEXT) | instid1(VALU_DEP_1)
	v_clz_i32_u32_e32 v80, v34
	v_min_u32_e32 v80, 32, v80
	s_delay_alu instid0(VALU_DEP_1) | instskip(NEXT) | instid1(VALU_DEP_1)
	v_subrev_nc_u32_e32 v81, 28, v80
	v_lshlrev_b64_e32 v[82:83], v81, v[34:35]
	s_delay_alu instid0(VALU_DEP_1)
	v_dual_sub_nc_u32 v80, 29, v80 :: v_dual_bitop2_b32 v34, 7, v82 bitop3:0x40
; %bb.2429:                             ;   in Loop: Header=BB2_2420 Depth=2
	s_or_b32 exec_lo, exec_lo, s40
	s_delay_alu instid0(VALU_DEP_1) | instskip(NEXT) | instid1(VALU_DEP_2)
	v_dual_lshlrev_b32 v69, 24, v69 :: v_dual_lshlrev_b32 v34, 20, v34
	v_lshl_add_u32 v80, v80, 23, 0x3c000000
	s_delay_alu instid0(VALU_DEP_2) | instskip(NEXT) | instid1(VALU_DEP_1)
	v_and_b32_e32 v69, 0x80000000, v69
	v_or3_b32 v34, v34, v69, v80
.LBB2_2430:                             ;   in Loop: Header=BB2_2420 Depth=2
	s_or_b32 exec_lo, exec_lo, s29
.LBB2_2431:                             ;   in Loop: Header=BB2_2420 Depth=2
	s_delay_alu instid0(SALU_CYCLE_1)
	s_or_b32 exec_lo, exec_lo, s11
.LBB2_2432:                             ;   in Loop: Header=BB2_2420 Depth=2
	s_delay_alu instid0(SALU_CYCLE_1) | instskip(NEXT) | instid1(VALU_DEP_1)
	s_or_b32 exec_lo, exec_lo, s10
	v_mul_f32_e32 v80, s28, v34
                                        ; implicit-def: $vgpr81
	s_mov_b32 s10, exec_lo
	s_delay_alu instid0(VALU_DEP_1) | instskip(SKIP_1) | instid1(VALU_DEP_2)
	v_and_b32_e32 v34, 0x7f800000, v80
	v_lshrrev_b32_e32 v69, 24, v80
	v_cmpx_ne_u64_e32 0x7f800000, v[34:35]
	s_xor_b32 s11, exec_lo, s10
	s_cbranch_execz .LBB2_2450
; %bb.2433:                             ;   in Loop: Header=BB2_2420 Depth=2
	v_and_b32_e32 v34, 0x7fffffff, v80
	v_and_b32_e32 v69, 0x80, v69
                                        ; implicit-def: $vgpr81
	s_mov_b32 s10, exec_lo
	s_delay_alu instid0(VALU_DEP_2)
	v_cmpx_gt_u64_e32 0x43e00001, v[34:35]
	s_xor_b32 s28, exec_lo, s10
	s_cbranch_execz .LBB2_2447
; %bb.2434:                             ;   in Loop: Header=BB2_2420 Depth=2
	v_mov_b32_e32 v81, 0
	s_mov_b32 s29, exec_lo
	v_cmpx_ne_u32_e32 0, v80
	s_cbranch_execz .LBB2_2446
; %bb.2435:                             ;   in Loop: Header=BB2_2420 Depth=2
	v_bfe_u32 v84, v80, 23, 8
	s_delay_alu instid0(VALU_DEP_1) | instskip(SKIP_1) | instid1(VALU_DEP_2)
	v_sub_nc_u32_e32 v34, 0x79, v84
	v_cmp_gt_u32_e32 vcc_lo, 0x7a, v84
	v_cndmask_b32_e32 v34, 0, v34, vcc_lo
	v_cmp_eq_u32_e32 vcc_lo, 0, v84
	s_delay_alu instid0(VALU_DEP_2) | instskip(SKIP_1) | instid1(VALU_DEP_2)
	v_cndmask_b32_e64 v85, v34, 0x78, vcc_lo
	v_and_b32_e32 v34, 0x7fffff, v80
	v_add_nc_u32_e32 v80, 20, v85
	s_delay_alu instid0(VALU_DEP_2) | instskip(SKIP_1) | instid1(VALU_DEP_3)
	v_or_b32_e32 v82, 0x800000, v34
	v_add_nc_u32_e32 v83, 19, v85
	v_lshlrev_b64_e64 v[80:81], v80, -1
	s_delay_alu instid0(VALU_DEP_3) | instskip(NEXT) | instid1(VALU_DEP_3)
	v_cndmask_b32_e32 v34, v82, v34, vcc_lo
	v_lshlrev_b64_e64 v[82:83], v83, 1
	s_delay_alu instid0(VALU_DEP_3) | instskip(NEXT) | instid1(VALU_DEP_3)
	v_bfi_b32 v87, v81, 0, 0
	v_bfi_b32 v86, v80, 0, v34
	v_lshrrev_b64 v[80:81], v85, v[34:35]
	s_delay_alu instid0(VALU_DEP_2) | instskip(NEXT) | instid1(VALU_DEP_2)
	v_cmp_eq_u64_e64 s10, v[86:87], v[82:83]
	v_mov_b64_e32 v[82:83], v[80:81]
	s_and_saveexec_b32 s40, s10
; %bb.2436:                             ;   in Loop: Header=BB2_2420 Depth=2
	v_bfe_u32 v34, v80, 20, 1
	s_delay_alu instid0(VALU_DEP_1) | instskip(NEXT) | instid1(VALU_DEP_1)
	v_add_nc_u64_e32 v[82:83], v[80:81], v[34:35]
	v_add_nc_u64_e32 v[82:83], -1, v[82:83]
; %bb.2437:                             ;   in Loop: Header=BB2_2420 Depth=2
	s_or_b32 exec_lo, exec_lo, s40
	v_add_nc_u32_e32 v34, 0xffffff81, v84
	v_lshrrev_b32_e32 v81, 23, v80
	s_mov_b32 s10, exec_lo
	s_delay_alu instid0(VALU_DEP_2) | instskip(NEXT) | instid1(VALU_DEP_1)
	v_cndmask_b32_e64 v34, v34, 0xffffff82, vcc_lo
	v_add3_u32 v83, v85, v34, v81
	v_and_b32_e32 v34, 0xfffff, v82
                                        ; implicit-def: $vgpr82
	s_delay_alu instid0(VALU_DEP_1) | instskip(NEXT) | instid1(VALU_DEP_1)
	v_dual_add_nc_u32 v84, 6, v83 :: v_dual_add_nc_u32 v34, v34, v80
                                        ; implicit-def: $vgpr80_vgpr81
	v_cmpx_ne_u32_e32 0, v84
	s_xor_b32 s10, exec_lo, s10
; %bb.2438:                             ;   in Loop: Header=BB2_2420 Depth=2
	s_delay_alu instid0(VALU_DEP_2) | instskip(SKIP_1) | instid1(VALU_DEP_1)
	v_cmp_lt_u64_e32 vcc_lo, 0xffffff, v[34:35]
	v_add_nc_u32_e32 v80, 7, v83
	v_cndmask_b32_e32 v82, v84, v80, vcc_lo
	v_cndmask_b32_e64 v80, 0, 1, vcc_lo
	s_delay_alu instid0(VALU_DEP_1)
	v_lshrrev_b64 v[80:81], v80, v[34:35]
; %bb.2439:                             ;   in Loop: Header=BB2_2420 Depth=2
	s_and_not1_saveexec_b32 s10, s10
; %bb.2440:                             ;   in Loop: Header=BB2_2420 Depth=2
	v_mov_b64_e32 v[80:81], v[34:35]
	v_bfe_u32 v82, v34, 23, 1
; %bb.2441:                             ;   in Loop: Header=BB2_2420 Depth=2
	s_or_b32 exec_lo, exec_lo, s10
	s_delay_alu instid0(VALU_DEP_2) | instskip(NEXT) | instid1(VALU_DEP_2)
	v_lshrrev_b64 v[80:81], 20, v[80:81]
	v_cmp_gt_i32_e32 vcc_lo, 16, v82
	v_cmp_ne_u32_e64 s10, 0, v82
	s_delay_alu instid0(VALU_DEP_3) | instskip(NEXT) | instid1(VALU_DEP_1)
	v_dual_cndmask_b32 v81, 0, v81 :: v_dual_cndmask_b32 v80, 7, v80
	v_cmp_ne_u64_e32 vcc_lo, 0, v[80:81]
                                        ; implicit-def: $vgpr81
	s_or_b32 s10, s10, vcc_lo
	s_delay_alu instid0(SALU_CYCLE_1) | instskip(NEXT) | instid1(SALU_CYCLE_1)
	s_and_saveexec_b32 s40, s10
	s_xor_b32 s10, exec_lo, s40
; %bb.2442:                             ;   in Loop: Header=BB2_2420 Depth=2
	v_min_i32_e32 v34, 15, v82
	s_delay_alu instid0(VALU_DEP_1) | instskip(NEXT) | instid1(VALU_DEP_1)
	v_lshl_or_b32 v34, v34, 3, v69
                                        ; implicit-def: $vgpr69
	v_and_or_b32 v81, v80, 7, v34
; %bb.2443:                             ;   in Loop: Header=BB2_2420 Depth=2
	s_and_not1_saveexec_b32 s10, s10
; %bb.2444:                             ;   in Loop: Header=BB2_2420 Depth=2
	v_mov_b32_e32 v81, v69
; %bb.2445:                             ;   in Loop: Header=BB2_2420 Depth=2
	s_or_b32 exec_lo, exec_lo, s10
.LBB2_2446:                             ;   in Loop: Header=BB2_2420 Depth=2
	s_delay_alu instid0(SALU_CYCLE_1)
	s_or_b32 exec_lo, exec_lo, s29
                                        ; implicit-def: $vgpr69
.LBB2_2447:                             ;   in Loop: Header=BB2_2420 Depth=2
	s_and_not1_saveexec_b32 s10, s28
; %bb.2448:                             ;   in Loop: Header=BB2_2420 Depth=2
	v_or_b32_e32 v81, 0x7e, v69
; %bb.2449:                             ;   in Loop: Header=BB2_2420 Depth=2
	s_or_b32 exec_lo, exec_lo, s10
                                        ; implicit-def: $vgpr69
.LBB2_2450:                             ;   in Loop: Header=BB2_2420 Depth=2
	s_and_not1_saveexec_b32 s10, s11
; %bb.2451:                             ;   in Loop: Header=BB2_2420 Depth=2
	v_or_b32_e32 v81, 0x7f, v69
; %bb.2452:                             ;   in Loop: Header=BB2_2420 Depth=2
	s_or_b32 exec_lo, exec_lo, s10
	flat_load_u8 v69, v[12:13] th:TH_LOAD_NT
	v_and_b32_e32 v34, 0xff, v81
	v_dual_mov_b32 v80, 0 :: v_dual_mov_b32 v82, 0
	s_mov_b32 s10, exec_lo
	s_wait_xcnt 0x0
	s_delay_alu instid0(VALU_DEP_2)
	v_cmpx_ne_u16_e32 0, v34
	s_cbranch_execz .LBB2_2460
; %bb.2453:                             ;   in Loop: Header=BB2_2420 Depth=2
	v_bfrev_b32_e32 v82, 1
	s_mov_b32 s11, exec_lo
	v_cmpx_ne_u16_e32 0x80, v34
	s_cbranch_execz .LBB2_2459
; %bb.2454:                             ;   in Loop: Header=BB2_2420 Depth=2
	v_and_b32_e32 v83, 0x7f, v81
	v_mov_b32_e32 v82, 0x7f800001
	s_mov_b32 s28, exec_lo
	s_delay_alu instid0(VALU_DEP_2)
	v_cmpx_ne_u32_e32 0x7f, v83
	s_cbranch_execz .LBB2_2458
; %bb.2455:                             ;   in Loop: Header=BB2_2420 Depth=2
	v_dual_lshrrev_b32 v82, 3, v83 :: v_dual_bitop2_b32 v34, 7, v34 bitop3:0x40
	s_mov_b32 s29, exec_lo
	v_cmpx_gt_u32_e32 8, v83
; %bb.2456:                             ;   in Loop: Header=BB2_2420 Depth=2
	s_delay_alu instid0(VALU_DEP_2) | instskip(NEXT) | instid1(VALU_DEP_1)
	v_clz_i32_u32_e32 v82, v34
	v_min_u32_e32 v82, 32, v82
	s_delay_alu instid0(VALU_DEP_1) | instskip(NEXT) | instid1(VALU_DEP_1)
	v_subrev_nc_u32_e32 v83, 28, v82
	v_lshlrev_b64_e32 v[84:85], v83, v[34:35]
	s_delay_alu instid0(VALU_DEP_1)
	v_dual_sub_nc_u32 v82, 29, v82 :: v_dual_bitop2_b32 v34, 7, v84 bitop3:0x40
; %bb.2457:                             ;   in Loop: Header=BB2_2420 Depth=2
	s_or_b32 exec_lo, exec_lo, s29
	s_delay_alu instid0(VALU_DEP_1) | instskip(NEXT) | instid1(VALU_DEP_2)
	v_dual_lshlrev_b32 v81, 24, v81 :: v_dual_lshlrev_b32 v34, 20, v34
	v_lshl_add_u32 v82, v82, 23, 0x3c000000
	s_delay_alu instid0(VALU_DEP_2) | instskip(NEXT) | instid1(VALU_DEP_1)
	v_and_b32_e32 v81, 0x80000000, v81
	v_or3_b32 v82, v34, v81, v82
.LBB2_2458:                             ;   in Loop: Header=BB2_2420 Depth=2
	s_or_b32 exec_lo, exec_lo, s28
.LBB2_2459:                             ;   in Loop: Header=BB2_2420 Depth=2
	s_delay_alu instid0(SALU_CYCLE_1)
	s_or_b32 exec_lo, exec_lo, s11
.LBB2_2460:                             ;   in Loop: Header=BB2_2420 Depth=2
	s_delay_alu instid0(SALU_CYCLE_1) | instskip(SKIP_3) | instid1(VALU_DEP_1)
	s_or_b32 exec_lo, exec_lo, s10
	s_wait_loadcnt_dscnt 0x0
	v_and_b32_e32 v34, 0xff, v69
	s_mov_b32 s10, exec_lo
	v_cmpx_ne_u16_e32 0, v34
	s_cbranch_execz .LBB2_2468
; %bb.2461:                             ;   in Loop: Header=BB2_2420 Depth=2
	v_bfrev_b32_e32 v80, 1
	s_mov_b32 s11, exec_lo
	v_cmpx_ne_u16_e32 0x80, v34
	s_cbranch_execz .LBB2_2467
; %bb.2462:                             ;   in Loop: Header=BB2_2420 Depth=2
	v_and_b32_e32 v81, 0x7f, v69
	v_mov_b32_e32 v80, 0x7f800001
	s_mov_b32 s28, exec_lo
	s_delay_alu instid0(VALU_DEP_2)
	v_cmpx_ne_u32_e32 0x7f, v81
	s_cbranch_execz .LBB2_2466
; %bb.2463:                             ;   in Loop: Header=BB2_2420 Depth=2
	v_dual_lshrrev_b32 v80, 3, v81 :: v_dual_bitop2_b32 v34, 7, v34 bitop3:0x40
	s_mov_b32 s29, exec_lo
	v_cmpx_gt_u32_e32 8, v81
; %bb.2464:                             ;   in Loop: Header=BB2_2420 Depth=2
	s_delay_alu instid0(VALU_DEP_2) | instskip(NEXT) | instid1(VALU_DEP_1)
	v_clz_i32_u32_e32 v80, v34
	v_min_u32_e32 v80, 32, v80
	s_delay_alu instid0(VALU_DEP_1) | instskip(SKIP_1) | instid1(VALU_DEP_2)
	v_subrev_nc_u32_e32 v81, 28, v80
	v_sub_nc_u32_e32 v80, 29, v80
	v_lshlrev_b64_e32 v[84:85], v81, v[34:35]
	s_delay_alu instid0(VALU_DEP_1)
	v_and_b32_e32 v34, 7, v84
; %bb.2465:                             ;   in Loop: Header=BB2_2420 Depth=2
	s_or_b32 exec_lo, exec_lo, s29
	s_delay_alu instid0(VALU_DEP_1) | instskip(SKIP_1) | instid1(VALU_DEP_2)
	v_dual_lshlrev_b32 v69, 24, v69 :: v_dual_lshlrev_b32 v34, 20, v34
	v_lshl_add_u32 v80, v80, 23, 0x3c000000
	v_and_b32_e32 v69, 0x80000000, v69
	s_delay_alu instid0(VALU_DEP_1)
	v_or3_b32 v80, v34, v69, v80
.LBB2_2466:                             ;   in Loop: Header=BB2_2420 Depth=2
	s_or_b32 exec_lo, exec_lo, s28
.LBB2_2467:                             ;   in Loop: Header=BB2_2420 Depth=2
	s_delay_alu instid0(SALU_CYCLE_1)
	s_or_b32 exec_lo, exec_lo, s11
.LBB2_2468:                             ;   in Loop: Header=BB2_2420 Depth=2
	s_delay_alu instid0(SALU_CYCLE_1) | instskip(NEXT) | instid1(VALU_DEP_1)
	s_or_b32 exec_lo, exec_lo, s10
	v_add_f32_e32 v80, v82, v80
	s_delay_alu instid0(VALU_DEP_1) | instskip(SKIP_1) | instid1(VALU_DEP_2)
	v_and_b32_e32 v34, 0x7f800000, v80
	v_lshrrev_b32_e32 v69, 24, v80
	v_cmp_ne_u64_e32 vcc_lo, 0x7f800000, v[34:35]
                                        ; implicit-def: $vgpr34
	s_and_saveexec_b32 s10, vcc_lo
	s_delay_alu instid0(SALU_CYCLE_1)
	s_xor_b32 s11, exec_lo, s10
	s_cbranch_execz .LBB2_2486
; %bb.2469:                             ;   in Loop: Header=BB2_2420 Depth=2
	v_and_b32_e32 v34, 0x7fffffff, v80
	v_and_b32_e32 v69, 0x80, v69
	s_delay_alu instid0(VALU_DEP_2) | instskip(SKIP_1) | instid1(SALU_CYCLE_1)
	v_cmp_gt_u64_e32 vcc_lo, 0x43e00001, v[34:35]
                                        ; implicit-def: $vgpr34
	s_and_saveexec_b32 s10, vcc_lo
	s_xor_b32 s28, exec_lo, s10
	s_cbranch_execz .LBB2_2483
; %bb.2470:                             ;   in Loop: Header=BB2_2420 Depth=2
	v_mov_b32_e32 v34, 0
	s_mov_b32 s29, exec_lo
	v_cmpx_ne_u32_e32 0, v80
	s_cbranch_execz .LBB2_2482
; %bb.2471:                             ;   in Loop: Header=BB2_2420 Depth=2
	v_bfe_u32 v84, v80, 23, 8
	s_delay_alu instid0(VALU_DEP_1) | instskip(SKIP_1) | instid1(VALU_DEP_2)
	v_sub_nc_u32_e32 v34, 0x79, v84
	v_cmp_gt_u32_e32 vcc_lo, 0x7a, v84
	v_cndmask_b32_e32 v34, 0, v34, vcc_lo
	v_cmp_eq_u32_e32 vcc_lo, 0, v84
	s_delay_alu instid0(VALU_DEP_2) | instskip(SKIP_1) | instid1(VALU_DEP_2)
	v_cndmask_b32_e64 v85, v34, 0x78, vcc_lo
	v_and_b32_e32 v34, 0x7fffff, v80
	v_add_nc_u32_e32 v80, 20, v85
	s_delay_alu instid0(VALU_DEP_2) | instskip(SKIP_1) | instid1(VALU_DEP_3)
	v_or_b32_e32 v82, 0x800000, v34
	v_add_nc_u32_e32 v83, 19, v85
	v_lshlrev_b64_e64 v[80:81], v80, -1
	s_delay_alu instid0(VALU_DEP_3) | instskip(NEXT) | instid1(VALU_DEP_3)
	v_cndmask_b32_e32 v34, v82, v34, vcc_lo
	v_lshlrev_b64_e64 v[82:83], v83, 1
	s_delay_alu instid0(VALU_DEP_3) | instskip(NEXT) | instid1(VALU_DEP_3)
	v_bfi_b32 v87, v81, 0, 0
	v_bfi_b32 v86, v80, 0, v34
	v_lshrrev_b64 v[80:81], v85, v[34:35]
	s_delay_alu instid0(VALU_DEP_2) | instskip(NEXT) | instid1(VALU_DEP_2)
	v_cmp_eq_u64_e64 s10, v[86:87], v[82:83]
	v_mov_b64_e32 v[82:83], v[80:81]
	s_and_saveexec_b32 s40, s10
; %bb.2472:                             ;   in Loop: Header=BB2_2420 Depth=2
	v_bfe_u32 v34, v80, 20, 1
	s_delay_alu instid0(VALU_DEP_1) | instskip(NEXT) | instid1(VALU_DEP_1)
	v_add_nc_u64_e32 v[82:83], v[80:81], v[34:35]
	v_add_nc_u64_e32 v[82:83], -1, v[82:83]
; %bb.2473:                             ;   in Loop: Header=BB2_2420 Depth=2
	s_or_b32 exec_lo, exec_lo, s40
	v_add_nc_u32_e32 v34, 0xffffff81, v84
	v_lshrrev_b32_e32 v81, 23, v80
	s_mov_b32 s10, exec_lo
	s_delay_alu instid0(VALU_DEP_2) | instskip(NEXT) | instid1(VALU_DEP_1)
	v_cndmask_b32_e64 v34, v34, 0xffffff82, vcc_lo
	v_add3_u32 v83, v85, v34, v81
	v_and_b32_e32 v34, 0xfffff, v82
                                        ; implicit-def: $vgpr82
	s_delay_alu instid0(VALU_DEP_1) | instskip(NEXT) | instid1(VALU_DEP_1)
	v_dual_add_nc_u32 v84, 6, v83 :: v_dual_add_nc_u32 v34, v34, v80
                                        ; implicit-def: $vgpr80_vgpr81
	v_cmpx_ne_u32_e32 0, v84
	s_xor_b32 s10, exec_lo, s10
; %bb.2474:                             ;   in Loop: Header=BB2_2420 Depth=2
	s_delay_alu instid0(VALU_DEP_2) | instskip(SKIP_1) | instid1(VALU_DEP_1)
	v_cmp_lt_u64_e32 vcc_lo, 0xffffff, v[34:35]
	v_add_nc_u32_e32 v80, 7, v83
	v_cndmask_b32_e32 v82, v84, v80, vcc_lo
	v_cndmask_b32_e64 v80, 0, 1, vcc_lo
	s_delay_alu instid0(VALU_DEP_1)
	v_lshrrev_b64 v[80:81], v80, v[34:35]
; %bb.2475:                             ;   in Loop: Header=BB2_2420 Depth=2
	s_and_not1_saveexec_b32 s10, s10
; %bb.2476:                             ;   in Loop: Header=BB2_2420 Depth=2
	v_mov_b64_e32 v[80:81], v[34:35]
	v_bfe_u32 v82, v34, 23, 1
; %bb.2477:                             ;   in Loop: Header=BB2_2420 Depth=2
	s_or_b32 exec_lo, exec_lo, s10
	s_delay_alu instid0(VALU_DEP_2) | instskip(NEXT) | instid1(VALU_DEP_2)
	v_lshrrev_b64 v[80:81], 20, v[80:81]
	v_cmp_gt_i32_e32 vcc_lo, 16, v82
	v_cmp_ne_u32_e64 s10, 0, v82
                                        ; implicit-def: $vgpr34
	s_delay_alu instid0(VALU_DEP_3) | instskip(NEXT) | instid1(VALU_DEP_1)
	v_dual_cndmask_b32 v81, 0, v81 :: v_dual_cndmask_b32 v80, 7, v80
	v_cmp_ne_u64_e32 vcc_lo, 0, v[80:81]
	s_or_b32 s10, s10, vcc_lo
	s_delay_alu instid0(SALU_CYCLE_1) | instskip(NEXT) | instid1(SALU_CYCLE_1)
	s_and_saveexec_b32 s40, s10
	s_xor_b32 s10, exec_lo, s40
; %bb.2478:                             ;   in Loop: Header=BB2_2420 Depth=2
	v_min_i32_e32 v34, 15, v82
	s_delay_alu instid0(VALU_DEP_1) | instskip(NEXT) | instid1(VALU_DEP_1)
	v_lshl_or_b32 v34, v34, 3, v69
                                        ; implicit-def: $vgpr69
	v_and_or_b32 v34, v80, 7, v34
; %bb.2479:                             ;   in Loop: Header=BB2_2420 Depth=2
	s_and_not1_saveexec_b32 s10, s10
; %bb.2480:                             ;   in Loop: Header=BB2_2420 Depth=2
	v_mov_b32_e32 v34, v69
; %bb.2481:                             ;   in Loop: Header=BB2_2420 Depth=2
	s_or_b32 exec_lo, exec_lo, s10
.LBB2_2482:                             ;   in Loop: Header=BB2_2420 Depth=2
	s_delay_alu instid0(SALU_CYCLE_1)
	s_or_b32 exec_lo, exec_lo, s29
                                        ; implicit-def: $vgpr69
.LBB2_2483:                             ;   in Loop: Header=BB2_2420 Depth=2
	s_and_not1_saveexec_b32 s10, s28
; %bb.2484:                             ;   in Loop: Header=BB2_2420 Depth=2
	v_or_b32_e32 v34, 0x7e, v69
; %bb.2485:                             ;   in Loop: Header=BB2_2420 Depth=2
	s_or_b32 exec_lo, exec_lo, s10
                                        ; implicit-def: $vgpr69
.LBB2_2486:                             ;   in Loop: Header=BB2_2420 Depth=2
	s_and_not1_saveexec_b32 s10, s11
	s_cbranch_execz .LBB2_2419
; %bb.2487:                             ;   in Loop: Header=BB2_2420 Depth=2
	v_or_b32_e32 v34, 0x7f, v69
	s_branch .LBB2_2419
.LBB2_2488:                             ;   in Loop: Header=BB2_49 Depth=1
	s_or_b32 exec_lo, exec_lo, s12
	v_cmp_ne_u32_e64 s10, 0, v67
	s_and_saveexec_b32 s11, s2
	s_cbranch_execz .LBB2_2507
.LBB2_2489:                             ;   in Loop: Header=BB2_49 Depth=1
	s_and_saveexec_b32 s12, s3
	s_delay_alu instid0(SALU_CYCLE_1)
	s_xor_b32 s12, exec_lo, s12
	s_cbranch_execz .LBB2_2504
; %bb.2490:                             ;   in Loop: Header=BB2_49 Depth=1
	s_and_saveexec_b32 s27, s4
	s_cbranch_execz .LBB2_2503
; %bb.2491:                             ;   in Loop: Header=BB2_49 Depth=1
	s_mov_b32 s29, exec_lo
	s_mov_b32 s28, exec_lo
	v_mbcnt_lo_u32_b32 v10, s29, 0
	global_wb scope:SCOPE_DEV
	s_wait_storecnt 0x0
	s_wait_loadcnt_dscnt 0x0
	global_inv scope:SCOPE_DEV
	v_cmpx_eq_u32_e32 0, v10
	s_cbranch_execz .LBB2_2493
; %bb.2492:                             ;   in Loop: Header=BB2_49 Depth=1
	s_bcnt1_i32_b32 s29, s29
	s_delay_alu instid0(SALU_CYCLE_1)
	v_mov_b32_e32 v34, s29
	s_wait_loadcnt 0x0
	ds_add_u64 v0, v[34:35]
	s_trap 2
.LBB2_2493:                             ;   in Loop: Header=BB2_49 Depth=1
	s_or_b32 exec_lo, exec_lo, s28
	s_trap 2
	ds_load_b64 v[10:11], v0
	s_wait_dscnt 0x0
	v_add_nc_u64_e32 v[24:25], v[24:25], v[36:37]
	s_mov_b32 s28, exec_lo
	s_delay_alu instid0(VALU_DEP_1)
	v_cmpx_lt_u64_e64 v[10:11], v[24:25]
	s_cbranch_execz .LBB2_2502
; %bb.2494:                             ;   in Loop: Header=BB2_49 Depth=1
	s_mov_b32 s29, 0
	s_mov_b32 s42, 0
                                        ; implicit-def: $sgpr40
                                        ; implicit-def: $sgpr41
	s_branch .LBB2_2496
.LBB2_2495:                             ;   in Loop: Header=BB2_2496 Depth=2
	s_or_b32 exec_lo, exec_lo, s44
	s_delay_alu instid0(SALU_CYCLE_1) | instskip(NEXT) | instid1(SALU_CYCLE_1)
	s_and_b32 s43, exec_lo, s45
	s_or_b32 s29, s43, s29
	s_and_not1_b32 s40, s40, exec_lo
	s_and_b32 s43, s41, exec_lo
	s_delay_alu instid0(SALU_CYCLE_1)
	s_or_b32 s40, s40, s43
	s_and_not1_b32 exec_lo, exec_lo, s29
	s_cbranch_execz .LBB2_2500
.LBB2_2496:                             ;   Parent Loop BB2_49 Depth=1
                                        ; =>  This Inner Loop Header: Depth=2
	s_add_co_i32 s42, s42, 1
	s_delay_alu instid0(SALU_CYCLE_1) | instskip(SKIP_1) | instid1(SALU_CYCLE_1)
	s_cmp_lg_u32 s42, 0x2710
	s_cselect_b32 s43, -1, 0
	s_and_b32 vcc_lo, exec_lo, s43
	s_cbranch_vccz .LBB2_2498
; %bb.2497:                             ;   in Loop: Header=BB2_2496 Depth=2
	s_mov_b32 s45, -1
	s_or_b32 s41, s41, exec_lo
	s_and_saveexec_b32 s44, s43
	s_cbranch_execz .LBB2_2495
	s_branch .LBB2_2499
.LBB2_2498:                             ;   in Loop: Header=BB2_2496 Depth=2
	s_trap 2
	ds_load_b64 v[10:11], v0
	s_and_not1_b32 s43, s43, exec_lo
	s_mov_b32 s42, 0
	s_wait_loadcnt_dscnt 0x0
	flat_load_b32 v10, v[10:11] scope:SCOPE_SYS
	s_wait_loadcnt_dscnt 0x0
	global_inv scope:SCOPE_SYS
	v_cmp_eq_u32_e32 vcc_lo, 0, v10
	s_and_b32 s44, vcc_lo, exec_lo
	s_delay_alu instid0(SALU_CYCLE_1)
	s_or_b32 s43, s43, s44
	s_mov_b32 s45, -1
	s_or_b32 s41, s41, exec_lo
	s_and_saveexec_b32 s44, s43
	s_cbranch_execz .LBB2_2495
.LBB2_2499:                             ;   in Loop: Header=BB2_2496 Depth=2
	s_sleep 1
	s_trap 2
	ds_load_b64 v[10:11], v0
	s_wait_dscnt 0x0
	s_and_not1_b32 s41, s41, exec_lo
	v_cmp_ge_u64_e32 vcc_lo, v[10:11], v[24:25]
	s_or_not1_b32 s45, vcc_lo, exec_lo
	s_branch .LBB2_2495
.LBB2_2500:                             ;   in Loop: Header=BB2_49 Depth=1
	s_or_b32 exec_lo, exec_lo, s29
	s_and_saveexec_b32 s29, s40
	s_delay_alu instid0(SALU_CYCLE_1)
	s_xor_b32 s29, exec_lo, s29
	s_cbranch_execz .LBB2_2502
; %bb.2501:                             ;   in Loop: Header=BB2_49 Depth=1
	ds_store_b32 v0, v114
	s_trap 2
.LBB2_2502:                             ;   in Loop: Header=BB2_49 Depth=1
	s_or_b32 exec_lo, exec_lo, s28
	;;#ASMSTART
	s_wakeup
	;;#ASMEND
.LBB2_2503:                             ;   in Loop: Header=BB2_49 Depth=1
	s_or_b32 exec_lo, exec_lo, s27
.LBB2_2504:                             ;   in Loop: Header=BB2_49 Depth=1
	s_and_not1_saveexec_b32 s12, s12
	s_cbranch_execz .LBB2_2506
; %bb.2505:                             ;   in Loop: Header=BB2_49 Depth=1
	global_wb scope:SCOPE_DEV
	s_wait_storecnt 0x0
	s_wait_loadcnt_dscnt 0x0
	global_inv scope:SCOPE_DEV
	s_barrier_signal -1
	s_barrier_wait -1
.LBB2_2506:                             ;   in Loop: Header=BB2_49 Depth=1
	s_or_b32 exec_lo, exec_lo, s12
.LBB2_2507:                             ;   in Loop: Header=BB2_49 Depth=1
	s_delay_alu instid0(SALU_CYCLE_1) | instskip(SKIP_1) | instid1(VALU_DEP_1)
	s_or_b32 exec_lo, exec_lo, s11
	v_and_b32_e32 v10, 16, v102
	v_cmp_ne_u32_e32 vcc_lo, 0, v10
	s_and_b32 s11, vcc_lo, s10
	s_delay_alu instid0(SALU_CYCLE_1)
	s_and_saveexec_b32 s10, s11
	s_cbranch_execz .LBB2_2509
; %bb.2508:                             ;   in Loop: Header=BB2_49 Depth=1
	global_wb scope:SCOPE_SYS
	s_wait_storecnt 0x0
	s_wait_loadcnt_dscnt 0x0
	global_inv scope:SCOPE_SYS
.LBB2_2509:                             ;   in Loop: Header=BB2_49 Depth=1
	s_or_b32 exec_lo, exec_lo, s10
	v_cmp_ne_u32_e32 vcc_lo, 0, v10
	s_xor_b32 s10, s7, -1
	s_delay_alu instid0(SALU_CYCLE_1) | instskip(NEXT) | instid1(SALU_CYCLE_1)
	s_and_b32 s11, vcc_lo, s10
	s_and_saveexec_b32 s10, s11
	s_cbranch_execz .LBB2_2511
; %bb.2510:                             ;   in Loop: Header=BB2_49 Depth=1
	global_wb scope:SCOPE_SYS
	s_wait_storecnt 0x0
	s_wait_loadcnt_dscnt 0x0
	flat_store_b32 v[32:33], v114 scope:SCOPE_SYS
.LBB2_2511:                             ;   in Loop: Header=BB2_49 Depth=1
	s_wait_xcnt 0x0
	s_or_b32 exec_lo, exec_lo, s10
	v_and_b32_e32 v10, 48, v102
	s_mov_b32 s10, exec_lo
	s_delay_alu instid0(VALU_DEP_1)
	v_cmpx_ne_u32_e32 0, v10
	s_cbranch_execz .LBB2_2513
; %bb.2512:                             ;   in Loop: Header=BB2_49 Depth=1
	v_add_nc_u64_e32 v[8:9], 1, v[8:9]
	global_wb scope:SCOPE_SYS
	s_wait_storecnt 0x0
	s_wait_loadcnt_dscnt 0x0
	flat_store_b64 v[18:19], v[8:9] scope:SCOPE_SYS
.LBB2_2513:                             ;   in Loop: Header=BB2_49 Depth=1
	s_wait_xcnt 0x0
	s_or_b32 exec_lo, exec_lo, s10
	v_mov_b32_e32 v10, v68
.LBB2_2514:                             ;   in Loop: Header=BB2_49 Depth=1
	s_or_b32 exec_lo, exec_lo, s26
	s_and_saveexec_b32 s11, s25
	s_cbranch_execz .LBB2_48
; %bb.2515:                             ;   in Loop: Header=BB2_49 Depth=1
	s_delay_alu instid0(VALU_DEP_1) | instskip(SKIP_2) | instid1(VALU_DEP_2)
	v_sub_nc_u32_e32 v10, v66, v10
	v_and_b32_e32 v11, 12, v102
	s_mov_b32 s12, exec_lo
	v_min_i32_e32 v10, v68, v10
	s_delay_alu instid0(VALU_DEP_2)
	v_cmpx_ne_u32_e32 0, v11
	s_cbranch_execz .LBB2_2541
; %bb.2516:                             ;   in Loop: Header=BB2_49 Depth=1
	v_and_b32_e32 v34, 8, v102
	v_add_nc_u64_e32 v[12:13], 1, v[8:9]
	s_mov_b32 s25, exec_lo
	s_wait_loadcnt 0x0
	s_delay_alu instid0(VALU_DEP_2) | instskip(NEXT) | instid1(VALU_DEP_1)
	v_add_nc_u64_e32 v[66:67], v[26:27], v[34:35]
	v_cmpx_lt_u64_e64 v[66:67], v[12:13]
	s_cbranch_execz .LBB2_2528
; %bb.2517:                             ;   in Loop: Header=BB2_49 Depth=1
	v_and_b32_e32 v9, 64, v102
	s_mov_b32 s26, 0
	s_mov_b32 s40, 0
                                        ; implicit-def: $sgpr27
                                        ; implicit-def: $sgpr28
                                        ; implicit-def: $sgpr29
	s_delay_alu instid0(VALU_DEP_1)
	v_cmp_eq_u32_e32 vcc_lo, 0, v9
	s_branch .LBB2_2520
.LBB2_2518:                             ;   in Loop: Header=BB2_2520 Depth=2
	s_or_b32 exec_lo, exec_lo, s45
	s_delay_alu instid0(SALU_CYCLE_1)
	s_and_not1_b32 s10, s29, exec_lo
	s_and_b32 s29, s43, exec_lo
	s_and_not1_b32 s28, s28, exec_lo
	s_and_b32 s42, s42, exec_lo
	s_or_b32 s29, s10, s29
	s_or_b32 s28, s28, s42
.LBB2_2519:                             ;   in Loop: Header=BB2_2520 Depth=2
	s_or_b32 exec_lo, exec_lo, s41
	s_delay_alu instid0(SALU_CYCLE_1) | instskip(NEXT) | instid1(SALU_CYCLE_1)
	s_and_b32 s10, exec_lo, s28
	s_or_b32 s26, s10, s26
	s_and_not1_b32 s10, s27, exec_lo
	s_and_b32 s27, s29, exec_lo
	s_delay_alu instid0(SALU_CYCLE_1)
	s_or_b32 s27, s10, s27
	s_and_not1_b32 exec_lo, exec_lo, s26
	s_cbranch_execz .LBB2_2525
.LBB2_2520:                             ;   Parent Loop BB2_49 Depth=1
                                        ; =>  This Inner Loop Header: Depth=2
	s_sleep 1
	s_wait_loadcnt_dscnt 0x0
	flat_load_b64 v[26:27], v[18:19] scope:SCOPE_SYS
	s_or_b32 s29, s29, exec_lo
	s_or_b32 s28, s28, exec_lo
                                        ; implicit-def: $vgpr9
	s_wait_xcnt 0x0
	s_and_saveexec_b32 s41, vcc_lo
	s_cbranch_execz .LBB2_2519
; %bb.2521:                             ;   in Loop: Header=BB2_2520 Depth=2
	s_cmp_lt_i32 s40, 0x270f
	s_mov_b32 s42, -1
	s_cselect_b32 s44, -1, 0
	s_cmp_gt_i32 s40, 0x270e
	s_cbranch_scc0 .LBB2_2523
; %bb.2522:                             ;   in Loop: Header=BB2_2520 Depth=2
	s_trap 2
	ds_load_b64 v[66:67], v0
	s_and_not1_b32 s40, s44, exec_lo
	s_mov_b32 s43, 0
	s_wait_storecnt 0x0
	s_wait_loadcnt_dscnt 0x0
	flat_load_b32 v9, v[66:67] scope:SCOPE_SYS
	s_wait_loadcnt_dscnt 0x0
	global_inv scope:SCOPE_SYS
	v_cmp_eq_u32_e64 s10, 0, v9
	s_and_b32 s10, s10, exec_lo
	s_delay_alu instid0(SALU_CYCLE_1)
	s_or_b32 s44, s40, s10
	s_mov_b32 s40, 0
	s_and_saveexec_b32 s45, s44
	s_cbranch_execz .LBB2_2518
	s_branch .LBB2_2524
.LBB2_2523:                             ;   in Loop: Header=BB2_2520 Depth=2
	s_add_co_i32 s40, s40, 1
	s_mov_b32 s43, -1
                                        ; implicit-def: $vgpr9
	s_and_saveexec_b32 s45, s44
	s_cbranch_execz .LBB2_2518
.LBB2_2524:                             ;   in Loop: Header=BB2_2520 Depth=2
	s_wait_loadcnt_dscnt 0x0
	v_add_nc_u64_e32 v[66:67], v[26:27], v[34:35]
	s_or_b32 s43, s43, exec_lo
	s_delay_alu instid0(VALU_DEP_1)
	v_cmp_ge_u64_e64 s10, v[66:67], v[12:13]
	s_or_not1_b32 s42, s10, exec_lo
	s_branch .LBB2_2518
.LBB2_2525:                             ;   in Loop: Header=BB2_49 Depth=1
	s_or_b32 exec_lo, exec_lo, s26
	s_xor_b32 s10, s27, -1
	s_delay_alu instid0(SALU_CYCLE_1) | instskip(NEXT) | instid1(SALU_CYCLE_1)
	s_and_saveexec_b32 s26, s10
	s_xor_b32 s10, exec_lo, s26
	s_cbranch_execz .LBB2_2527
; %bb.2526:                             ;   in Loop: Header=BB2_49 Depth=1
	v_or_b32_e32 v102, 64, v102
	s_wait_storecnt 0x0
	s_wait_loadcnt_dscnt 0x0
	ds_store_b32 v0, v9
	s_trap 2
.LBB2_2527:                             ;   in Loop: Header=BB2_49 Depth=1
	s_or_b32 exec_lo, exec_lo, s10
.LBB2_2528:                             ;   in Loop: Header=BB2_49 Depth=1
	s_delay_alu instid0(SALU_CYCLE_1) | instskip(SKIP_2) | instid1(VALU_DEP_1)
	s_or_b32 exec_lo, exec_lo, s25
	v_and_b32_e32 v9, 0x108, v102
	;;#ASMSTART
	s_wakeup
	;;#ASMEND
	v_cmp_ne_u32_e32 vcc_lo, 0x108, v9
	v_and_b32_e32 v8, 7, v8
	s_and_saveexec_b32 s10, vcc_lo
	s_delay_alu instid0(SALU_CYCLE_1)
	s_xor_b32 s10, exec_lo, s10
; %bb.2529:                             ;   in Loop: Header=BB2_49 Depth=1
	v_mov_b32_e32 v9, v35
; %bb.2530:                             ;   in Loop: Header=BB2_49 Depth=1
	s_and_not1_saveexec_b32 s10, s10
	s_cbranch_execz .LBB2_2532
; %bb.2531:                             ;   in Loop: Header=BB2_49 Depth=1
	v_mad_nc_u64_u32 v[66:67], v8, 24, v[6:7]
	v_dual_ashrrev_i32 v11, 31, v10 :: v_dual_mov_b32 v9, v35
	flat_store_b64 v[66:67], v[10:11] offset:8
.LBB2_2532:                             ;   in Loop: Header=BB2_49 Depth=1
	s_wait_xcnt 0x0
	s_or_b32 exec_lo, exec_lo, s10
	v_and_b32_e32 v11, 0x100, v102
	s_mov_b32 s10, -1
	s_mov_b32 s25, exec_lo
                                        ; implicit-def: $vgpr66_vgpr67
	s_delay_alu instid0(VALU_DEP_1)
	v_cmpx_ne_u32_e32 0, v11
	s_cbranch_execz .LBB2_2536
; %bb.2533:                             ;   in Loop: Header=BB2_49 Depth=1
	v_mad_nc_u64_u32 v[68:69], v8, 24, v[6:7]
	s_mov_b32 s26, exec_lo
                                        ; implicit-def: $vgpr66_vgpr67
	s_delay_alu instid0(VALU_DEP_1)
	v_mad_u32 v69, v9, 24, v69
	flat_load_b32 v11, v[68:69]
	s_wait_loadcnt_dscnt 0x0
	v_cmp_ne_u32_e32 vcc_lo, 1, v11
	s_wait_xcnt 0x0
	v_cmpx_eq_u32_e32 1, v11
	s_cbranch_execz .LBB2_2535
; %bb.2534:                             ;   in Loop: Header=BB2_49 Depth=1
	flat_load_b32 v66, v[68:69] offset:4 scope:SCOPE_SYS
	s_wait_loadcnt_dscnt 0x0
	v_ashrrev_i32_e32 v67, 31, v66
.LBB2_2535:                             ;   in Loop: Header=BB2_49 Depth=1
	s_wait_xcnt 0x0
	s_or_b32 exec_lo, exec_lo, s26
	s_delay_alu instid0(SALU_CYCLE_1)
	s_or_not1_b32 s10, vcc_lo, exec_lo
.LBB2_2536:                             ;   in Loop: Header=BB2_49 Depth=1
	s_or_b32 exec_lo, exec_lo, s25
	s_and_saveexec_b32 s25, s10
; %bb.2537:                             ;   in Loop: Header=BB2_49 Depth=1
	v_mul_u64_e32 v[66:67], v[8:9], v[20:21]
; %bb.2538:                             ;   in Loop: Header=BB2_49 Depth=1
	s_or_b32 exec_lo, exec_lo, s25
	v_cmp_eq_u32_e32 vcc_lo, 0, v34
	s_delay_alu instid0(VALU_DEP_2) | instskip(SKIP_3) | instid1(VALU_DEP_1)
	v_add_nc_u64_e32 v[8:9], v[22:23], v[66:67]
	v_and_b32_e32 v30, 0x2000, v102
	s_mov_b32 s10, exec_lo
	v_cndmask_b32_e32 v11, 0xc8, v115, vcc_lo
	v_add_nc_u32_e32 v11, v0, v11
	ds_store_b64 v11, v[8:9] offset:584
	v_cmpx_ne_u32_e32 0, v30
	s_cbranch_execz .LBB2_2540
; %bb.2539:                             ;   in Loop: Header=BB2_49 Depth=1
	ds_load_b64 v[8:9], v0 offset:872
	s_wait_dscnt 0x0
	v_add_nc_u64_e32 v[8:9], 1, v[8:9]
	ds_store_b64 v0, v[8:9] offset:872
.LBB2_2540:                             ;   in Loop: Header=BB2_49 Depth=1
	s_or_b32 exec_lo, exec_lo, s10
	v_mov_b64_e32 v[8:9], v[12:13]
.LBB2_2541:                             ;   in Loop: Header=BB2_49 Depth=1
	s_or_b32 exec_lo, exec_lo, s12
	s_and_saveexec_b32 s10, s2
	s_cbranch_execz .LBB2_2560
; %bb.2542:                             ;   in Loop: Header=BB2_49 Depth=1
	s_and_saveexec_b32 s12, s3
	s_delay_alu instid0(SALU_CYCLE_1)
	s_xor_b32 s12, exec_lo, s12
	s_cbranch_execz .LBB2_2557
; %bb.2543:                             ;   in Loop: Header=BB2_49 Depth=1
	s_and_saveexec_b32 s25, s4
	s_cbranch_execz .LBB2_2556
; %bb.2544:                             ;   in Loop: Header=BB2_49 Depth=1
	s_mov_b32 s27, exec_lo
	s_mov_b32 s26, exec_lo
	v_mbcnt_lo_u32_b32 v11, s27, 0
	global_wb scope:SCOPE_DEV
	s_wait_storecnt 0x0
	s_wait_loadcnt_dscnt 0x0
	global_inv scope:SCOPE_DEV
	v_cmpx_eq_u32_e32 0, v11
	s_cbranch_execz .LBB2_2546
; %bb.2545:                             ;   in Loop: Header=BB2_49 Depth=1
	s_bcnt1_i32_b32 s27, s27
	s_delay_alu instid0(SALU_CYCLE_1)
	v_mov_b32_e32 v34, s27
	s_wait_loadcnt 0x0
	ds_add_u64 v0, v[34:35]
	s_trap 2
.LBB2_2546:                             ;   in Loop: Header=BB2_49 Depth=1
	s_or_b32 exec_lo, exec_lo, s26
	s_trap 2
	ds_load_b64 v[12:13], v0
	s_wait_dscnt 0x0
	v_add_nc_u64_e32 v[24:25], v[24:25], v[36:37]
	s_mov_b32 s26, exec_lo
	s_delay_alu instid0(VALU_DEP_1)
	v_cmpx_lt_u64_e64 v[12:13], v[24:25]
	s_cbranch_execz .LBB2_2555
; %bb.2547:                             ;   in Loop: Header=BB2_49 Depth=1
	s_mov_b32 s27, 0
	s_mov_b32 s40, 0
                                        ; implicit-def: $sgpr28
                                        ; implicit-def: $sgpr29
	s_branch .LBB2_2549
.LBB2_2548:                             ;   in Loop: Header=BB2_2549 Depth=2
	s_or_b32 exec_lo, exec_lo, s42
	s_delay_alu instid0(SALU_CYCLE_1) | instskip(NEXT) | instid1(SALU_CYCLE_1)
	s_and_b32 s41, exec_lo, s43
	s_or_b32 s27, s41, s27
	s_and_not1_b32 s28, s28, exec_lo
	s_and_b32 s41, s29, exec_lo
	s_delay_alu instid0(SALU_CYCLE_1)
	s_or_b32 s28, s28, s41
	s_and_not1_b32 exec_lo, exec_lo, s27
	s_cbranch_execz .LBB2_2553
.LBB2_2549:                             ;   Parent Loop BB2_49 Depth=1
                                        ; =>  This Inner Loop Header: Depth=2
	s_add_co_i32 s40, s40, 1
	s_delay_alu instid0(SALU_CYCLE_1) | instskip(SKIP_1) | instid1(SALU_CYCLE_1)
	s_cmp_lg_u32 s40, 0x2710
	s_cselect_b32 s41, -1, 0
	s_and_b32 vcc_lo, exec_lo, s41
	s_cbranch_vccz .LBB2_2551
; %bb.2550:                             ;   in Loop: Header=BB2_2549 Depth=2
	s_mov_b32 s43, -1
	s_or_b32 s29, s29, exec_lo
	s_and_saveexec_b32 s42, s41
	s_cbranch_execz .LBB2_2548
	s_branch .LBB2_2552
.LBB2_2551:                             ;   in Loop: Header=BB2_2549 Depth=2
	s_trap 2
	ds_load_b64 v[12:13], v0
	s_and_not1_b32 s41, s41, exec_lo
	s_mov_b32 s40, 0
	s_wait_loadcnt_dscnt 0x0
	flat_load_b32 v11, v[12:13] scope:SCOPE_SYS
	s_wait_loadcnt_dscnt 0x0
	global_inv scope:SCOPE_SYS
	v_cmp_eq_u32_e32 vcc_lo, 0, v11
	s_and_b32 s42, vcc_lo, exec_lo
	s_delay_alu instid0(SALU_CYCLE_1)
	s_or_b32 s41, s41, s42
	s_mov_b32 s43, -1
	s_or_b32 s29, s29, exec_lo
	s_and_saveexec_b32 s42, s41
	s_cbranch_execz .LBB2_2548
.LBB2_2552:                             ;   in Loop: Header=BB2_2549 Depth=2
	s_sleep 1
	s_trap 2
	ds_load_b64 v[12:13], v0
	s_wait_dscnt 0x0
	s_and_not1_b32 s29, s29, exec_lo
	v_cmp_ge_u64_e32 vcc_lo, v[12:13], v[24:25]
	s_or_not1_b32 s43, vcc_lo, exec_lo
	s_branch .LBB2_2548
.LBB2_2553:                             ;   in Loop: Header=BB2_49 Depth=1
	s_or_b32 exec_lo, exec_lo, s27
	s_and_saveexec_b32 s27, s28
	s_delay_alu instid0(SALU_CYCLE_1)
	s_xor_b32 s27, exec_lo, s27
	s_cbranch_execz .LBB2_2555
; %bb.2554:                             ;   in Loop: Header=BB2_49 Depth=1
	ds_store_b32 v0, v114
	s_trap 2
.LBB2_2555:                             ;   in Loop: Header=BB2_49 Depth=1
	s_or_b32 exec_lo, exec_lo, s26
	;;#ASMSTART
	s_wakeup
	;;#ASMEND
.LBB2_2556:                             ;   in Loop: Header=BB2_49 Depth=1
	s_or_b32 exec_lo, exec_lo, s25
.LBB2_2557:                             ;   in Loop: Header=BB2_49 Depth=1
	s_and_not1_saveexec_b32 s12, s12
	s_cbranch_execz .LBB2_2559
; %bb.2558:                             ;   in Loop: Header=BB2_49 Depth=1
	global_wb scope:SCOPE_DEV
	s_wait_storecnt 0x0
	s_wait_loadcnt_dscnt 0x0
	global_inv scope:SCOPE_DEV
	s_barrier_signal -1
	s_barrier_wait -1
.LBB2_2559:                             ;   in Loop: Header=BB2_49 Depth=1
	s_or_b32 exec_lo, exec_lo, s12
.LBB2_2560:                             ;   in Loop: Header=BB2_49 Depth=1
	s_delay_alu instid0(SALU_CYCLE_1)
	s_or_b32 exec_lo, exec_lo, s10
	s_trap 2
	ds_load_b32 v11, v0
	v_cmp_lt_i32_e32 vcc_lo, 0, v10
	s_wait_dscnt 0x0
	v_readfirstlane_b32 s10, v11
	v_and_b32_e32 v11, 16, v102
	s_cmp_eq_u32 s10, 0
	s_delay_alu instid0(VALU_DEP_1) | instskip(SKIP_1) | instid1(SALU_CYCLE_1)
	v_cmp_ne_u32_e64 s10, 0, v11
	s_cselect_b32 s12, -1, 0
	s_and_b32 s12, vcc_lo, s12
	s_delay_alu instid0(SALU_CYCLE_1) | instskip(NEXT) | instid1(SALU_CYCLE_1)
	s_and_b32 s12, s10, s12
	s_and_saveexec_b32 s10, s12
	s_cbranch_execz .LBB2_2562
; %bb.2561:                             ;   in Loop: Header=BB2_49 Depth=1
	global_wb scope:SCOPE_SYS
	s_wait_loadcnt 0x0
	s_wait_storecnt 0x0
	global_inv scope:SCOPE_SYS
.LBB2_2562:                             ;   in Loop: Header=BB2_49 Depth=1
	s_or_b32 exec_lo, exec_lo, s10
	v_cmp_ne_u32_e32 vcc_lo, 0, v11
	s_xor_b32 s10, s7, -1
	s_delay_alu instid0(SALU_CYCLE_1) | instskip(NEXT) | instid1(SALU_CYCLE_1)
	s_and_b32 s12, vcc_lo, s10
	s_and_saveexec_b32 s10, s12
	s_cbranch_execz .LBB2_2564
; %bb.2563:                             ;   in Loop: Header=BB2_49 Depth=1
	global_wb scope:SCOPE_SYS
	s_wait_loadcnt 0x0
	s_wait_storecnt 0x0
	flat_store_b32 v[32:33], v114 scope:SCOPE_SYS
.LBB2_2564:                             ;   in Loop: Header=BB2_49 Depth=1
	s_wait_xcnt 0x0
	s_or_b32 exec_lo, exec_lo, s10
	v_and_b32_e32 v10, 48, v102
	s_mov_b32 s10, exec_lo
	s_delay_alu instid0(VALU_DEP_1)
	v_cmpx_ne_u32_e32 0, v10
	s_cbranch_execz .LBB2_47
; %bb.2565:                             ;   in Loop: Header=BB2_49 Depth=1
	v_add_nc_u64_e32 v[8:9], 1, v[8:9]
	global_wb scope:SCOPE_SYS
	s_wait_storecnt 0x0
	s_wait_loadcnt_dscnt 0x0
	flat_store_b64 v[18:19], v[8:9] scope:SCOPE_SYS
	s_branch .LBB2_47
.LBB2_2566:
	s_or_b32 exec_lo, exec_lo, s22
.LBB2_2567:
	s_delay_alu instid0(SALU_CYCLE_1)
	s_or_b32 exec_lo, exec_lo, s21
                                        ; implicit-def: $vgpr14_vgpr15
                                        ; implicit-def: $vgpr4_vgpr5
                                        ; implicit-def: $vgpr20
                                        ; implicit-def: $vgpr26_vgpr27
                                        ; implicit-def: $vgpr22_vgpr23
                                        ; implicit-def: $vgpr18_vgpr19
                                        ; implicit-def: $vgpr0
                                        ; implicit-def: $vgpr38
                                        ; implicit-def: $vgpr28_vgpr29
.LBB2_2568:
	s_and_not1_saveexec_b32 s16, s13
	s_cbranch_execz .LBB2_5080
; %bb.2569:
	v_mov_b64_e32 v[24:25], 0
	s_mov_b32 s17, exec_lo
	v_cmpx_ne_u64_e32 0, v[4:5]
	s_cbranch_execz .LBB2_5079
; %bb.2570:
	v_dual_ashrrev_i32 v21, 31, v20 :: v_dual_bitop2_b32 v10, 31, v31 bitop3:0x40
	v_dual_mov_b32 v33, 0 :: v_dual_bitop2_b32 v96, 31, v0 bitop3:0x40
	v_lshrrev_b32_e32 v34, 5, v1
	s_ashr_i32 s2, s19, 31
	v_cmp_eq_u32_e32 vcc_lo, 32, v1
	s_lshr_b32 s2, s2, 24
	v_mov_b64_e32 v[52:53], 0
	v_mov_b64_e32 v[24:25], 0
	v_cmp_ge_u32_e64 s1, v0, v1
	s_add_co_i32 s7, s19, s2
	v_cmp_ne_u32_e64 s2, 32, v1
	v_cmp_ne_u32_e64 s3, v1, v103
	v_cmp_eq_u32_e64 s4, 0, v10
	v_mov_b32_e32 v35, v33
	v_cmp_le_u32_e64 s5, v96, v38
	v_cmp_eq_u32_e64 s6, 0, v96
	v_dual_lshrrev_b32 v97, 5, v0 :: v_dual_lshlrev_b32 v36, 4, v0
	v_dual_mov_b32 v37, v33 :: v_dual_lshlrev_b32 v38, 9, v34
	v_dual_mov_b32 v39, v33 :: v_dual_lshlrev_b32 v48, 8, v34
	v_dual_mov_b32 v49, v33 :: v_dual_mov_b32 v51, v33
	v_and_b32_e32 v50, 0x1fe0, v1
	v_mov_b32_e32 v98, 1
	v_bfrev_b32_e32 v99, 1
	s_mov_b64 s[12:13], 0xffffffffffffff
	s_mov_b64 s[14:15], 0x100000000000000
	s_ashr_i32 s22, s7, 8
	s_mov_b32 s21, 0
	s_xor_b32 s23, vcc_lo, -1
	s_trap 2
	s_branch .LBB2_2573
.LBB2_2571:                             ;   in Loop: Header=BB2_2573 Depth=1
	s_wait_xcnt 0x0
	s_or_b32 exec_lo, exec_lo, s7
.LBB2_2572:                             ;   in Loop: Header=BB2_2573 Depth=1
	s_delay_alu instid0(SALU_CYCLE_1) | instskip(SKIP_1) | instid1(VALU_DEP_1)
	s_or_b32 exec_lo, exec_lo, s10
	v_add_nc_u64_e32 v[52:53], v[52:53], v[28:29]
	v_cmp_ge_u64_e32 vcc_lo, v[52:53], v[4:5]
	s_or_b32 s21, vcc_lo, s21
	s_delay_alu instid0(SALU_CYCLE_1)
	s_and_not1_b32 exec_lo, exec_lo, s21
	s_cbranch_execz .LBB2_5078
.LBB2_2573:                             ; =>This Loop Header: Depth=1
                                        ;     Child Loop BB2_2581 Depth 2
                                        ;     Child Loop BB2_2606 Depth 2
	;; [unrolled: 1-line block ×10, first 2 shown]
	v_sub_nc_u64_e32 v[10:11], v[4:5], v[52:53]
	v_mov_b32_e32 v30, v33
	s_delay_alu instid0(VALU_DEP_2) | instskip(NEXT) | instid1(VALU_DEP_1)
	v_min_u64 v[54:55], v[28:29], v[10:11]
	v_add_nc_u32_e32 v10, 15, v54
	s_delay_alu instid0(VALU_DEP_2) | instskip(NEXT) | instid1(VALU_DEP_2)
	v_cmp_eq_u64_e32 vcc_lo, 0, v[54:55]
	v_and_b32_e32 v10, 0x7ffffff0, v10
	s_or_b32 s24, s1, vcc_lo
	s_delay_alu instid0(SALU_CYCLE_1) | instskip(NEXT) | instid1(VALU_DEP_1)
	s_xor_b32 s7, s24, -1
	v_max_i32_e32 v55, s22, v10
	s_and_saveexec_b32 s25, s7
	s_cbranch_execz .LBB2_5032
; %bb.2574:                             ;   in Loop: Header=BB2_2573 Depth=1
	s_and_saveexec_b32 s7, s0
	s_cbranch_execz .LBB2_2576
; %bb.2575:                             ;   in Loop: Header=BB2_2573 Depth=1
	s_trap 2
	ds_load_b64 v[64:65], v0
	ds_load_2addr_b64 v[10:13], v0 offset1:1
	v_add_nc_u64_e32 v[66:67], v[52:53], v[14:15]
	s_wait_dscnt 0x1
	s_delay_alu instid0(VALU_DEP_1) | instskip(SKIP_4) | instid1(VALU_DEP_4)
	v_add_nc_u64_e32 v[68:69], v[64:65], v[66:67]
	v_cmp_ne_u64_e32 vcc_lo, 0, v[64:65]
	s_wait_dscnt 0x0
	v_add_nc_u64_e32 v[10:11], v[10:11], v[66:67]
	v_add_nc_u64_e32 v[12:13], v[12:13], v[66:67]
	v_dual_cndmask_b32 v65, 0, v69 :: v_dual_cndmask_b32 v64, 0, v68
	ds_store_b64 v0, v[10:11]
	ds_store_b64 v0, v[12:13]
	;; [unrolled: 1-line block ×3, first 2 shown]
.LBB2_2576:                             ;   in Loop: Header=BB2_2573 Depth=1
	s_or_b32 exec_lo, exec_lo, s7
	v_and_b32_e32 v10, 4, v102
	s_mov_b32 s10, exec_lo
	s_delay_alu instid0(VALU_DEP_1)
	v_cmpx_ne_u32_e32 0, v10
	s_cbranch_execz .LBB2_2598
; %bb.2577:                             ;   in Loop: Header=BB2_2573 Depth=1
	v_add_nc_u64_e32 v[10:11], 1, v[8:9]
	s_mov_b32 s11, exec_lo
	s_wait_loadcnt 0x0
	s_delay_alu instid0(VALU_DEP_1)
	v_cmpx_lt_u64_e64 v[26:27], v[10:11]
	s_cbranch_execz .LBB2_2589
; %bb.2578:                             ;   in Loop: Header=BB2_2573 Depth=1
	v_and_b32_e32 v9, 64, v102
	s_mov_b32 s26, 0
	s_mov_b32 s40, 0
                                        ; implicit-def: $sgpr27
                                        ; implicit-def: $sgpr28
                                        ; implicit-def: $sgpr29
	s_delay_alu instid0(VALU_DEP_1)
	v_cmp_eq_u32_e32 vcc_lo, 0, v9
	s_branch .LBB2_2581
.LBB2_2579:                             ;   in Loop: Header=BB2_2581 Depth=2
	s_or_b32 exec_lo, exec_lo, s45
	s_delay_alu instid0(SALU_CYCLE_1)
	s_and_not1_b32 s7, s29, exec_lo
	s_and_b32 s29, s43, exec_lo
	s_and_not1_b32 s28, s28, exec_lo
	s_and_b32 s42, s42, exec_lo
	s_or_b32 s29, s7, s29
	s_or_b32 s28, s28, s42
.LBB2_2580:                             ;   in Loop: Header=BB2_2581 Depth=2
	s_or_b32 exec_lo, exec_lo, s41
	s_delay_alu instid0(SALU_CYCLE_1) | instskip(NEXT) | instid1(SALU_CYCLE_1)
	s_and_b32 s7, exec_lo, s28
	s_or_b32 s26, s7, s26
	s_and_not1_b32 s7, s27, exec_lo
	s_and_b32 s27, s29, exec_lo
	s_delay_alu instid0(SALU_CYCLE_1)
	s_or_b32 s27, s7, s27
	s_and_not1_b32 exec_lo, exec_lo, s26
	s_cbranch_execz .LBB2_2586
.LBB2_2581:                             ;   Parent Loop BB2_2573 Depth=1
                                        ; =>  This Inner Loop Header: Depth=2
	s_sleep 1
	s_wait_loadcnt_dscnt 0x0
	flat_load_b64 v[26:27], v[18:19] scope:SCOPE_SYS
	s_or_b32 s29, s29, exec_lo
	s_or_b32 s28, s28, exec_lo
                                        ; implicit-def: $vgpr9
	s_wait_xcnt 0x0
	s_and_saveexec_b32 s41, vcc_lo
	s_cbranch_execz .LBB2_2580
; %bb.2582:                             ;   in Loop: Header=BB2_2581 Depth=2
	s_cmp_lt_i32 s40, 0x270f
	s_mov_b32 s42, -1
	s_cselect_b32 s44, -1, 0
	s_cmp_gt_i32 s40, 0x270e
	s_cbranch_scc0 .LBB2_2584
; %bb.2583:                             ;   in Loop: Header=BB2_2581 Depth=2
	s_trap 2
	ds_load_b64 v[12:13], v0
	s_and_not1_b32 s40, s44, exec_lo
	s_mov_b32 s43, 0
	s_wait_storecnt 0x0
	s_wait_loadcnt_dscnt 0x0
	flat_load_b32 v9, v[12:13] scope:SCOPE_SYS
	s_wait_loadcnt_dscnt 0x0
	global_inv scope:SCOPE_SYS
	v_cmp_eq_u32_e64 s7, 0, v9
	s_and_b32 s7, s7, exec_lo
	s_delay_alu instid0(SALU_CYCLE_1)
	s_or_b32 s44, s40, s7
	s_mov_b32 s40, 0
	s_and_saveexec_b32 s45, s44
	s_cbranch_execz .LBB2_2579
	s_branch .LBB2_2585
.LBB2_2584:                             ;   in Loop: Header=BB2_2581 Depth=2
	s_add_co_i32 s40, s40, 1
	s_mov_b32 s43, -1
                                        ; implicit-def: $vgpr9
	s_and_saveexec_b32 s45, s44
	s_cbranch_execz .LBB2_2579
.LBB2_2585:                             ;   in Loop: Header=BB2_2581 Depth=2
	s_wait_loadcnt_dscnt 0x0
	v_cmp_ge_u64_e64 s7, v[26:27], v[10:11]
	s_or_b32 s43, s43, exec_lo
	s_or_not1_b32 s42, s7, exec_lo
	s_branch .LBB2_2579
.LBB2_2586:                             ;   in Loop: Header=BB2_2573 Depth=1
	s_or_b32 exec_lo, exec_lo, s26
	s_xor_b32 s7, s27, -1
	s_delay_alu instid0(SALU_CYCLE_1) | instskip(NEXT) | instid1(SALU_CYCLE_1)
	s_and_saveexec_b32 s26, s7
	s_xor_b32 s7, exec_lo, s26
	s_cbranch_execz .LBB2_2588
; %bb.2587:                             ;   in Loop: Header=BB2_2573 Depth=1
	v_or_b32_e32 v102, 64, v102
	s_wait_storecnt 0x0
	s_wait_loadcnt_dscnt 0x0
	ds_store_b32 v0, v9
	s_trap 2
.LBB2_2588:                             ;   in Loop: Header=BB2_2573 Depth=1
	s_or_b32 exec_lo, exec_lo, s7
.LBB2_2589:                             ;   in Loop: Header=BB2_2573 Depth=1
	s_delay_alu instid0(SALU_CYCLE_1) | instskip(SKIP_4) | instid1(VALU_DEP_2)
	s_or_b32 exec_lo, exec_lo, s11
	v_and_b32_e32 v9, 0x100, v102
	v_and_b32_e32 v32, 7, v8
	s_mov_b32 s7, -1
	;;#ASMSTART
	s_wakeup
	;;#ASMEND
	v_cmp_ne_u32_e32 vcc_lo, 0, v9
                                        ; implicit-def: $vgpr8_vgpr9
	s_and_saveexec_b32 s11, vcc_lo
	s_cbranch_execz .LBB2_2593
; %bb.2590:                             ;   in Loop: Header=BB2_2573 Depth=1
	v_mad_nc_u64_u32 v[12:13], v32, 24, v[6:7]
	flat_load_b32 v8, v[12:13]
	s_wait_loadcnt_dscnt 0x0
	v_cmp_eq_u32_e64 s7, 1, v8
	v_cmp_ne_u32_e32 vcc_lo, 1, v8
                                        ; implicit-def: $vgpr8_vgpr9
	s_wait_xcnt 0x0
	s_and_saveexec_b32 s26, s7
	s_cbranch_execz .LBB2_2592
; %bb.2591:                             ;   in Loop: Header=BB2_2573 Depth=1
	flat_load_b32 v8, v[12:13] offset:4 scope:SCOPE_SYS
	s_wait_loadcnt_dscnt 0x0
	v_ashrrev_i32_e32 v9, 31, v8
.LBB2_2592:                             ;   in Loop: Header=BB2_2573 Depth=1
	s_wait_xcnt 0x0
	s_or_b32 exec_lo, exec_lo, s26
	s_delay_alu instid0(SALU_CYCLE_1)
	s_or_not1_b32 s7, vcc_lo, exec_lo
.LBB2_2593:                             ;   in Loop: Header=BB2_2573 Depth=1
	s_or_b32 exec_lo, exec_lo, s11
	s_and_saveexec_b32 s11, s7
; %bb.2594:                             ;   in Loop: Header=BB2_2573 Depth=1
	v_mul_u64_e32 v[8:9], v[32:33], v[20:21]
; %bb.2595:                             ;   in Loop: Header=BB2_2573 Depth=1
	s_or_b32 exec_lo, exec_lo, s11
	s_delay_alu instid0(VALU_DEP_1)
	v_add_nc_u64_e32 v[8:9], v[22:23], v[8:9]
	v_and_b32_e32 v12, 0x2000, v102
	s_mov_b32 s7, exec_lo
	ds_store_b64 v0, v[8:9] offset:728
	v_cmpx_ne_u32_e32 0, v12
	s_cbranch_execz .LBB2_2597
; %bb.2596:                             ;   in Loop: Header=BB2_2573 Depth=1
	ds_load_b64 v[8:9], v0 offset:872
	s_wait_dscnt 0x0
	v_add_nc_u64_e32 v[8:9], 1, v[8:9]
	ds_store_b64 v0, v[8:9] offset:872
.LBB2_2597:                             ;   in Loop: Header=BB2_2573 Depth=1
	s_or_b32 exec_lo, exec_lo, s7
	v_mov_b64_e32 v[8:9], v[10:11]
.LBB2_2598:                             ;   in Loop: Header=BB2_2573 Depth=1
	s_or_b32 exec_lo, exec_lo, s10
	s_and_saveexec_b32 s7, s2
	s_cbranch_execz .LBB2_2617
; %bb.2599:                             ;   in Loop: Header=BB2_2573 Depth=1
	s_and_saveexec_b32 s10, s3
	s_delay_alu instid0(SALU_CYCLE_1)
	s_xor_b32 s10, exec_lo, s10
	s_cbranch_execz .LBB2_2614
; %bb.2600:                             ;   in Loop: Header=BB2_2573 Depth=1
	s_and_saveexec_b32 s11, s4
	s_cbranch_execz .LBB2_2613
; %bb.2601:                             ;   in Loop: Header=BB2_2573 Depth=1
	s_mov_b32 s27, exec_lo
	s_mov_b32 s26, exec_lo
	v_mbcnt_lo_u32_b32 v10, s27, 0
	global_wb scope:SCOPE_DEV
	s_wait_storecnt 0x0
	s_wait_loadcnt_dscnt 0x0
	global_inv scope:SCOPE_DEV
	v_cmpx_eq_u32_e32 0, v10
	s_cbranch_execz .LBB2_2603
; %bb.2602:                             ;   in Loop: Header=BB2_2573 Depth=1
	s_bcnt1_i32_b32 s27, s27
	s_delay_alu instid0(SALU_CYCLE_1)
	v_mov_b32_e32 v32, s27
	s_wait_loadcnt 0x0
	ds_add_u64 v0, v[32:33]
	s_trap 2
.LBB2_2603:                             ;   in Loop: Header=BB2_2573 Depth=1
	s_or_b32 exec_lo, exec_lo, s26
	s_trap 2
	ds_load_b64 v[10:11], v0
	s_wait_dscnt 0x0
	v_add_nc_u64_e32 v[24:25], v[24:25], v[34:35]
	s_mov_b32 s26, exec_lo
	s_delay_alu instid0(VALU_DEP_1)
	v_cmpx_lt_u64_e64 v[10:11], v[24:25]
	s_cbranch_execz .LBB2_2612
; %bb.2604:                             ;   in Loop: Header=BB2_2573 Depth=1
	s_mov_b32 s27, 0
	s_mov_b32 s40, 0
                                        ; implicit-def: $sgpr28
                                        ; implicit-def: $sgpr29
	s_branch .LBB2_2606
.LBB2_2605:                             ;   in Loop: Header=BB2_2606 Depth=2
	s_or_b32 exec_lo, exec_lo, s42
	s_delay_alu instid0(SALU_CYCLE_1) | instskip(NEXT) | instid1(SALU_CYCLE_1)
	s_and_b32 s41, exec_lo, s43
	s_or_b32 s27, s41, s27
	s_and_not1_b32 s28, s28, exec_lo
	s_and_b32 s41, s29, exec_lo
	s_delay_alu instid0(SALU_CYCLE_1)
	s_or_b32 s28, s28, s41
	s_and_not1_b32 exec_lo, exec_lo, s27
	s_cbranch_execz .LBB2_2610
.LBB2_2606:                             ;   Parent Loop BB2_2573 Depth=1
                                        ; =>  This Inner Loop Header: Depth=2
	s_add_co_i32 s40, s40, 1
	s_delay_alu instid0(SALU_CYCLE_1) | instskip(SKIP_1) | instid1(SALU_CYCLE_1)
	s_cmp_lg_u32 s40, 0x2710
	s_cselect_b32 s41, -1, 0
	s_and_b32 vcc_lo, exec_lo, s41
	s_cbranch_vccz .LBB2_2608
; %bb.2607:                             ;   in Loop: Header=BB2_2606 Depth=2
	s_mov_b32 s43, -1
	s_or_b32 s29, s29, exec_lo
	s_and_saveexec_b32 s42, s41
	s_cbranch_execz .LBB2_2605
	s_branch .LBB2_2609
.LBB2_2608:                             ;   in Loop: Header=BB2_2606 Depth=2
	s_trap 2
	ds_load_b64 v[10:11], v0
	s_and_not1_b32 s41, s41, exec_lo
	s_mov_b32 s40, 0
	s_wait_loadcnt_dscnt 0x0
	flat_load_b32 v10, v[10:11] scope:SCOPE_SYS
	s_wait_loadcnt_dscnt 0x0
	global_inv scope:SCOPE_SYS
	v_cmp_eq_u32_e32 vcc_lo, 0, v10
	s_and_b32 s42, vcc_lo, exec_lo
	s_delay_alu instid0(SALU_CYCLE_1)
	s_or_b32 s41, s41, s42
	s_mov_b32 s43, -1
	s_or_b32 s29, s29, exec_lo
	s_and_saveexec_b32 s42, s41
	s_cbranch_execz .LBB2_2605
.LBB2_2609:                             ;   in Loop: Header=BB2_2606 Depth=2
	s_sleep 1
	s_trap 2
	ds_load_b64 v[10:11], v0
	s_wait_dscnt 0x0
	s_and_not1_b32 s29, s29, exec_lo
	v_cmp_ge_u64_e32 vcc_lo, v[10:11], v[24:25]
	s_or_not1_b32 s43, vcc_lo, exec_lo
	s_branch .LBB2_2605
.LBB2_2610:                             ;   in Loop: Header=BB2_2573 Depth=1
	s_or_b32 exec_lo, exec_lo, s27
	s_and_saveexec_b32 s27, s28
	s_delay_alu instid0(SALU_CYCLE_1)
	s_xor_b32 s27, exec_lo, s27
	s_cbranch_execz .LBB2_2612
; %bb.2611:                             ;   in Loop: Header=BB2_2573 Depth=1
	ds_store_b32 v0, v98
	s_trap 2
.LBB2_2612:                             ;   in Loop: Header=BB2_2573 Depth=1
	s_or_b32 exec_lo, exec_lo, s26
	;;#ASMSTART
	s_wakeup
	;;#ASMEND
.LBB2_2613:                             ;   in Loop: Header=BB2_2573 Depth=1
	s_or_b32 exec_lo, exec_lo, s11
.LBB2_2614:                             ;   in Loop: Header=BB2_2573 Depth=1
	s_and_not1_saveexec_b32 s10, s10
	s_cbranch_execz .LBB2_2616
; %bb.2615:                             ;   in Loop: Header=BB2_2573 Depth=1
	global_wb scope:SCOPE_DEV
	s_wait_storecnt 0x0
	s_wait_loadcnt_dscnt 0x0
	global_inv scope:SCOPE_DEV
	s_barrier_signal -1
	s_barrier_wait -1
.LBB2_2616:                             ;   in Loop: Header=BB2_2573 Depth=1
	s_or_b32 exec_lo, exec_lo, s10
.LBB2_2617:                             ;   in Loop: Header=BB2_2573 Depth=1
	s_delay_alu instid0(SALU_CYCLE_1) | instskip(SKIP_3) | instid1(VALU_DEP_1)
	s_or_b32 exec_lo, exec_lo, s7
	s_trap 2
	ds_load_b32 v10, v0
	v_and_b32_e32 v11, 0x4000, v102
	v_cmp_ne_u32_e32 vcc_lo, 0, v11
	s_and_b32 s10, s23, vcc_lo
	s_delay_alu instid0(SALU_CYCLE_1)
	s_and_saveexec_b32 s7, s10
	s_cbranch_execz .LBB2_2636
; %bb.2618:                             ;   in Loop: Header=BB2_2573 Depth=1
	s_and_saveexec_b32 s10, s3
	s_delay_alu instid0(SALU_CYCLE_1)
	s_xor_b32 s10, exec_lo, s10
	s_cbranch_execz .LBB2_2633
; %bb.2619:                             ;   in Loop: Header=BB2_2573 Depth=1
	s_and_saveexec_b32 s11, s4
	s_cbranch_execz .LBB2_2632
; %bb.2620:                             ;   in Loop: Header=BB2_2573 Depth=1
	s_mov_b32 s27, exec_lo
	s_mov_b32 s26, exec_lo
	v_mbcnt_lo_u32_b32 v11, s27, 0
	global_wb scope:SCOPE_DEV
	s_wait_storecnt 0x0
	s_wait_loadcnt_dscnt 0x0
	global_inv scope:SCOPE_DEV
	v_cmpx_eq_u32_e32 0, v11
	s_cbranch_execz .LBB2_2622
; %bb.2621:                             ;   in Loop: Header=BB2_2573 Depth=1
	s_bcnt1_i32_b32 s27, s27
	s_delay_alu instid0(SALU_CYCLE_1)
	v_mov_b32_e32 v32, s27
	s_wait_loadcnt 0x0
	ds_add_u64 v0, v[32:33]
	s_trap 2
.LBB2_2622:                             ;   in Loop: Header=BB2_2573 Depth=1
	s_or_b32 exec_lo, exec_lo, s26
	s_trap 2
	ds_load_b64 v[12:13], v0
	s_wait_dscnt 0x0
	v_add_nc_u64_e32 v[24:25], v[24:25], v[34:35]
	s_mov_b32 s26, exec_lo
	s_delay_alu instid0(VALU_DEP_1)
	v_cmpx_lt_u64_e64 v[12:13], v[24:25]
	s_cbranch_execz .LBB2_2631
; %bb.2623:                             ;   in Loop: Header=BB2_2573 Depth=1
	s_mov_b32 s27, 0
	s_mov_b32 s40, 0
                                        ; implicit-def: $sgpr28
                                        ; implicit-def: $sgpr29
	s_branch .LBB2_2625
.LBB2_2624:                             ;   in Loop: Header=BB2_2625 Depth=2
	s_or_b32 exec_lo, exec_lo, s42
	s_delay_alu instid0(SALU_CYCLE_1) | instskip(NEXT) | instid1(SALU_CYCLE_1)
	s_and_b32 s41, exec_lo, s43
	s_or_b32 s27, s41, s27
	s_and_not1_b32 s28, s28, exec_lo
	s_and_b32 s41, s29, exec_lo
	s_delay_alu instid0(SALU_CYCLE_1)
	s_or_b32 s28, s28, s41
	s_and_not1_b32 exec_lo, exec_lo, s27
	s_cbranch_execz .LBB2_2629
.LBB2_2625:                             ;   Parent Loop BB2_2573 Depth=1
                                        ; =>  This Inner Loop Header: Depth=2
	s_add_co_i32 s40, s40, 1
	s_delay_alu instid0(SALU_CYCLE_1) | instskip(SKIP_1) | instid1(SALU_CYCLE_1)
	s_cmp_lg_u32 s40, 0x2710
	s_cselect_b32 s41, -1, 0
	s_and_b32 vcc_lo, exec_lo, s41
	s_cbranch_vccz .LBB2_2627
; %bb.2626:                             ;   in Loop: Header=BB2_2625 Depth=2
	s_mov_b32 s43, -1
	s_or_b32 s29, s29, exec_lo
	s_and_saveexec_b32 s42, s41
	s_cbranch_execz .LBB2_2624
	s_branch .LBB2_2628
.LBB2_2627:                             ;   in Loop: Header=BB2_2625 Depth=2
	s_trap 2
	ds_load_b64 v[12:13], v0
	s_and_not1_b32 s41, s41, exec_lo
	s_mov_b32 s40, 0
	s_wait_loadcnt_dscnt 0x0
	flat_load_b32 v11, v[12:13] scope:SCOPE_SYS
	s_wait_loadcnt_dscnt 0x0
	global_inv scope:SCOPE_SYS
	v_cmp_eq_u32_e32 vcc_lo, 0, v11
	s_and_b32 s42, vcc_lo, exec_lo
	s_delay_alu instid0(SALU_CYCLE_1)
	s_or_b32 s41, s41, s42
	s_mov_b32 s43, -1
	s_or_b32 s29, s29, exec_lo
	s_and_saveexec_b32 s42, s41
	s_cbranch_execz .LBB2_2624
.LBB2_2628:                             ;   in Loop: Header=BB2_2625 Depth=2
	s_sleep 1
	s_trap 2
	ds_load_b64 v[12:13], v0
	s_wait_dscnt 0x0
	s_and_not1_b32 s29, s29, exec_lo
	v_cmp_ge_u64_e32 vcc_lo, v[12:13], v[24:25]
	s_or_not1_b32 s43, vcc_lo, exec_lo
	s_branch .LBB2_2624
.LBB2_2629:                             ;   in Loop: Header=BB2_2573 Depth=1
	s_or_b32 exec_lo, exec_lo, s27
	s_and_saveexec_b32 s27, s28
	s_delay_alu instid0(SALU_CYCLE_1)
	s_xor_b32 s27, exec_lo, s27
	s_cbranch_execz .LBB2_2631
; %bb.2630:                             ;   in Loop: Header=BB2_2573 Depth=1
	ds_store_b32 v0, v98
	s_trap 2
.LBB2_2631:                             ;   in Loop: Header=BB2_2573 Depth=1
	s_or_b32 exec_lo, exec_lo, s26
	;;#ASMSTART
	s_wakeup
	;;#ASMEND
.LBB2_2632:                             ;   in Loop: Header=BB2_2573 Depth=1
	s_or_b32 exec_lo, exec_lo, s11
.LBB2_2633:                             ;   in Loop: Header=BB2_2573 Depth=1
	s_and_not1_saveexec_b32 s10, s10
	s_cbranch_execz .LBB2_2635
; %bb.2634:                             ;   in Loop: Header=BB2_2573 Depth=1
	global_wb scope:SCOPE_DEV
	s_wait_storecnt 0x0
	s_wait_loadcnt_dscnt 0x0
	global_inv scope:SCOPE_DEV
	s_barrier_signal -1
	s_barrier_wait -1
.LBB2_2635:                             ;   in Loop: Header=BB2_2573 Depth=1
	s_or_b32 exec_lo, exec_lo, s10
.LBB2_2636:                             ;   in Loop: Header=BB2_2573 Depth=1
	s_delay_alu instid0(SALU_CYCLE_1)
	s_or_b32 exec_lo, exec_lo, s7
	s_trap 2
	ds_load_b64 v[64:65], v0
	v_min_u32_e32 v55, v55, v54
	s_wait_dscnt 0x0
	v_cmp_eq_u64_e32 vcc_lo, 0, v[64:65]
	s_cbranch_vccnz .LBB2_2644
; %bb.2637:                             ;   in Loop: Header=BB2_2573 Depth=1
	s_trap 2
	ds_load_b64 v[66:67], v0
	s_wait_dscnt 0x0
	v_cmp_eq_u64_e32 vcc_lo, 0, v[66:67]
	s_cbranch_vccnz .LBB2_2644
; %bb.2638:                             ;   in Loop: Header=BB2_2573 Depth=1
	s_mov_b32 s7, -1
	s_and_saveexec_b32 s10, s5
	s_cbranch_execz .LBB2_2640
; %bb.2639:                             ;   in Loop: Header=BB2_2573 Depth=1
	ds_load_b32 v11, v0 offset:720
	s_wait_dscnt 0x0
	v_and_b32_e32 v11, 15, v11
	s_delay_alu instid0(VALU_DEP_1)
	v_cmp_eq_u32_e32 vcc_lo, 0, v11
	s_or_not1_b32 s7, vcc_lo, exec_lo
.LBB2_2640:                             ;   in Loop: Header=BB2_2573 Depth=1
	s_or_b32 exec_lo, exec_lo, s10
	s_and_saveexec_b32 s10, s6
	s_cbranch_execz .LBB2_2642
; %bb.2641:                             ;   in Loop: Header=BB2_2573 Depth=1
	ds_load_b32 v11, v0 offset:784
	s_wait_dscnt 0x0
	v_and_b32_e32 v11, 15, v11
	s_delay_alu instid0(VALU_DEP_1) | instskip(SKIP_3) | instid1(SALU_CYCLE_1)
	v_cmp_eq_u32_e32 vcc_lo, 0, v11
	s_and_b32 s11, s7, vcc_lo
	s_and_not1_b32 s7, s7, exec_lo
	s_and_b32 s11, s11, exec_lo
	s_or_b32 s7, s7, s11
.LBB2_2642:                             ;   in Loop: Header=BB2_2573 Depth=1
	s_or_b32 exec_lo, exec_lo, s10
	v_cmp_eq_u32_e32 vcc_lo, 0, v10
	s_xor_b32 s7, s7, -1
	s_mov_b32 s10, -1
	v_cndmask_b32_e64 v11, 0, 1, s7
	v_dual_mov_b32 v101, 0 :: v_dual_cndmask_b32 v100, 0, v55
	v_mov_b32_e32 v30, v0
	s_delay_alu instid0(VALU_DEP_3) | instskip(NEXT) | instid1(VALU_DEP_3)
	v_cmp_ne_u32_e32 vcc_lo, 0, v11
	v_mov_b32_e32 v112, v100
	s_cbranch_vccz .LBB2_2645
; %bb.2643:                             ;   in Loop: Header=BB2_2573 Depth=1
	s_and_saveexec_b32 s26, s10
	s_cbranch_execnz .LBB2_4416
	s_branch .LBB2_5008
.LBB2_2644:                             ;   in Loop: Header=BB2_2573 Depth=1
	s_mov_b32 s7, 0
	s_and_saveexec_b32 s10, s2
	s_cbranch_execnz .LBB2_5009
	s_branch .LBB2_5027
.LBB2_2645:                             ;   in Loop: Header=BB2_2573 Depth=1
	v_lshrrev_b32_e32 v10, 9, v100
	v_and_b32_e32 v101, 0x1ff, v100
	s_mov_b32 s26, exec_lo
	s_delay_alu instid0(VALU_DEP_2) | instskip(NEXT) | instid1(VALU_DEP_2)
	v_dual_sub_nc_u32 v112, v100, v36 :: v_dual_sub_nc_u32 v10, v10, v97
	v_cmp_lt_u32_e64 s7, 15, v101
	s_delay_alu instid0(VALU_DEP_1) | instskip(NEXT) | instid1(VALU_DEP_3)
	v_add_co_ci_u32_e64 v113, null, 0, v10, s7
	v_cmpx_lt_i32_e32 15, v112
	s_cbranch_execz .LBB2_3529
; %bb.2646:                             ;   in Loop: Header=BB2_2573 Depth=1
	s_trap 2
	ds_load_b64 v[10:11], v0
	v_add_nc_u64_e32 v[68:69], v[64:65], v[36:37]
	v_add_nc_u64_e32 v[70:71], v[66:67], v[36:37]
	s_wait_dscnt 0x0
	v_readfirstlane_b32 s10, v10
	v_readfirstlane_b32 s11, v11
	v_add_nc_u64_e32 v[80:81], v[10:11], v[36:37]
	s_and_b32 s27, s10, 7
	s_and_b32 s40, s10, 0x7f
	s_clz_i32_u32 s27, s27
	s_bfe_u32 s28, s10, 0x40003
	s_min_u32 s27, s27, 32
	s_delay_alu instid0(SALU_CYCLE_1)
	s_sub_co_i32 s29, s27, 28
	s_sub_co_i32 s27, 29, s27
	s_cmp_lt_u32 s40, 8
	s_cselect_b32 s27, s27, s28
	s_cselect_b32 s28, s29, 0
	s_lshl_b32 s41, s10, 24
	s_lshl_b64 s[28:29], s[10:11], s28
	s_and_b32 s11, s41, 0x80000000
	s_lshl_b32 s28, s28, 20
	s_lshl_b32 s27, s27, 23
	s_and_b32 s28, s28, 0x700000
	s_add_co_i32 s27, s27, 0x3c000000
	s_or_b32 s11, s28, s11
	s_mov_b32 s28, 0
	s_or_b32 s11, s27, s11
	s_cmp_lg_u32 s40, 0x7f
	s_cselect_b32 s27, s11, 0x7f800001
	s_and_b32 s29, s10, 0xff
	s_delay_alu instid0(SALU_CYCLE_1)
	s_and_b32 s40, 0xffff, s29
	s_branch .LBB2_2648
.LBB2_2647:                             ;   in Loop: Header=BB2_2648 Depth=2
	s_or_b32 exec_lo, exec_lo, s10
	v_lshl_or_b32 v11, v87, 8, v86
	v_dual_lshlrev_b32 v12, 16, v46 :: v_dual_lshlrev_b32 v32, 16, v119
	v_dual_lshlrev_b32 v13, 24, v30 :: v_dual_lshlrev_b32 v87, 16, v44
	v_lshl_or_b32 v30, v116, 8, v114
	v_dual_lshlrev_b32 v83, 24, v42 :: v_dual_lshlrev_b32 v114, 24, v45
	v_lshl_or_b32 v86, v41, 8, v118
	v_lshlrev_b32_e32 v115, 24, v10
	v_lshlrev_b32_e32 v82, 16, v82
	v_lshl_or_b32 v84, v85, 8, v84
	v_or3_b32 v11, v11, v12, v13
	v_or3_b32 v10, v30, v32, v83
	;; [unrolled: 1-line block ×3, first 2 shown]
	v_sub_nc_u32_e32 v112, v112, v38
	v_or3_b32 v13, v84, v82, v115
	v_add_nc_u64_e32 v[68:69], v[68:69], v[38:39]
	v_add_nc_u64_e32 v[80:81], v[80:81], v[38:39]
	v_sub_nc_u32_e32 v113, v113, v34
	v_cmp_gt_i32_e32 vcc_lo, 16, v112
	global_store_b128 v[70:71], v[10:13], off th:TH_STORE_NT
	s_wait_xcnt 0x0
	v_add_nc_u64_e32 v[70:71], v[70:71], v[38:39]
	s_or_b32 s28, vcc_lo, s28
	s_delay_alu instid0(SALU_CYCLE_1)
	s_and_not1_b32 exec_lo, exec_lo, s28
	s_cbranch_execz .LBB2_3528
.LBB2_2648:                             ;   Parent Loop BB2_2573 Depth=1
                                        ; =>  This Inner Loop Header: Depth=2
	s_cmp_lt_i32 s29, 0x80
	s_cbranch_scc1 .LBB2_2652
; %bb.2649:                             ;   in Loop: Header=BB2_2648 Depth=2
	s_cmp_eq_u32 s40, 0x80
	s_mov_b32 s10, -1
	s_cbranch_scc0 .LBB2_2651
; %bb.2650:                             ;   in Loop: Header=BB2_2648 Depth=2
	s_mov_b32 s10, 0
.LBB2_2651:                             ;   in Loop: Header=BB2_2648 Depth=2
	s_brev_b32 s11, 1
	s_branch .LBB2_2654
.LBB2_2652:                             ;   in Loop: Header=BB2_2648 Depth=2
	s_mov_b32 s10, 0
	s_brev_b32 s11, 1
	s_cbranch_execz .LBB2_2654
; %bb.2653:                             ;   in Loop: Header=BB2_2648 Depth=2
	s_cmp_lg_u32 s40, 0
	s_mov_b32 s11, 0
	s_cselect_b32 s10, -1, 0
.LBB2_2654:                             ;   in Loop: Header=BB2_2648 Depth=2
	s_delay_alu instid0(SALU_CYCLE_1)
	s_and_not1_b32 vcc_lo, exec_lo, s10
	s_cbranch_vccnz .LBB2_2656
; %bb.2655:                             ;   in Loop: Header=BB2_2648 Depth=2
	s_mov_b32 s11, s27
.LBB2_2656:                             ;   in Loop: Header=BB2_2648 Depth=2
	global_load_b128 v[10:13], v[68:69], off th:TH_LOAD_NT
	v_mov_b32_e32 v30, 0
	s_mov_b32 s10, exec_lo
	s_wait_loadcnt 0x0
	v_and_b32_e32 v32, 0xff, v10
	s_wait_xcnt 0x0
	s_delay_alu instid0(VALU_DEP_1)
	v_cmpx_ne_u16_e32 0, v32
	s_cbranch_execz .LBB2_2662
; %bb.2657:                             ;   in Loop: Header=BB2_2648 Depth=2
	v_bfrev_b32_e32 v30, 1
	s_mov_b32 s41, exec_lo
	v_cmpx_ne_u16_e32 0x80, v32
	s_cbranch_execz .LBB2_2661
; %bb.2658:                             ;   in Loop: Header=BB2_2648 Depth=2
	v_and_b32_e32 v32, 0x7f, v10
	v_mov_b32_e32 v30, 0x7f800001
	s_mov_b32 s42, exec_lo
	s_delay_alu instid0(VALU_DEP_2)
	v_cmpx_ne_u32_e32 0x7f, v32
	s_cbranch_execz .LBB2_2660
; %bb.2659:                             ;   in Loop: Header=BB2_2648 Depth=2
	v_dual_lshrrev_b32 v82, 3, v32 :: v_dual_bitop2_b32 v30, 7, v10 bitop3:0x40
	v_cmp_gt_u32_e32 vcc_lo, 8, v32
	s_delay_alu instid0(VALU_DEP_2) | instskip(NEXT) | instid1(VALU_DEP_1)
	v_clz_i32_u32_e32 v30, v30
	v_min_u32_e32 v30, 32, v30
	s_delay_alu instid0(VALU_DEP_1) | instskip(NEXT) | instid1(VALU_DEP_1)
	v_subrev_nc_u32_e32 v83, 28, v30
	v_dual_sub_nc_u32 v30, 29, v30 :: v_dual_cndmask_b32 v32, 0, v83, vcc_lo
	s_delay_alu instid0(VALU_DEP_1) | instskip(NEXT) | instid1(VALU_DEP_2)
	v_cndmask_b32_e32 v30, v82, v30, vcc_lo
	v_lshlrev_b64_e32 v[82:83], v32, v[10:11]
	v_lshlrev_b32_e32 v32, 24, v10
	s_delay_alu instid0(VALU_DEP_3) | instskip(NEXT) | instid1(VALU_DEP_2)
	v_lshl_add_u32 v30, v30, 23, 0x3c000000
	v_and_b32_e32 v32, 0x80000000, v32
	s_delay_alu instid0(VALU_DEP_4) | instskip(NEXT) | instid1(VALU_DEP_1)
	v_lshlrev_b32_e32 v82, 20, v82
	v_and_b32_e32 v82, 0x700000, v82
	s_delay_alu instid0(VALU_DEP_1)
	v_or3_b32 v30, v82, v32, v30
.LBB2_2660:                             ;   in Loop: Header=BB2_2648 Depth=2
	s_or_b32 exec_lo, exec_lo, s42
.LBB2_2661:                             ;   in Loop: Header=BB2_2648 Depth=2
	s_delay_alu instid0(SALU_CYCLE_1)
	s_or_b32 exec_lo, exec_lo, s41
.LBB2_2662:                             ;   in Loop: Header=BB2_2648 Depth=2
	s_delay_alu instid0(SALU_CYCLE_1) | instskip(NEXT) | instid1(VALU_DEP_1)
	s_or_b32 exec_lo, exec_lo, s10
	v_mul_f32_e32 v82, s11, v30
                                        ; implicit-def: $vgpr30
	s_mov_b32 s10, exec_lo
	s_delay_alu instid0(VALU_DEP_1) | instskip(SKIP_1) | instid1(VALU_DEP_2)
	v_and_b32_e32 v32, 0x7f800000, v82
	v_lshrrev_b32_e32 v83, 24, v82
	v_cmpx_ne_u64_e32 0x7f800000, v[32:33]
	s_xor_b32 s41, exec_lo, s10
	s_cbranch_execz .LBB2_2676
; %bb.2663:                             ;   in Loop: Header=BB2_2648 Depth=2
	v_and_b32_e32 v32, 0x7fffffff, v82
	v_and_b32_e32 v86, 0x80, v83
                                        ; implicit-def: $vgpr30
	s_mov_b32 s10, exec_lo
	s_delay_alu instid0(VALU_DEP_2)
	v_cmpx_gt_u64_e32 0x43e00001, v[32:33]
	s_xor_b32 s42, exec_lo, s10
	s_cbranch_execz .LBB2_2673
; %bb.2664:                             ;   in Loop: Header=BB2_2648 Depth=2
	v_mov_b32_e32 v30, 0
	s_mov_b32 s43, exec_lo
	v_cmpx_ne_u32_e32 0, v82
	s_cbranch_execz .LBB2_2672
; %bb.2665:                             ;   in Loop: Header=BB2_2648 Depth=2
	v_bfe_u32 v30, v82, 23, 8
	s_delay_alu instid0(VALU_DEP_1) | instskip(SKIP_1) | instid1(VALU_DEP_2)
	v_sub_nc_u32_e32 v32, 0x79, v30
	v_cmp_gt_u32_e32 vcc_lo, 0x7a, v30
	v_cndmask_b32_e32 v32, 0, v32, vcc_lo
	v_cmp_eq_u32_e32 vcc_lo, 0, v30
	s_delay_alu instid0(VALU_DEP_2) | instskip(SKIP_1) | instid1(VALU_DEP_2)
	v_cndmask_b32_e64 v87, v32, 0x78, vcc_lo
	v_and_b32_e32 v32, 0x7fffff, v82
	v_add_nc_u32_e32 v82, 20, v87
	s_delay_alu instid0(VALU_DEP_2) | instskip(SKIP_1) | instid1(VALU_DEP_3)
	v_or_b32_e32 v84, 0x800000, v32
	v_add_nc_u32_e32 v85, 19, v87
	v_lshlrev_b64_e64 v[82:83], v82, -1
	s_delay_alu instid0(VALU_DEP_3) | instskip(NEXT) | instid1(VALU_DEP_3)
	v_cndmask_b32_e32 v32, v84, v32, vcc_lo
	v_lshlrev_b64_e64 v[84:85], v85, 1
	s_delay_alu instid0(VALU_DEP_3) | instskip(NEXT) | instid1(VALU_DEP_3)
	v_bfi_b32 v115, v83, 0, 0
	v_bfi_b32 v114, v82, 0, v32
	v_lshrrev_b64 v[82:83], v87, v[32:33]
	s_delay_alu instid0(VALU_DEP_2) | instskip(NEXT) | instid1(VALU_DEP_2)
	v_cmp_eq_u64_e64 s10, v[114:115], v[84:85]
	v_mov_b64_e32 v[84:85], v[82:83]
	s_and_saveexec_b32 s44, s10
; %bb.2666:                             ;   in Loop: Header=BB2_2648 Depth=2
	v_bfe_u32 v32, v82, 20, 1
	s_delay_alu instid0(VALU_DEP_1) | instskip(NEXT) | instid1(VALU_DEP_1)
	v_add_nc_u64_e32 v[84:85], v[82:83], v[32:33]
	v_add_nc_u64_e32 v[84:85], -1, v[84:85]
; %bb.2667:                             ;   in Loop: Header=BB2_2648 Depth=2
	s_or_b32 exec_lo, exec_lo, s44
	v_add_nc_u32_e32 v30, 0xffffff81, v30
	v_lshrrev_b32_e32 v32, 23, v82
	s_mov_b32 s10, exec_lo
	s_delay_alu instid0(VALU_DEP_2) | instskip(NEXT) | instid1(VALU_DEP_1)
	v_cndmask_b32_e64 v30, v30, 0xffffff82, vcc_lo
	v_add3_u32 v85, v87, v30, v32
	v_and_b32_e32 v30, 0xfffff, v84
	s_delay_alu instid0(VALU_DEP_1) | instskip(NEXT) | instid1(VALU_DEP_1)
	v_dual_add_nc_u32 v84, 6, v85 :: v_dual_add_nc_u32 v32, v30, v82
                                        ; implicit-def: $vgpr82_vgpr83
                                        ; implicit-def: $vgpr30
	v_cmpx_ne_u32_e32 0, v84
	s_xor_b32 s10, exec_lo, s10
; %bb.2668:                             ;   in Loop: Header=BB2_2648 Depth=2
	s_delay_alu instid0(VALU_DEP_2) | instskip(SKIP_2) | instid1(VALU_DEP_2)
	v_cmp_lt_u64_e32 vcc_lo, 0xffffff, v[32:33]
	v_add_nc_u32_e32 v30, 7, v85
	v_cndmask_b32_e64 v82, 0, 1, vcc_lo
	v_cndmask_b32_e32 v30, v84, v30, vcc_lo
	s_delay_alu instid0(VALU_DEP_2)
	v_lshrrev_b64 v[82:83], v82, v[32:33]
; %bb.2669:                             ;   in Loop: Header=BB2_2648 Depth=2
	s_and_not1_saveexec_b32 s10, s10
; %bb.2670:                             ;   in Loop: Header=BB2_2648 Depth=2
	v_mov_b64_e32 v[82:83], v[32:33]
	v_bfe_u32 v30, v32, 23, 1
; %bb.2671:                             ;   in Loop: Header=BB2_2648 Depth=2
	s_or_b32 exec_lo, exec_lo, s10
	s_delay_alu instid0(VALU_DEP_2) | instskip(NEXT) | instid1(VALU_DEP_2)
	v_lshrrev_b64 v[82:83], 20, v[82:83]
	v_cmp_gt_i32_e32 vcc_lo, 16, v30
	v_min_i32_e32 v32, 15, v30
	v_cmp_eq_u32_e64 s10, 0, v30
	s_delay_alu instid0(VALU_DEP_2) | instskip(SKIP_1) | instid1(VALU_DEP_2)
	v_dual_cndmask_b32 v83, 0, v83 :: v_dual_lshlrev_b32 v32, 3, v32
	v_cndmask_b32_e32 v82, 7, v82, vcc_lo
	v_and_b32_e32 v32, 0xf8, v32
	s_delay_alu instid0(VALU_DEP_2) | instskip(NEXT) | instid1(VALU_DEP_2)
	v_cmp_eq_u64_e32 vcc_lo, 0, v[82:83]
	v_and_or_b32 v30, v82, 7, v32
	s_and_b32 s10, s10, vcc_lo
	s_delay_alu instid0(VALU_DEP_1) | instid1(SALU_CYCLE_1)
	v_cndmask_b32_e64 v30, v30, 0, s10
	s_delay_alu instid0(VALU_DEP_1)
	v_or_b32_e32 v30, v30, v86
.LBB2_2672:                             ;   in Loop: Header=BB2_2648 Depth=2
	s_or_b32 exec_lo, exec_lo, s43
                                        ; implicit-def: $vgpr86
.LBB2_2673:                             ;   in Loop: Header=BB2_2648 Depth=2
	s_and_not1_saveexec_b32 s10, s42
; %bb.2674:                             ;   in Loop: Header=BB2_2648 Depth=2
	v_or_b32_e32 v30, 0x7e, v86
; %bb.2675:                             ;   in Loop: Header=BB2_2648 Depth=2
	s_or_b32 exec_lo, exec_lo, s10
                                        ; implicit-def: $vgpr83
.LBB2_2676:                             ;   in Loop: Header=BB2_2648 Depth=2
	s_and_not1_saveexec_b32 s10, s41
; %bb.2677:                             ;   in Loop: Header=BB2_2648 Depth=2
	v_or_b32_e32 v30, 0x7f, v83
; %bb.2678:                             ;   in Loop: Header=BB2_2648 Depth=2
	s_or_b32 exec_lo, exec_lo, s10
	v_lshrrev_b16 v82, 8, v10
	v_mov_b32_e32 v32, 0
	s_mov_b32 s10, exec_lo
	s_delay_alu instid0(VALU_DEP_2)
	v_cmpx_ne_u16_e32 0, v82
	s_cbranch_execz .LBB2_2686
; %bb.2679:                             ;   in Loop: Header=BB2_2648 Depth=2
	v_bfrev_b32_e32 v32, 1
	s_mov_b32 s41, exec_lo
	v_cmpx_ne_u16_e32 0x80, v82
	s_cbranch_execz .LBB2_2685
; %bb.2680:                             ;   in Loop: Header=BB2_2648 Depth=2
	v_and_b32_e32 v82, 0xffff, v82
	v_mov_b32_e32 v32, 0x7f800001
	s_mov_b32 s42, exec_lo
	s_delay_alu instid0(VALU_DEP_2) | instskip(NEXT) | instid1(VALU_DEP_1)
	v_and_b32_e32 v83, 0x7f, v82
	v_cmpx_ne_u32_e32 0x7f, v83
	s_cbranch_execz .LBB2_2684
; %bb.2681:                             ;   in Loop: Header=BB2_2648 Depth=2
	v_dual_lshrrev_b32 v82, 3, v83 :: v_dual_bitop2_b32 v32, 7, v82 bitop3:0x40
	s_mov_b32 s43, exec_lo
	v_cmpx_gt_u32_e32 8, v83
; %bb.2682:                             ;   in Loop: Header=BB2_2648 Depth=2
	s_delay_alu instid0(VALU_DEP_2) | instskip(NEXT) | instid1(VALU_DEP_1)
	v_clz_i32_u32_e32 v82, v32
	v_min_u32_e32 v82, 32, v82
	s_delay_alu instid0(VALU_DEP_1) | instskip(NEXT) | instid1(VALU_DEP_1)
	v_subrev_nc_u32_e32 v83, 28, v82
	v_lshlrev_b64_e32 v[84:85], v83, v[32:33]
	s_delay_alu instid0(VALU_DEP_1)
	v_dual_sub_nc_u32 v82, 29, v82 :: v_dual_bitop2_b32 v32, 7, v84 bitop3:0x40
; %bb.2683:                             ;   in Loop: Header=BB2_2648 Depth=2
	s_or_b32 exec_lo, exec_lo, s43
	s_delay_alu instid0(VALU_DEP_1) | instskip(NEXT) | instid1(VALU_DEP_2)
	v_dual_lshlrev_b32 v83, 16, v10 :: v_dual_lshlrev_b32 v32, 20, v32
	v_lshl_add_u32 v82, v82, 23, 0x3c000000
	s_delay_alu instid0(VALU_DEP_2) | instskip(NEXT) | instid1(VALU_DEP_1)
	v_and_b32_e32 v83, 0x80000000, v83
	v_or3_b32 v32, v32, v83, v82
.LBB2_2684:                             ;   in Loop: Header=BB2_2648 Depth=2
	s_or_b32 exec_lo, exec_lo, s42
.LBB2_2685:                             ;   in Loop: Header=BB2_2648 Depth=2
	s_delay_alu instid0(SALU_CYCLE_1)
	s_or_b32 exec_lo, exec_lo, s41
.LBB2_2686:                             ;   in Loop: Header=BB2_2648 Depth=2
	s_delay_alu instid0(SALU_CYCLE_1) | instskip(NEXT) | instid1(VALU_DEP_1)
	s_or_b32 exec_lo, exec_lo, s10
	v_mul_f32_e32 v82, s11, v32
                                        ; implicit-def: $vgpr114
	s_mov_b32 s10, exec_lo
	s_delay_alu instid0(VALU_DEP_1) | instskip(SKIP_1) | instid1(VALU_DEP_2)
	v_and_b32_e32 v32, 0x7f800000, v82
	v_lshrrev_b32_e32 v83, 24, v82
	v_cmpx_ne_u64_e32 0x7f800000, v[32:33]
	s_xor_b32 s41, exec_lo, s10
	s_cbranch_execz .LBB2_2700
; %bb.2687:                             ;   in Loop: Header=BB2_2648 Depth=2
	v_and_b32_e32 v32, 0x7fffffff, v82
	v_and_b32_e32 v86, 0x80, v83
                                        ; implicit-def: $vgpr114
	s_mov_b32 s10, exec_lo
	s_delay_alu instid0(VALU_DEP_2)
	v_cmpx_gt_u64_e32 0x43e00001, v[32:33]
	s_xor_b32 s42, exec_lo, s10
	s_cbranch_execz .LBB2_2697
; %bb.2688:                             ;   in Loop: Header=BB2_2648 Depth=2
	v_mov_b32_e32 v114, 0
	s_mov_b32 s43, exec_lo
	v_cmpx_ne_u32_e32 0, v82
	s_cbranch_execz .LBB2_2696
; %bb.2689:                             ;   in Loop: Header=BB2_2648 Depth=2
	v_bfe_u32 v87, v82, 23, 8
	s_delay_alu instid0(VALU_DEP_1) | instskip(SKIP_1) | instid1(VALU_DEP_2)
	v_sub_nc_u32_e32 v32, 0x79, v87
	v_cmp_gt_u32_e32 vcc_lo, 0x7a, v87
	v_cndmask_b32_e32 v32, 0, v32, vcc_lo
	v_cmp_eq_u32_e32 vcc_lo, 0, v87
	s_delay_alu instid0(VALU_DEP_2) | instskip(SKIP_1) | instid1(VALU_DEP_2)
	v_cndmask_b32_e64 v114, v32, 0x78, vcc_lo
	v_and_b32_e32 v32, 0x7fffff, v82
	v_add_nc_u32_e32 v82, 20, v114
	s_delay_alu instid0(VALU_DEP_2) | instskip(SKIP_1) | instid1(VALU_DEP_3)
	v_or_b32_e32 v84, 0x800000, v32
	v_add_nc_u32_e32 v85, 19, v114
	v_lshlrev_b64_e64 v[82:83], v82, -1
	s_delay_alu instid0(VALU_DEP_3) | instskip(NEXT) | instid1(VALU_DEP_3)
	v_cndmask_b32_e32 v32, v84, v32, vcc_lo
	v_lshlrev_b64_e64 v[84:85], v85, 1
	s_delay_alu instid0(VALU_DEP_3) | instskip(NEXT) | instid1(VALU_DEP_3)
	v_bfi_b32 v117, v83, 0, 0
	v_bfi_b32 v116, v82, 0, v32
	v_lshrrev_b64 v[82:83], v114, v[32:33]
	s_delay_alu instid0(VALU_DEP_2) | instskip(NEXT) | instid1(VALU_DEP_2)
	v_cmp_eq_u64_e64 s10, v[116:117], v[84:85]
	v_mov_b64_e32 v[84:85], v[82:83]
	s_and_saveexec_b32 s44, s10
; %bb.2690:                             ;   in Loop: Header=BB2_2648 Depth=2
	v_bfe_u32 v32, v82, 20, 1
	s_delay_alu instid0(VALU_DEP_1) | instskip(NEXT) | instid1(VALU_DEP_1)
	v_add_nc_u64_e32 v[84:85], v[82:83], v[32:33]
	v_add_nc_u64_e32 v[84:85], -1, v[84:85]
; %bb.2691:                             ;   in Loop: Header=BB2_2648 Depth=2
	s_or_b32 exec_lo, exec_lo, s44
	v_add_nc_u32_e32 v32, 0xffffff81, v87
	v_lshrrev_b32_e32 v83, 23, v82
	s_mov_b32 s10, exec_lo
	s_delay_alu instid0(VALU_DEP_2) | instskip(NEXT) | instid1(VALU_DEP_1)
	v_cndmask_b32_e64 v32, v32, 0xffffff82, vcc_lo
	v_add3_u32 v85, v114, v32, v83
	v_and_b32_e32 v32, 0xfffff, v84
                                        ; implicit-def: $vgpr84
	s_delay_alu instid0(VALU_DEP_1) | instskip(NEXT) | instid1(VALU_DEP_1)
	v_dual_add_nc_u32 v87, 6, v85 :: v_dual_add_nc_u32 v32, v32, v82
                                        ; implicit-def: $vgpr82_vgpr83
	v_cmpx_ne_u32_e32 0, v87
	s_xor_b32 s10, exec_lo, s10
; %bb.2692:                             ;   in Loop: Header=BB2_2648 Depth=2
	s_delay_alu instid0(VALU_DEP_2) | instskip(SKIP_1) | instid1(VALU_DEP_1)
	v_cmp_lt_u64_e32 vcc_lo, 0xffffff, v[32:33]
	v_add_nc_u32_e32 v82, 7, v85
	v_cndmask_b32_e32 v84, v87, v82, vcc_lo
	v_cndmask_b32_e64 v82, 0, 1, vcc_lo
	s_delay_alu instid0(VALU_DEP_1)
	v_lshrrev_b64 v[82:83], v82, v[32:33]
; %bb.2693:                             ;   in Loop: Header=BB2_2648 Depth=2
	s_and_not1_saveexec_b32 s10, s10
; %bb.2694:                             ;   in Loop: Header=BB2_2648 Depth=2
	v_mov_b64_e32 v[82:83], v[32:33]
	v_bfe_u32 v84, v32, 23, 1
; %bb.2695:                             ;   in Loop: Header=BB2_2648 Depth=2
	s_or_b32 exec_lo, exec_lo, s10
	s_delay_alu instid0(VALU_DEP_2) | instskip(NEXT) | instid1(VALU_DEP_2)
	v_lshrrev_b64 v[82:83], 20, v[82:83]
	v_cmp_gt_i32_e32 vcc_lo, 16, v84
	v_min_i32_e32 v32, 15, v84
	v_cmp_eq_u32_e64 s10, 0, v84
	s_delay_alu instid0(VALU_DEP_2) | instskip(SKIP_1) | instid1(VALU_DEP_2)
	v_dual_cndmask_b32 v83, 0, v83 :: v_dual_lshlrev_b32 v32, 3, v32
	v_cndmask_b32_e32 v82, 7, v82, vcc_lo
	v_and_b32_e32 v32, 0xf8, v32
	s_delay_alu instid0(VALU_DEP_2) | instskip(NEXT) | instid1(VALU_DEP_2)
	v_cmp_eq_u64_e32 vcc_lo, 0, v[82:83]
	v_and_or_b32 v32, v82, 7, v32
	s_and_b32 s10, s10, vcc_lo
	s_delay_alu instid0(VALU_DEP_1) | instid1(SALU_CYCLE_1)
	v_cndmask_b32_e64 v32, v32, 0, s10
	s_delay_alu instid0(VALU_DEP_1)
	v_or_b32_e32 v114, v32, v86
.LBB2_2696:                             ;   in Loop: Header=BB2_2648 Depth=2
	s_or_b32 exec_lo, exec_lo, s43
                                        ; implicit-def: $vgpr86
.LBB2_2697:                             ;   in Loop: Header=BB2_2648 Depth=2
	s_and_not1_saveexec_b32 s10, s42
; %bb.2698:                             ;   in Loop: Header=BB2_2648 Depth=2
	v_or_b32_e32 v114, 0x7e, v86
; %bb.2699:                             ;   in Loop: Header=BB2_2648 Depth=2
	s_or_b32 exec_lo, exec_lo, s10
                                        ; implicit-def: $vgpr83
.LBB2_2700:                             ;   in Loop: Header=BB2_2648 Depth=2
	s_and_not1_saveexec_b32 s10, s41
; %bb.2701:                             ;   in Loop: Header=BB2_2648 Depth=2
	v_or_b32_e32 v114, 0x7f, v83
; %bb.2702:                             ;   in Loop: Header=BB2_2648 Depth=2
	s_or_b32 exec_lo, exec_lo, s10
	v_dual_lshrrev_b32 v82, 16, v10 :: v_dual_mov_b32 v32, 0
	s_mov_b32 s10, exec_lo
	s_delay_alu instid0(VALU_DEP_1) | instskip(NEXT) | instid1(VALU_DEP_1)
	v_and_b32_e32 v83, 0xff, v82
	v_cmpx_ne_u16_e32 0, v83
	s_cbranch_execz .LBB2_2710
; %bb.2703:                             ;   in Loop: Header=BB2_2648 Depth=2
	v_bfrev_b32_e32 v32, 1
	s_mov_b32 s41, exec_lo
	v_cmpx_ne_u16_e32 0x80, v83
	s_cbranch_execz .LBB2_2709
; %bb.2704:                             ;   in Loop: Header=BB2_2648 Depth=2
	v_bfe_u32 v84, v10, 16, 7
	v_mov_b32_e32 v32, 0x7f800001
	s_mov_b32 s42, exec_lo
	s_delay_alu instid0(VALU_DEP_2)
	v_cmpx_ne_u32_e32 0x7f, v84
	s_cbranch_execz .LBB2_2708
; %bb.2705:                             ;   in Loop: Header=BB2_2648 Depth=2
	v_dual_lshrrev_b32 v83, 3, v84 :: v_dual_bitop2_b32 v32, 7, v82 bitop3:0x40
	s_mov_b32 s43, exec_lo
	v_cmpx_gt_u32_e32 8, v84
; %bb.2706:                             ;   in Loop: Header=BB2_2648 Depth=2
	s_delay_alu instid0(VALU_DEP_2) | instskip(NEXT) | instid1(VALU_DEP_1)
	v_clz_i32_u32_e32 v83, v32
	v_min_u32_e32 v83, 32, v83
	s_delay_alu instid0(VALU_DEP_1) | instskip(NEXT) | instid1(VALU_DEP_1)
	v_subrev_nc_u32_e32 v84, 28, v83
	v_lshlrev_b64_e32 v[84:85], v84, v[32:33]
	s_delay_alu instid0(VALU_DEP_1)
	v_dual_sub_nc_u32 v83, 29, v83 :: v_dual_bitop2_b32 v32, 7, v84 bitop3:0x40
; %bb.2707:                             ;   in Loop: Header=BB2_2648 Depth=2
	s_or_b32 exec_lo, exec_lo, s43
	s_delay_alu instid0(VALU_DEP_1) | instskip(NEXT) | instid1(VALU_DEP_2)
	v_dual_lshlrev_b32 v82, 24, v82 :: v_dual_lshlrev_b32 v32, 20, v32
	v_lshl_add_u32 v83, v83, 23, 0x3c000000
	s_delay_alu instid0(VALU_DEP_2) | instskip(NEXT) | instid1(VALU_DEP_1)
	v_and_b32_e32 v82, 0x80000000, v82
	v_or3_b32 v32, v32, v82, v83
.LBB2_2708:                             ;   in Loop: Header=BB2_2648 Depth=2
	s_or_b32 exec_lo, exec_lo, s42
.LBB2_2709:                             ;   in Loop: Header=BB2_2648 Depth=2
	s_delay_alu instid0(SALU_CYCLE_1)
	s_or_b32 exec_lo, exec_lo, s41
.LBB2_2710:                             ;   in Loop: Header=BB2_2648 Depth=2
	s_delay_alu instid0(SALU_CYCLE_1) | instskip(NEXT) | instid1(VALU_DEP_1)
	s_or_b32 exec_lo, exec_lo, s10
	v_mul_f32_e32 v82, s11, v32
                                        ; implicit-def: $vgpr116
	s_mov_b32 s10, exec_lo
	s_delay_alu instid0(VALU_DEP_1) | instskip(SKIP_1) | instid1(VALU_DEP_2)
	v_and_b32_e32 v32, 0x7f800000, v82
	v_lshrrev_b32_e32 v83, 24, v82
	v_cmpx_ne_u64_e32 0x7f800000, v[32:33]
	s_xor_b32 s41, exec_lo, s10
	s_cbranch_execz .LBB2_2724
; %bb.2711:                             ;   in Loop: Header=BB2_2648 Depth=2
	v_and_b32_e32 v32, 0x7fffffff, v82
	v_and_b32_e32 v86, 0x80, v83
                                        ; implicit-def: $vgpr116
	s_mov_b32 s10, exec_lo
	s_delay_alu instid0(VALU_DEP_2)
	v_cmpx_gt_u64_e32 0x43e00001, v[32:33]
	s_xor_b32 s42, exec_lo, s10
	s_cbranch_execz .LBB2_2721
; %bb.2712:                             ;   in Loop: Header=BB2_2648 Depth=2
	v_mov_b32_e32 v116, 0
	s_mov_b32 s43, exec_lo
	v_cmpx_ne_u32_e32 0, v82
	s_cbranch_execz .LBB2_2720
; %bb.2713:                             ;   in Loop: Header=BB2_2648 Depth=2
	v_bfe_u32 v87, v82, 23, 8
	s_delay_alu instid0(VALU_DEP_1) | instskip(SKIP_1) | instid1(VALU_DEP_2)
	v_sub_nc_u32_e32 v32, 0x79, v87
	v_cmp_gt_u32_e32 vcc_lo, 0x7a, v87
	v_cndmask_b32_e32 v32, 0, v32, vcc_lo
	v_cmp_eq_u32_e32 vcc_lo, 0, v87
	s_delay_alu instid0(VALU_DEP_2) | instskip(SKIP_1) | instid1(VALU_DEP_2)
	v_cndmask_b32_e64 v115, v32, 0x78, vcc_lo
	v_and_b32_e32 v32, 0x7fffff, v82
	v_add_nc_u32_e32 v82, 20, v115
	s_delay_alu instid0(VALU_DEP_2) | instskip(SKIP_1) | instid1(VALU_DEP_3)
	v_or_b32_e32 v84, 0x800000, v32
	v_add_nc_u32_e32 v85, 19, v115
	v_lshlrev_b64_e64 v[82:83], v82, -1
	s_delay_alu instid0(VALU_DEP_3) | instskip(NEXT) | instid1(VALU_DEP_3)
	v_cndmask_b32_e32 v32, v84, v32, vcc_lo
	v_lshlrev_b64_e64 v[84:85], v85, 1
	s_delay_alu instid0(VALU_DEP_3) | instskip(NEXT) | instid1(VALU_DEP_3)
	v_bfi_b32 v117, v83, 0, 0
	v_bfi_b32 v116, v82, 0, v32
	v_lshrrev_b64 v[82:83], v115, v[32:33]
	s_delay_alu instid0(VALU_DEP_2) | instskip(NEXT) | instid1(VALU_DEP_2)
	v_cmp_eq_u64_e64 s10, v[116:117], v[84:85]
	v_mov_b64_e32 v[84:85], v[82:83]
	s_and_saveexec_b32 s44, s10
; %bb.2714:                             ;   in Loop: Header=BB2_2648 Depth=2
	v_bfe_u32 v32, v82, 20, 1
	s_delay_alu instid0(VALU_DEP_1) | instskip(NEXT) | instid1(VALU_DEP_1)
	v_add_nc_u64_e32 v[84:85], v[82:83], v[32:33]
	v_add_nc_u64_e32 v[84:85], -1, v[84:85]
; %bb.2715:                             ;   in Loop: Header=BB2_2648 Depth=2
	s_or_b32 exec_lo, exec_lo, s44
	v_add_nc_u32_e32 v32, 0xffffff81, v87
	v_lshrrev_b32_e32 v83, 23, v82
	s_mov_b32 s10, exec_lo
	s_delay_alu instid0(VALU_DEP_2) | instskip(NEXT) | instid1(VALU_DEP_1)
	v_cndmask_b32_e64 v32, v32, 0xffffff82, vcc_lo
	v_add3_u32 v85, v115, v32, v83
	v_and_b32_e32 v32, 0xfffff, v84
                                        ; implicit-def: $vgpr84
	s_delay_alu instid0(VALU_DEP_1) | instskip(NEXT) | instid1(VALU_DEP_1)
	v_dual_add_nc_u32 v87, 6, v85 :: v_dual_add_nc_u32 v32, v32, v82
                                        ; implicit-def: $vgpr82_vgpr83
	v_cmpx_ne_u32_e32 0, v87
	s_xor_b32 s10, exec_lo, s10
; %bb.2716:                             ;   in Loop: Header=BB2_2648 Depth=2
	s_delay_alu instid0(VALU_DEP_2) | instskip(SKIP_1) | instid1(VALU_DEP_1)
	v_cmp_lt_u64_e32 vcc_lo, 0xffffff, v[32:33]
	v_add_nc_u32_e32 v82, 7, v85
	v_cndmask_b32_e32 v84, v87, v82, vcc_lo
	v_cndmask_b32_e64 v82, 0, 1, vcc_lo
	s_delay_alu instid0(VALU_DEP_1)
	v_lshrrev_b64 v[82:83], v82, v[32:33]
; %bb.2717:                             ;   in Loop: Header=BB2_2648 Depth=2
	s_and_not1_saveexec_b32 s10, s10
; %bb.2718:                             ;   in Loop: Header=BB2_2648 Depth=2
	v_mov_b64_e32 v[82:83], v[32:33]
	v_bfe_u32 v84, v32, 23, 1
; %bb.2719:                             ;   in Loop: Header=BB2_2648 Depth=2
	s_or_b32 exec_lo, exec_lo, s10
	s_delay_alu instid0(VALU_DEP_2) | instskip(NEXT) | instid1(VALU_DEP_2)
	v_lshrrev_b64 v[82:83], 20, v[82:83]
	v_cmp_gt_i32_e32 vcc_lo, 16, v84
	v_min_i32_e32 v32, 15, v84
	v_cmp_eq_u32_e64 s10, 0, v84
	s_delay_alu instid0(VALU_DEP_2) | instskip(SKIP_1) | instid1(VALU_DEP_2)
	v_dual_cndmask_b32 v83, 0, v83 :: v_dual_lshlrev_b32 v32, 3, v32
	v_cndmask_b32_e32 v82, 7, v82, vcc_lo
	v_and_b32_e32 v32, 0xf8, v32
	s_delay_alu instid0(VALU_DEP_2) | instskip(NEXT) | instid1(VALU_DEP_2)
	v_cmp_eq_u64_e32 vcc_lo, 0, v[82:83]
	v_and_or_b32 v32, v82, 7, v32
	s_and_b32 s10, s10, vcc_lo
	s_delay_alu instid0(VALU_DEP_1) | instid1(SALU_CYCLE_1)
	v_cndmask_b32_e64 v32, v32, 0, s10
	s_delay_alu instid0(VALU_DEP_1)
	v_or_b32_e32 v116, v32, v86
.LBB2_2720:                             ;   in Loop: Header=BB2_2648 Depth=2
	s_or_b32 exec_lo, exec_lo, s43
                                        ; implicit-def: $vgpr86
.LBB2_2721:                             ;   in Loop: Header=BB2_2648 Depth=2
	s_and_not1_saveexec_b32 s10, s42
; %bb.2722:                             ;   in Loop: Header=BB2_2648 Depth=2
	v_or_b32_e32 v116, 0x7e, v86
; %bb.2723:                             ;   in Loop: Header=BB2_2648 Depth=2
	s_or_b32 exec_lo, exec_lo, s10
                                        ; implicit-def: $vgpr83
.LBB2_2724:                             ;   in Loop: Header=BB2_2648 Depth=2
	s_and_not1_saveexec_b32 s10, s41
; %bb.2725:                             ;   in Loop: Header=BB2_2648 Depth=2
	v_or_b32_e32 v116, 0x7f, v83
; %bb.2726:                             ;   in Loop: Header=BB2_2648 Depth=2
	s_or_b32 exec_lo, exec_lo, s10
	v_mov_b32_e32 v32, 0
	s_mov_b32 s10, exec_lo
	v_cmpx_lt_u32_e32 0xffffff, v10
	s_cbranch_execz .LBB2_2734
; %bb.2727:                             ;   in Loop: Header=BB2_2648 Depth=2
	v_lshrrev_b32_e32 v82, 24, v10
	v_bfrev_b32_e32 v32, 1
	s_mov_b32 s41, exec_lo
	s_delay_alu instid0(VALU_DEP_2)
	v_cmpx_ne_u32_e32 0x80, v82
	s_cbranch_execz .LBB2_2733
; %bb.2728:                             ;   in Loop: Header=BB2_2648 Depth=2
	v_bfe_u32 v84, v10, 24, 7
	v_mov_b32_e32 v32, 0x7f800001
	s_mov_b32 s42, exec_lo
	s_delay_alu instid0(VALU_DEP_2)
	v_cmpx_ne_u32_e32 0x7f, v84
	s_cbranch_execz .LBB2_2732
; %bb.2729:                             ;   in Loop: Header=BB2_2648 Depth=2
	v_dual_lshrrev_b32 v83, 3, v84 :: v_dual_bitop2_b32 v32, 7, v82 bitop3:0x40
	s_mov_b32 s43, exec_lo
	v_cmpx_gt_u32_e32 8, v84
; %bb.2730:                             ;   in Loop: Header=BB2_2648 Depth=2
	s_delay_alu instid0(VALU_DEP_2) | instskip(NEXT) | instid1(VALU_DEP_1)
	v_clz_i32_u32_e32 v83, v32
	v_min_u32_e32 v83, 32, v83
	s_delay_alu instid0(VALU_DEP_1) | instskip(NEXT) | instid1(VALU_DEP_1)
	v_subrev_nc_u32_e32 v84, 28, v83
	v_lshlrev_b64_e32 v[84:85], v84, v[32:33]
	s_delay_alu instid0(VALU_DEP_1)
	v_dual_sub_nc_u32 v83, 29, v83 :: v_dual_bitop2_b32 v32, 7, v84 bitop3:0x40
; %bb.2731:                             ;   in Loop: Header=BB2_2648 Depth=2
	s_or_b32 exec_lo, exec_lo, s43
	s_delay_alu instid0(VALU_DEP_1) | instskip(NEXT) | instid1(VALU_DEP_2)
	v_dual_lshlrev_b32 v82, 24, v82 :: v_dual_lshlrev_b32 v32, 20, v32
	v_lshl_add_u32 v83, v83, 23, 0x3c000000
	s_delay_alu instid0(VALU_DEP_2) | instskip(NEXT) | instid1(VALU_DEP_1)
	v_and_b32_e32 v82, 0x80000000, v82
	v_or3_b32 v32, v32, v82, v83
.LBB2_2732:                             ;   in Loop: Header=BB2_2648 Depth=2
	s_or_b32 exec_lo, exec_lo, s42
.LBB2_2733:                             ;   in Loop: Header=BB2_2648 Depth=2
	s_delay_alu instid0(SALU_CYCLE_1)
	s_or_b32 exec_lo, exec_lo, s41
.LBB2_2734:                             ;   in Loop: Header=BB2_2648 Depth=2
	s_delay_alu instid0(SALU_CYCLE_1) | instskip(NEXT) | instid1(VALU_DEP_1)
	s_or_b32 exec_lo, exec_lo, s10
	v_mul_f32_e32 v82, s11, v32
                                        ; implicit-def: $vgpr119
	s_mov_b32 s10, exec_lo
	s_delay_alu instid0(VALU_DEP_1) | instskip(SKIP_1) | instid1(VALU_DEP_2)
	v_and_b32_e32 v32, 0x7f800000, v82
	v_lshrrev_b32_e32 v83, 24, v82
	v_cmpx_ne_u64_e32 0x7f800000, v[32:33]
	s_xor_b32 s41, exec_lo, s10
	s_cbranch_execz .LBB2_2748
; %bb.2735:                             ;   in Loop: Header=BB2_2648 Depth=2
	v_and_b32_e32 v32, 0x7fffffff, v82
	v_and_b32_e32 v86, 0x80, v83
                                        ; implicit-def: $vgpr119
	s_mov_b32 s10, exec_lo
	s_delay_alu instid0(VALU_DEP_2)
	v_cmpx_gt_u64_e32 0x43e00001, v[32:33]
	s_xor_b32 s42, exec_lo, s10
	s_cbranch_execz .LBB2_2745
; %bb.2736:                             ;   in Loop: Header=BB2_2648 Depth=2
	v_mov_b32_e32 v119, 0
	s_mov_b32 s43, exec_lo
	v_cmpx_ne_u32_e32 0, v82
	s_cbranch_execz .LBB2_2744
; %bb.2737:                             ;   in Loop: Header=BB2_2648 Depth=2
	v_bfe_u32 v87, v82, 23, 8
	s_delay_alu instid0(VALU_DEP_1) | instskip(SKIP_1) | instid1(VALU_DEP_2)
	v_sub_nc_u32_e32 v32, 0x79, v87
	v_cmp_gt_u32_e32 vcc_lo, 0x7a, v87
	v_cndmask_b32_e32 v32, 0, v32, vcc_lo
	v_cmp_eq_u32_e32 vcc_lo, 0, v87
	s_delay_alu instid0(VALU_DEP_2) | instskip(SKIP_1) | instid1(VALU_DEP_2)
	v_cndmask_b32_e64 v115, v32, 0x78, vcc_lo
	v_and_b32_e32 v32, 0x7fffff, v82
	v_add_nc_u32_e32 v82, 20, v115
	s_delay_alu instid0(VALU_DEP_2) | instskip(SKIP_1) | instid1(VALU_DEP_3)
	v_or_b32_e32 v84, 0x800000, v32
	v_add_nc_u32_e32 v85, 19, v115
	v_lshlrev_b64_e64 v[82:83], v82, -1
	s_delay_alu instid0(VALU_DEP_3) | instskip(NEXT) | instid1(VALU_DEP_3)
	v_cndmask_b32_e32 v32, v84, v32, vcc_lo
	v_lshlrev_b64_e64 v[84:85], v85, 1
	s_delay_alu instid0(VALU_DEP_3) | instskip(NEXT) | instid1(VALU_DEP_3)
	v_bfi_b32 v119, v83, 0, 0
	v_bfi_b32 v118, v82, 0, v32
	v_lshrrev_b64 v[82:83], v115, v[32:33]
	s_delay_alu instid0(VALU_DEP_2) | instskip(NEXT) | instid1(VALU_DEP_2)
	v_cmp_eq_u64_e64 s10, v[118:119], v[84:85]
	v_mov_b64_e32 v[84:85], v[82:83]
	s_and_saveexec_b32 s44, s10
; %bb.2738:                             ;   in Loop: Header=BB2_2648 Depth=2
	v_bfe_u32 v32, v82, 20, 1
	s_delay_alu instid0(VALU_DEP_1) | instskip(NEXT) | instid1(VALU_DEP_1)
	v_add_nc_u64_e32 v[84:85], v[82:83], v[32:33]
	v_add_nc_u64_e32 v[84:85], -1, v[84:85]
; %bb.2739:                             ;   in Loop: Header=BB2_2648 Depth=2
	s_or_b32 exec_lo, exec_lo, s44
	v_add_nc_u32_e32 v32, 0xffffff81, v87
	v_lshrrev_b32_e32 v83, 23, v82
	s_mov_b32 s10, exec_lo
	s_delay_alu instid0(VALU_DEP_2) | instskip(NEXT) | instid1(VALU_DEP_1)
	v_cndmask_b32_e64 v32, v32, 0xffffff82, vcc_lo
	v_add3_u32 v85, v115, v32, v83
	v_and_b32_e32 v32, 0xfffff, v84
                                        ; implicit-def: $vgpr84
	s_delay_alu instid0(VALU_DEP_1) | instskip(NEXT) | instid1(VALU_DEP_1)
	v_dual_add_nc_u32 v87, 6, v85 :: v_dual_add_nc_u32 v32, v32, v82
                                        ; implicit-def: $vgpr82_vgpr83
	v_cmpx_ne_u32_e32 0, v87
	s_xor_b32 s10, exec_lo, s10
; %bb.2740:                             ;   in Loop: Header=BB2_2648 Depth=2
	s_delay_alu instid0(VALU_DEP_2) | instskip(SKIP_1) | instid1(VALU_DEP_1)
	v_cmp_lt_u64_e32 vcc_lo, 0xffffff, v[32:33]
	v_add_nc_u32_e32 v82, 7, v85
	v_cndmask_b32_e32 v84, v87, v82, vcc_lo
	v_cndmask_b32_e64 v82, 0, 1, vcc_lo
	s_delay_alu instid0(VALU_DEP_1)
	v_lshrrev_b64 v[82:83], v82, v[32:33]
; %bb.2741:                             ;   in Loop: Header=BB2_2648 Depth=2
	s_and_not1_saveexec_b32 s10, s10
; %bb.2742:                             ;   in Loop: Header=BB2_2648 Depth=2
	v_mov_b64_e32 v[82:83], v[32:33]
	v_bfe_u32 v84, v32, 23, 1
; %bb.2743:                             ;   in Loop: Header=BB2_2648 Depth=2
	s_or_b32 exec_lo, exec_lo, s10
	s_delay_alu instid0(VALU_DEP_2) | instskip(NEXT) | instid1(VALU_DEP_2)
	v_lshrrev_b64 v[82:83], 20, v[82:83]
	v_cmp_gt_i32_e32 vcc_lo, 16, v84
	v_min_i32_e32 v32, 15, v84
	v_cmp_eq_u32_e64 s10, 0, v84
	s_delay_alu instid0(VALU_DEP_2) | instskip(SKIP_1) | instid1(VALU_DEP_2)
	v_dual_cndmask_b32 v83, 0, v83 :: v_dual_lshlrev_b32 v32, 3, v32
	v_cndmask_b32_e32 v82, 7, v82, vcc_lo
	v_and_b32_e32 v32, 0xf8, v32
	s_delay_alu instid0(VALU_DEP_2) | instskip(NEXT) | instid1(VALU_DEP_2)
	v_cmp_eq_u64_e32 vcc_lo, 0, v[82:83]
	v_and_or_b32 v32, v82, 7, v32
	s_and_b32 s10, s10, vcc_lo
	s_delay_alu instid0(VALU_DEP_1) | instid1(SALU_CYCLE_1)
	v_cndmask_b32_e64 v32, v32, 0, s10
	s_delay_alu instid0(VALU_DEP_1)
	v_or_b32_e32 v119, v32, v86
.LBB2_2744:                             ;   in Loop: Header=BB2_2648 Depth=2
	s_or_b32 exec_lo, exec_lo, s43
                                        ; implicit-def: $vgpr86
.LBB2_2745:                             ;   in Loop: Header=BB2_2648 Depth=2
	s_and_not1_saveexec_b32 s10, s42
; %bb.2746:                             ;   in Loop: Header=BB2_2648 Depth=2
	v_or_b32_e32 v119, 0x7e, v86
; %bb.2747:                             ;   in Loop: Header=BB2_2648 Depth=2
	s_or_b32 exec_lo, exec_lo, s10
                                        ; implicit-def: $vgpr83
.LBB2_2748:                             ;   in Loop: Header=BB2_2648 Depth=2
	s_and_not1_saveexec_b32 s10, s41
; %bb.2749:                             ;   in Loop: Header=BB2_2648 Depth=2
	v_or_b32_e32 v119, 0x7f, v83
; %bb.2750:                             ;   in Loop: Header=BB2_2648 Depth=2
	s_or_b32 exec_lo, exec_lo, s10
	v_and_b32_e32 v83, 0xff, v11
	v_dual_mov_b32 v32, v11 :: v_dual_mov_b32 v82, 0
	s_mov_b32 s10, exec_lo
	s_delay_alu instid0(VALU_DEP_2)
	v_cmpx_ne_u16_e32 0, v83
	s_cbranch_execz .LBB2_2756
; %bb.2751:                             ;   in Loop: Header=BB2_2648 Depth=2
	v_bfrev_b32_e32 v82, 1
	s_mov_b32 s41, exec_lo
	v_cmpx_ne_u16_e32 0x80, v83
	s_cbranch_execz .LBB2_2755
; %bb.2752:                             ;   in Loop: Header=BB2_2648 Depth=2
	v_and_b32_e32 v83, 0x7f, v11
	v_mov_b32_e32 v82, 0x7f800001
	s_mov_b32 s42, exec_lo
	s_delay_alu instid0(VALU_DEP_2)
	v_cmpx_ne_u32_e32 0x7f, v83
	s_cbranch_execz .LBB2_2754
; %bb.2753:                             ;   in Loop: Header=BB2_2648 Depth=2
	v_and_b32_e32 v82, 7, v11
	v_cmp_gt_u32_e32 vcc_lo, 8, v83
	s_delay_alu instid0(VALU_DEP_2) | instskip(NEXT) | instid1(VALU_DEP_1)
	v_clz_i32_u32_e32 v82, v82
	v_min_u32_e32 v82, 32, v82
	v_lshrrev_b32_e32 v84, 3, v83
	s_delay_alu instid0(VALU_DEP_2) | instskip(SKIP_1) | instid1(VALU_DEP_1)
	v_subrev_nc_u32_e32 v85, 28, v82
	v_sub_nc_u32_e32 v82, 29, v82
	v_dual_cndmask_b32 v84, v84, v82, vcc_lo :: v_dual_cndmask_b32 v82, 0, v85, vcc_lo
	s_delay_alu instid0(VALU_DEP_1) | instskip(NEXT) | instid1(VALU_DEP_2)
	v_lshl_add_u32 v84, v84, 23, 0x3c000000
	v_lshlrev_b64_e32 v[82:83], v82, v[32:33]
	v_lshlrev_b32_e32 v83, 24, v32
	s_delay_alu instid0(VALU_DEP_1) | instskip(NEXT) | instid1(VALU_DEP_3)
	v_and_b32_e32 v83, 0x80000000, v83
	v_lshlrev_b32_e32 v82, 20, v82
	s_delay_alu instid0(VALU_DEP_1) | instskip(NEXT) | instid1(VALU_DEP_1)
	v_and_b32_e32 v82, 0x700000, v82
	v_or3_b32 v82, v82, v83, v84
.LBB2_2754:                             ;   in Loop: Header=BB2_2648 Depth=2
	s_or_b32 exec_lo, exec_lo, s42
.LBB2_2755:                             ;   in Loop: Header=BB2_2648 Depth=2
	s_delay_alu instid0(SALU_CYCLE_1)
	s_or_b32 exec_lo, exec_lo, s41
.LBB2_2756:                             ;   in Loop: Header=BB2_2648 Depth=2
	s_delay_alu instid0(SALU_CYCLE_1) | instskip(NEXT) | instid1(VALU_DEP_1)
	s_or_b32 exec_lo, exec_lo, s10
	v_dual_mul_f32 v82, s11, v82 :: v_dual_mov_b32 v85, v33
                                        ; implicit-def: $vgpr86
	s_mov_b32 s10, exec_lo
	s_delay_alu instid0(VALU_DEP_1) | instskip(SKIP_1) | instid1(VALU_DEP_2)
	v_and_b32_e32 v84, 0x7f800000, v82
	v_lshrrev_b32_e32 v83, 24, v82
	v_cmpx_ne_u64_e32 0x7f800000, v[84:85]
	s_xor_b32 s41, exec_lo, s10
	s_cbranch_execz .LBB2_2770
; %bb.2757:                             ;   in Loop: Header=BB2_2648 Depth=2
	v_and_b32_e32 v84, 0x7fffffff, v82
	v_mov_b32_e32 v85, v33
	v_and_b32_e32 v87, 0x80, v83
                                        ; implicit-def: $vgpr86
	s_mov_b32 s10, exec_lo
	s_delay_alu instid0(VALU_DEP_2)
	v_cmpx_gt_u64_e32 0x43e00001, v[84:85]
	s_xor_b32 s42, exec_lo, s10
	s_cbranch_execz .LBB2_2767
; %bb.2758:                             ;   in Loop: Header=BB2_2648 Depth=2
	v_mov_b32_e32 v86, 0
	s_mov_b32 s43, exec_lo
	v_cmpx_ne_u32_e32 0, v82
	s_cbranch_execz .LBB2_2766
; %bb.2759:                             ;   in Loop: Header=BB2_2648 Depth=2
	v_bfe_u32 v86, v82, 23, 8
	v_and_b32_e32 v84, 0x7fffff, v82
	s_mov_b32 s44, exec_lo
	s_delay_alu instid0(VALU_DEP_2) | instskip(NEXT) | instid1(VALU_DEP_2)
	v_cmp_gt_u32_e32 vcc_lo, 0x7a, v86
	v_or_b32_e32 v85, 0x800000, v84
	v_sub_nc_u32_e32 v83, 0x79, v86
	s_delay_alu instid0(VALU_DEP_1) | instskip(SKIP_1) | instid1(VALU_DEP_4)
	v_cndmask_b32_e32 v83, 0, v83, vcc_lo
	v_cmp_eq_u32_e32 vcc_lo, 0, v86
	v_cndmask_b32_e32 v84, v85, v84, vcc_lo
	v_mov_b32_e32 v85, v33
	s_delay_alu instid0(VALU_DEP_4) | instskip(NEXT) | instid1(VALU_DEP_1)
	v_cndmask_b32_e64 v115, v83, 0x78, vcc_lo
	v_dual_add_nc_u32 v82, 20, v115 :: v_dual_add_nc_u32 v117, 19, v115
	s_delay_alu instid0(VALU_DEP_1) | instskip(NEXT) | instid1(VALU_DEP_2)
	v_lshlrev_b64_e64 v[82:83], v82, -1
	v_lshlrev_b64_e64 v[40:41], v117, 1
	s_delay_alu instid0(VALU_DEP_2) | instskip(NEXT) | instid1(VALU_DEP_3)
	v_bfi_b32 v43, v83, 0, 0
	v_bfi_b32 v42, v82, 0, v84
	v_lshrrev_b64 v[82:83], v115, v[84:85]
	s_delay_alu instid0(VALU_DEP_1) | instskip(NEXT) | instid1(VALU_DEP_3)
	v_mov_b64_e32 v[84:85], v[82:83]
	v_cmpx_eq_u64_e64 v[42:43], v[40:41]
; %bb.2760:                             ;   in Loop: Header=BB2_2648 Depth=2
	v_bfe_u32 v84, v82, 20, 1
	v_mov_b32_e32 v85, v33
	s_delay_alu instid0(VALU_DEP_1) | instskip(NEXT) | instid1(VALU_DEP_1)
	v_add_nc_u64_e32 v[84:85], v[82:83], v[84:85]
	v_add_nc_u64_e32 v[84:85], -1, v[84:85]
; %bb.2761:                             ;   in Loop: Header=BB2_2648 Depth=2
	s_or_b32 exec_lo, exec_lo, s44
	v_add_nc_u32_e32 v83, 0xffffff81, v86
	v_lshrrev_b32_e32 v85, 23, v82
	s_mov_b32 s10, exec_lo
	s_delay_alu instid0(VALU_DEP_2) | instskip(NEXT) | instid1(VALU_DEP_1)
	v_cndmask_b32_e64 v83, v83, 0xffffff82, vcc_lo
	v_add3_u32 v85, v115, v83, v85
	v_and_b32_e32 v83, 0xfffff, v84
                                        ; implicit-def: $vgpr84
	s_delay_alu instid0(VALU_DEP_1) | instskip(SKIP_1) | instid1(VALU_DEP_2)
	v_dual_add_nc_u32 v86, 6, v85 :: v_dual_add_nc_u32 v82, v83, v82
	v_mov_b32_e32 v83, v33
	v_cmpx_ne_u32_e32 0, v86
	s_xor_b32 s10, exec_lo, s10
; %bb.2762:                             ;   in Loop: Header=BB2_2648 Depth=2
	s_delay_alu instid0(VALU_DEP_2) | instskip(SKIP_2) | instid1(VALU_DEP_2)
	v_cmp_lt_u64_e32 vcc_lo, 0xffffff, v[82:83]
	v_add_nc_u32_e32 v84, 7, v85
	v_cndmask_b32_e64 v85, 0, 1, vcc_lo
	v_cndmask_b32_e32 v84, v86, v84, vcc_lo
	s_delay_alu instid0(VALU_DEP_2)
	v_lshrrev_b64 v[82:83], v85, v[82:83]
; %bb.2763:                             ;   in Loop: Header=BB2_2648 Depth=2
	s_and_not1_saveexec_b32 s10, s10
; %bb.2764:                             ;   in Loop: Header=BB2_2648 Depth=2
	s_delay_alu instid0(VALU_DEP_1)
	v_bfe_u32 v84, v82, 23, 1
; %bb.2765:                             ;   in Loop: Header=BB2_2648 Depth=2
	s_or_b32 exec_lo, exec_lo, s10
	s_delay_alu instid0(VALU_DEP_2) | instskip(NEXT) | instid1(VALU_DEP_2)
	v_lshrrev_b64 v[82:83], 20, v[82:83]
	v_cmp_gt_i32_e32 vcc_lo, 16, v84
	v_min_i32_e32 v85, 15, v84
	v_cmp_eq_u32_e64 s10, 0, v84
	s_delay_alu instid0(VALU_DEP_2) | instskip(SKIP_1) | instid1(VALU_DEP_2)
	v_dual_cndmask_b32 v83, 0, v83, vcc_lo :: v_dual_lshlrev_b32 v85, 3, v85
	v_cndmask_b32_e32 v82, 7, v82, vcc_lo
	v_and_b32_e32 v85, 0xf8, v85
	s_delay_alu instid0(VALU_DEP_2) | instskip(NEXT) | instid1(VALU_DEP_2)
	v_cmp_eq_u64_e32 vcc_lo, 0, v[82:83]
	v_and_or_b32 v82, v82, 7, v85
	s_and_b32 s10, s10, vcc_lo
	s_delay_alu instid0(VALU_DEP_1) | instid1(SALU_CYCLE_1)
	v_cndmask_b32_e64 v82, v82, 0, s10
	s_delay_alu instid0(VALU_DEP_1)
	v_or_b32_e32 v86, v82, v87
.LBB2_2766:                             ;   in Loop: Header=BB2_2648 Depth=2
	s_or_b32 exec_lo, exec_lo, s43
                                        ; implicit-def: $vgpr87
.LBB2_2767:                             ;   in Loop: Header=BB2_2648 Depth=2
	s_and_not1_saveexec_b32 s10, s42
; %bb.2768:                             ;   in Loop: Header=BB2_2648 Depth=2
	v_or_b32_e32 v86, 0x7e, v87
; %bb.2769:                             ;   in Loop: Header=BB2_2648 Depth=2
	s_or_b32 exec_lo, exec_lo, s10
                                        ; implicit-def: $vgpr83
.LBB2_2770:                             ;   in Loop: Header=BB2_2648 Depth=2
	s_and_not1_saveexec_b32 s10, s41
; %bb.2771:                             ;   in Loop: Header=BB2_2648 Depth=2
	v_or_b32_e32 v86, 0x7f, v83
; %bb.2772:                             ;   in Loop: Header=BB2_2648 Depth=2
	s_or_b32 exec_lo, exec_lo, s10
	v_lshrrev_b16 v83, 8, v32
	v_mov_b32_e32 v82, 0
	s_mov_b32 s10, exec_lo
	s_delay_alu instid0(VALU_DEP_2)
	v_cmpx_ne_u16_e32 0, v83
	s_cbranch_execz .LBB2_2780
; %bb.2773:                             ;   in Loop: Header=BB2_2648 Depth=2
	v_bfrev_b32_e32 v82, 1
	s_mov_b32 s41, exec_lo
	v_cmpx_ne_u16_e32 0x80, v83
	s_cbranch_execz .LBB2_2779
; %bb.2774:                             ;   in Loop: Header=BB2_2648 Depth=2
	v_and_b32_e32 v83, 0xffff, v83
	v_mov_b32_e32 v82, 0x7f800001
	s_mov_b32 s42, exec_lo
	s_delay_alu instid0(VALU_DEP_2) | instskip(NEXT) | instid1(VALU_DEP_1)
	v_and_b32_e32 v85, 0x7f, v83
	v_cmpx_ne_u32_e32 0x7f, v85
	s_cbranch_execz .LBB2_2778
; %bb.2775:                             ;   in Loop: Header=BB2_2648 Depth=2
	v_dual_mov_b32 v83, v33 :: v_dual_bitop2_b32 v82, 7, v83 bitop3:0x40
	v_lshrrev_b32_e32 v84, 3, v85
	s_mov_b32 s43, exec_lo
	v_cmpx_gt_u32_e32 8, v85
; %bb.2776:                             ;   in Loop: Header=BB2_2648 Depth=2
	s_delay_alu instid0(VALU_DEP_3) | instskip(NEXT) | instid1(VALU_DEP_1)
	v_clz_i32_u32_e32 v84, v82
	v_min_u32_e32 v84, 32, v84
	s_delay_alu instid0(VALU_DEP_1) | instskip(NEXT) | instid1(VALU_DEP_1)
	v_subrev_nc_u32_e32 v85, 28, v84
	v_lshlrev_b64_e32 v[82:83], v85, v[82:83]
	s_delay_alu instid0(VALU_DEP_1)
	v_dual_sub_nc_u32 v84, 29, v84 :: v_dual_bitop2_b32 v82, 7, v82 bitop3:0x40
; %bb.2777:                             ;   in Loop: Header=BB2_2648 Depth=2
	s_or_b32 exec_lo, exec_lo, s43
	s_delay_alu instid0(VALU_DEP_1) | instskip(NEXT) | instid1(VALU_DEP_2)
	v_dual_lshlrev_b32 v32, 16, v32 :: v_dual_lshlrev_b32 v82, 20, v82
	v_lshl_add_u32 v83, v84, 23, 0x3c000000
	s_delay_alu instid0(VALU_DEP_2) | instskip(NEXT) | instid1(VALU_DEP_1)
	v_and_b32_e32 v32, 0x80000000, v32
	v_or3_b32 v82, v82, v32, v83
.LBB2_2778:                             ;   in Loop: Header=BB2_2648 Depth=2
	s_or_b32 exec_lo, exec_lo, s42
.LBB2_2779:                             ;   in Loop: Header=BB2_2648 Depth=2
	s_delay_alu instid0(SALU_CYCLE_1)
	s_or_b32 exec_lo, exec_lo, s41
.LBB2_2780:                             ;   in Loop: Header=BB2_2648 Depth=2
	s_delay_alu instid0(SALU_CYCLE_1) | instskip(NEXT) | instid1(VALU_DEP_1)
	s_or_b32 exec_lo, exec_lo, s10
	v_mul_f32_e32 v82, s11, v82
                                        ; implicit-def: $vgpr87
	s_mov_b32 s10, exec_lo
	s_delay_alu instid0(VALU_DEP_1) | instskip(SKIP_1) | instid1(VALU_DEP_2)
	v_and_b32_e32 v32, 0x7f800000, v82
	v_lshrrev_b32_e32 v83, 24, v82
	v_cmpx_ne_u64_e32 0x7f800000, v[32:33]
	s_xor_b32 s41, exec_lo, s10
	s_cbranch_execz .LBB2_2794
; %bb.2781:                             ;   in Loop: Header=BB2_2648 Depth=2
	v_and_b32_e32 v32, 0x7fffffff, v82
	v_and_b32_e32 v115, 0x80, v83
                                        ; implicit-def: $vgpr87
	s_mov_b32 s10, exec_lo
	s_delay_alu instid0(VALU_DEP_2)
	v_cmpx_gt_u64_e32 0x43e00001, v[32:33]
	s_xor_b32 s42, exec_lo, s10
	s_cbranch_execz .LBB2_2791
; %bb.2782:                             ;   in Loop: Header=BB2_2648 Depth=2
	v_mov_b32_e32 v87, 0
	s_mov_b32 s43, exec_lo
	v_cmpx_ne_u32_e32 0, v82
	s_cbranch_execz .LBB2_2790
; %bb.2783:                             ;   in Loop: Header=BB2_2648 Depth=2
	v_bfe_u32 v87, v82, 23, 8
	s_delay_alu instid0(VALU_DEP_1) | instskip(SKIP_1) | instid1(VALU_DEP_2)
	v_sub_nc_u32_e32 v32, 0x79, v87
	v_cmp_gt_u32_e32 vcc_lo, 0x7a, v87
	v_cndmask_b32_e32 v32, 0, v32, vcc_lo
	v_cmp_eq_u32_e32 vcc_lo, 0, v87
	s_delay_alu instid0(VALU_DEP_2) | instskip(SKIP_1) | instid1(VALU_DEP_2)
	v_cndmask_b32_e64 v117, v32, 0x78, vcc_lo
	v_and_b32_e32 v32, 0x7fffff, v82
	v_add_nc_u32_e32 v82, 20, v117
	s_delay_alu instid0(VALU_DEP_2) | instskip(SKIP_1) | instid1(VALU_DEP_3)
	v_or_b32_e32 v84, 0x800000, v32
	v_add_nc_u32_e32 v85, 19, v117
	v_lshlrev_b64_e64 v[82:83], v82, -1
	s_delay_alu instid0(VALU_DEP_3) | instskip(NEXT) | instid1(VALU_DEP_3)
	v_cndmask_b32_e32 v32, v84, v32, vcc_lo
	v_lshlrev_b64_e64 v[84:85], v85, 1
	s_delay_alu instid0(VALU_DEP_3) | instskip(NEXT) | instid1(VALU_DEP_3)
	v_bfi_b32 v41, v83, 0, 0
	v_bfi_b32 v40, v82, 0, v32
	v_lshrrev_b64 v[82:83], v117, v[32:33]
	s_delay_alu instid0(VALU_DEP_2) | instskip(NEXT) | instid1(VALU_DEP_2)
	v_cmp_eq_u64_e64 s10, v[40:41], v[84:85]
	v_mov_b64_e32 v[84:85], v[82:83]
	s_and_saveexec_b32 s44, s10
; %bb.2784:                             ;   in Loop: Header=BB2_2648 Depth=2
	v_bfe_u32 v32, v82, 20, 1
	s_delay_alu instid0(VALU_DEP_1) | instskip(NEXT) | instid1(VALU_DEP_1)
	v_add_nc_u64_e32 v[84:85], v[82:83], v[32:33]
	v_add_nc_u64_e32 v[84:85], -1, v[84:85]
; %bb.2785:                             ;   in Loop: Header=BB2_2648 Depth=2
	s_or_b32 exec_lo, exec_lo, s44
	v_add_nc_u32_e32 v32, 0xffffff81, v87
	v_lshrrev_b32_e32 v83, 23, v82
	s_mov_b32 s10, exec_lo
	s_delay_alu instid0(VALU_DEP_2) | instskip(NEXT) | instid1(VALU_DEP_1)
	v_cndmask_b32_e64 v32, v32, 0xffffff82, vcc_lo
	v_add3_u32 v85, v117, v32, v83
	v_and_b32_e32 v32, 0xfffff, v84
                                        ; implicit-def: $vgpr84
	s_delay_alu instid0(VALU_DEP_1) | instskip(NEXT) | instid1(VALU_DEP_1)
	v_dual_add_nc_u32 v87, 6, v85 :: v_dual_add_nc_u32 v32, v32, v82
                                        ; implicit-def: $vgpr82_vgpr83
	v_cmpx_ne_u32_e32 0, v87
	s_xor_b32 s10, exec_lo, s10
; %bb.2786:                             ;   in Loop: Header=BB2_2648 Depth=2
	s_delay_alu instid0(VALU_DEP_2) | instskip(SKIP_1) | instid1(VALU_DEP_1)
	v_cmp_lt_u64_e32 vcc_lo, 0xffffff, v[32:33]
	v_add_nc_u32_e32 v82, 7, v85
	v_cndmask_b32_e32 v84, v87, v82, vcc_lo
	v_cndmask_b32_e64 v82, 0, 1, vcc_lo
	s_delay_alu instid0(VALU_DEP_1)
	v_lshrrev_b64 v[82:83], v82, v[32:33]
; %bb.2787:                             ;   in Loop: Header=BB2_2648 Depth=2
	s_and_not1_saveexec_b32 s10, s10
; %bb.2788:                             ;   in Loop: Header=BB2_2648 Depth=2
	v_mov_b64_e32 v[82:83], v[32:33]
	v_bfe_u32 v84, v32, 23, 1
; %bb.2789:                             ;   in Loop: Header=BB2_2648 Depth=2
	s_or_b32 exec_lo, exec_lo, s10
	s_delay_alu instid0(VALU_DEP_2) | instskip(NEXT) | instid1(VALU_DEP_2)
	v_lshrrev_b64 v[82:83], 20, v[82:83]
	v_cmp_gt_i32_e32 vcc_lo, 16, v84
	v_min_i32_e32 v32, 15, v84
	v_cmp_eq_u32_e64 s10, 0, v84
	s_delay_alu instid0(VALU_DEP_2) | instskip(SKIP_1) | instid1(VALU_DEP_2)
	v_dual_cndmask_b32 v83, 0, v83 :: v_dual_lshlrev_b32 v32, 3, v32
	v_cndmask_b32_e32 v82, 7, v82, vcc_lo
	v_and_b32_e32 v32, 0xf8, v32
	s_delay_alu instid0(VALU_DEP_2) | instskip(NEXT) | instid1(VALU_DEP_2)
	v_cmp_eq_u64_e32 vcc_lo, 0, v[82:83]
	v_and_or_b32 v32, v82, 7, v32
	s_and_b32 s10, s10, vcc_lo
	s_delay_alu instid0(VALU_DEP_1) | instid1(SALU_CYCLE_1)
	v_cndmask_b32_e64 v32, v32, 0, s10
	s_delay_alu instid0(VALU_DEP_1)
	v_or_b32_e32 v87, v32, v115
.LBB2_2790:                             ;   in Loop: Header=BB2_2648 Depth=2
	s_or_b32 exec_lo, exec_lo, s43
                                        ; implicit-def: $vgpr115
.LBB2_2791:                             ;   in Loop: Header=BB2_2648 Depth=2
	s_and_not1_saveexec_b32 s10, s42
; %bb.2792:                             ;   in Loop: Header=BB2_2648 Depth=2
	v_or_b32_e32 v87, 0x7e, v115
; %bb.2793:                             ;   in Loop: Header=BB2_2648 Depth=2
	s_or_b32 exec_lo, exec_lo, s10
                                        ; implicit-def: $vgpr83
.LBB2_2794:                             ;   in Loop: Header=BB2_2648 Depth=2
	s_and_not1_saveexec_b32 s10, s41
; %bb.2795:                             ;   in Loop: Header=BB2_2648 Depth=2
	v_or_b32_e32 v87, 0x7f, v83
; %bb.2796:                             ;   in Loop: Header=BB2_2648 Depth=2
	s_or_b32 exec_lo, exec_lo, s10
	v_dual_lshrrev_b32 v82, 16, v11 :: v_dual_mov_b32 v32, 0
	s_mov_b32 s10, exec_lo
	s_delay_alu instid0(VALU_DEP_1) | instskip(NEXT) | instid1(VALU_DEP_1)
	v_and_b32_e32 v83, 0xff, v82
	v_cmpx_ne_u16_e32 0, v83
	s_cbranch_execz .LBB2_2804
; %bb.2797:                             ;   in Loop: Header=BB2_2648 Depth=2
	v_bfrev_b32_e32 v32, 1
	s_mov_b32 s41, exec_lo
	v_cmpx_ne_u16_e32 0x80, v83
	s_cbranch_execz .LBB2_2803
; %bb.2798:                             ;   in Loop: Header=BB2_2648 Depth=2
	v_bfe_u32 v84, v11, 16, 7
	v_mov_b32_e32 v32, 0x7f800001
	s_mov_b32 s42, exec_lo
	s_delay_alu instid0(VALU_DEP_2)
	v_cmpx_ne_u32_e32 0x7f, v84
	s_cbranch_execz .LBB2_2802
; %bb.2799:                             ;   in Loop: Header=BB2_2648 Depth=2
	v_dual_lshrrev_b32 v83, 3, v84 :: v_dual_bitop2_b32 v32, 7, v82 bitop3:0x40
	s_mov_b32 s43, exec_lo
	v_cmpx_gt_u32_e32 8, v84
; %bb.2800:                             ;   in Loop: Header=BB2_2648 Depth=2
	s_delay_alu instid0(VALU_DEP_2) | instskip(NEXT) | instid1(VALU_DEP_1)
	v_clz_i32_u32_e32 v83, v32
	v_min_u32_e32 v83, 32, v83
	s_delay_alu instid0(VALU_DEP_1) | instskip(NEXT) | instid1(VALU_DEP_1)
	v_subrev_nc_u32_e32 v84, 28, v83
	v_lshlrev_b64_e32 v[84:85], v84, v[32:33]
	s_delay_alu instid0(VALU_DEP_1)
	v_dual_sub_nc_u32 v83, 29, v83 :: v_dual_bitop2_b32 v32, 7, v84 bitop3:0x40
; %bb.2801:                             ;   in Loop: Header=BB2_2648 Depth=2
	s_or_b32 exec_lo, exec_lo, s43
	s_delay_alu instid0(VALU_DEP_1) | instskip(NEXT) | instid1(VALU_DEP_2)
	v_dual_lshlrev_b32 v82, 24, v82 :: v_dual_lshlrev_b32 v32, 20, v32
	v_lshl_add_u32 v83, v83, 23, 0x3c000000
	s_delay_alu instid0(VALU_DEP_2) | instskip(NEXT) | instid1(VALU_DEP_1)
	v_and_b32_e32 v82, 0x80000000, v82
	v_or3_b32 v32, v32, v82, v83
.LBB2_2802:                             ;   in Loop: Header=BB2_2648 Depth=2
	s_or_b32 exec_lo, exec_lo, s42
.LBB2_2803:                             ;   in Loop: Header=BB2_2648 Depth=2
	s_delay_alu instid0(SALU_CYCLE_1)
	s_or_b32 exec_lo, exec_lo, s41
.LBB2_2804:                             ;   in Loop: Header=BB2_2648 Depth=2
	s_delay_alu instid0(SALU_CYCLE_1) | instskip(NEXT) | instid1(VALU_DEP_1)
	s_or_b32 exec_lo, exec_lo, s10
	v_mul_f32_e32 v82, s11, v32
                                        ; implicit-def: $vgpr46
	s_mov_b32 s10, exec_lo
	s_delay_alu instid0(VALU_DEP_1) | instskip(SKIP_1) | instid1(VALU_DEP_2)
	v_and_b32_e32 v32, 0x7f800000, v82
	v_lshrrev_b32_e32 v83, 24, v82
	v_cmpx_ne_u64_e32 0x7f800000, v[32:33]
	s_xor_b32 s41, exec_lo, s10
	s_cbranch_execz .LBB2_2818
; %bb.2805:                             ;   in Loop: Header=BB2_2648 Depth=2
	v_and_b32_e32 v32, 0x7fffffff, v82
	v_and_b32_e32 v115, 0x80, v83
                                        ; implicit-def: $vgpr46
	s_mov_b32 s10, exec_lo
	s_delay_alu instid0(VALU_DEP_2)
	v_cmpx_gt_u64_e32 0x43e00001, v[32:33]
	s_xor_b32 s42, exec_lo, s10
	s_cbranch_execz .LBB2_2815
; %bb.2806:                             ;   in Loop: Header=BB2_2648 Depth=2
	v_mov_b32_e32 v46, 0
	s_mov_b32 s43, exec_lo
	v_cmpx_ne_u32_e32 0, v82
	s_cbranch_execz .LBB2_2814
; %bb.2807:                             ;   in Loop: Header=BB2_2648 Depth=2
	v_bfe_u32 v117, v82, 23, 8
	s_delay_alu instid0(VALU_DEP_1) | instskip(SKIP_1) | instid1(VALU_DEP_2)
	v_sub_nc_u32_e32 v32, 0x79, v117
	v_cmp_gt_u32_e32 vcc_lo, 0x7a, v117
	v_cndmask_b32_e32 v32, 0, v32, vcc_lo
	v_cmp_eq_u32_e32 vcc_lo, 0, v117
	s_delay_alu instid0(VALU_DEP_2) | instskip(SKIP_1) | instid1(VALU_DEP_2)
	v_cndmask_b32_e64 v118, v32, 0x78, vcc_lo
	v_and_b32_e32 v32, 0x7fffff, v82
	v_add_nc_u32_e32 v82, 20, v118
	s_delay_alu instid0(VALU_DEP_2) | instskip(SKIP_1) | instid1(VALU_DEP_3)
	v_or_b32_e32 v84, 0x800000, v32
	v_add_nc_u32_e32 v85, 19, v118
	v_lshlrev_b64_e64 v[82:83], v82, -1
	s_delay_alu instid0(VALU_DEP_3) | instskip(NEXT) | instid1(VALU_DEP_3)
	v_cndmask_b32_e32 v32, v84, v32, vcc_lo
	v_lshlrev_b64_e64 v[84:85], v85, 1
	s_delay_alu instid0(VALU_DEP_3) | instskip(NEXT) | instid1(VALU_DEP_3)
	v_bfi_b32 v41, v83, 0, 0
	v_bfi_b32 v40, v82, 0, v32
	v_lshrrev_b64 v[82:83], v118, v[32:33]
	s_delay_alu instid0(VALU_DEP_2) | instskip(NEXT) | instid1(VALU_DEP_2)
	v_cmp_eq_u64_e64 s10, v[40:41], v[84:85]
	v_mov_b64_e32 v[84:85], v[82:83]
	s_and_saveexec_b32 s44, s10
; %bb.2808:                             ;   in Loop: Header=BB2_2648 Depth=2
	v_bfe_u32 v32, v82, 20, 1
	s_delay_alu instid0(VALU_DEP_1) | instskip(NEXT) | instid1(VALU_DEP_1)
	v_add_nc_u64_e32 v[84:85], v[82:83], v[32:33]
	v_add_nc_u64_e32 v[84:85], -1, v[84:85]
; %bb.2809:                             ;   in Loop: Header=BB2_2648 Depth=2
	s_or_b32 exec_lo, exec_lo, s44
	v_add_nc_u32_e32 v32, 0xffffff81, v117
	v_lshrrev_b32_e32 v83, 23, v82
	s_mov_b32 s10, exec_lo
	s_delay_alu instid0(VALU_DEP_2) | instskip(NEXT) | instid1(VALU_DEP_1)
	v_cndmask_b32_e64 v32, v32, 0xffffff82, vcc_lo
	v_add3_u32 v85, v118, v32, v83
	v_and_b32_e32 v32, 0xfffff, v84
                                        ; implicit-def: $vgpr84
	s_delay_alu instid0(VALU_DEP_1) | instskip(NEXT) | instid1(VALU_DEP_1)
	v_dual_add_nc_u32 v117, 6, v85 :: v_dual_add_nc_u32 v32, v32, v82
                                        ; implicit-def: $vgpr82_vgpr83
	v_cmpx_ne_u32_e32 0, v117
	s_xor_b32 s10, exec_lo, s10
; %bb.2810:                             ;   in Loop: Header=BB2_2648 Depth=2
	s_delay_alu instid0(VALU_DEP_2) | instskip(SKIP_1) | instid1(VALU_DEP_1)
	v_cmp_lt_u64_e32 vcc_lo, 0xffffff, v[32:33]
	v_add_nc_u32_e32 v82, 7, v85
	v_cndmask_b32_e32 v84, v117, v82, vcc_lo
	v_cndmask_b32_e64 v82, 0, 1, vcc_lo
	s_delay_alu instid0(VALU_DEP_1)
	v_lshrrev_b64 v[82:83], v82, v[32:33]
; %bb.2811:                             ;   in Loop: Header=BB2_2648 Depth=2
	s_and_not1_saveexec_b32 s10, s10
; %bb.2812:                             ;   in Loop: Header=BB2_2648 Depth=2
	v_mov_b64_e32 v[82:83], v[32:33]
	v_bfe_u32 v84, v32, 23, 1
; %bb.2813:                             ;   in Loop: Header=BB2_2648 Depth=2
	s_or_b32 exec_lo, exec_lo, s10
	s_delay_alu instid0(VALU_DEP_2) | instskip(NEXT) | instid1(VALU_DEP_2)
	v_lshrrev_b64 v[82:83], 20, v[82:83]
	v_cmp_gt_i32_e32 vcc_lo, 16, v84
	v_min_i32_e32 v32, 15, v84
	v_cmp_eq_u32_e64 s10, 0, v84
	s_delay_alu instid0(VALU_DEP_2) | instskip(SKIP_1) | instid1(VALU_DEP_2)
	v_dual_cndmask_b32 v83, 0, v83 :: v_dual_lshlrev_b32 v32, 3, v32
	v_cndmask_b32_e32 v82, 7, v82, vcc_lo
	v_and_b32_e32 v32, 0xf8, v32
	s_delay_alu instid0(VALU_DEP_2) | instskip(NEXT) | instid1(VALU_DEP_2)
	v_cmp_eq_u64_e32 vcc_lo, 0, v[82:83]
	v_and_or_b32 v32, v82, 7, v32
	s_and_b32 s10, s10, vcc_lo
	s_delay_alu instid0(VALU_DEP_1) | instid1(SALU_CYCLE_1)
	v_cndmask_b32_e64 v32, v32, 0, s10
	s_delay_alu instid0(VALU_DEP_1)
	v_or_b32_e32 v46, v32, v115
.LBB2_2814:                             ;   in Loop: Header=BB2_2648 Depth=2
	s_or_b32 exec_lo, exec_lo, s43
                                        ; implicit-def: $vgpr115
.LBB2_2815:                             ;   in Loop: Header=BB2_2648 Depth=2
	s_and_not1_saveexec_b32 s10, s42
; %bb.2816:                             ;   in Loop: Header=BB2_2648 Depth=2
	v_or_b32_e32 v46, 0x7e, v115
; %bb.2817:                             ;   in Loop: Header=BB2_2648 Depth=2
	s_or_b32 exec_lo, exec_lo, s10
                                        ; implicit-def: $vgpr83
.LBB2_2818:                             ;   in Loop: Header=BB2_2648 Depth=2
	s_and_not1_saveexec_b32 s10, s41
; %bb.2819:                             ;   in Loop: Header=BB2_2648 Depth=2
	v_or_b32_e32 v46, 0x7f, v83
; %bb.2820:                             ;   in Loop: Header=BB2_2648 Depth=2
	s_or_b32 exec_lo, exec_lo, s10
	v_mov_b32_e32 v32, 0
	s_mov_b32 s10, exec_lo
	v_cmpx_lt_u64_e64 s[12:13], v[10:11]
	s_cbranch_execz .LBB2_2828
; %bb.2821:                             ;   in Loop: Header=BB2_2648 Depth=2
	v_lshrrev_b32_e32 v10, 24, v11
	v_bfrev_b32_e32 v32, 1
	s_mov_b32 s41, exec_lo
	s_delay_alu instid0(VALU_DEP_2)
	v_cmpx_ne_u32_e32 0x80, v10
	s_cbranch_execz .LBB2_2827
; %bb.2822:                             ;   in Loop: Header=BB2_2648 Depth=2
	v_bfe_u32 v82, v11, 24, 7
	v_mov_b32_e32 v32, 0x7f800001
	s_mov_b32 s42, exec_lo
	s_delay_alu instid0(VALU_DEP_2)
	v_cmpx_ne_u32_e32 0x7f, v82
	s_cbranch_execz .LBB2_2826
; %bb.2823:                             ;   in Loop: Header=BB2_2648 Depth=2
	v_and_b32_e32 v32, 7, v10
	v_lshrrev_b32_e32 v11, 3, v82
	s_mov_b32 s43, exec_lo
	v_cmpx_gt_u32_e32 8, v82
; %bb.2824:                             ;   in Loop: Header=BB2_2648 Depth=2
	s_delay_alu instid0(VALU_DEP_3) | instskip(NEXT) | instid1(VALU_DEP_1)
	v_clz_i32_u32_e32 v11, v32
	v_min_u32_e32 v11, 32, v11
	s_delay_alu instid0(VALU_DEP_1) | instskip(NEXT) | instid1(VALU_DEP_1)
	v_subrev_nc_u32_e32 v82, 28, v11
	v_lshlrev_b64_e32 v[82:83], v82, v[32:33]
	s_delay_alu instid0(VALU_DEP_1)
	v_dual_sub_nc_u32 v11, 29, v11 :: v_dual_bitop2_b32 v32, 7, v82 bitop3:0x40
; %bb.2825:                             ;   in Loop: Header=BB2_2648 Depth=2
	s_or_b32 exec_lo, exec_lo, s43
	s_delay_alu instid0(VALU_DEP_1) | instskip(NEXT) | instid1(VALU_DEP_2)
	v_dual_lshlrev_b32 v10, 24, v10 :: v_dual_lshlrev_b32 v32, 20, v32
	v_lshl_add_u32 v11, v11, 23, 0x3c000000
	s_delay_alu instid0(VALU_DEP_2) | instskip(NEXT) | instid1(VALU_DEP_1)
	v_and_b32_e32 v10, 0x80000000, v10
	v_or3_b32 v32, v32, v10, v11
.LBB2_2826:                             ;   in Loop: Header=BB2_2648 Depth=2
	s_or_b32 exec_lo, exec_lo, s42
.LBB2_2827:                             ;   in Loop: Header=BB2_2648 Depth=2
	s_delay_alu instid0(SALU_CYCLE_1)
	s_or_b32 exec_lo, exec_lo, s41
.LBB2_2828:                             ;   in Loop: Header=BB2_2648 Depth=2
	s_delay_alu instid0(SALU_CYCLE_1) | instskip(NEXT) | instid1(VALU_DEP_1)
	s_or_b32 exec_lo, exec_lo, s10
	v_mul_f32_e32 v10, s11, v32
                                        ; implicit-def: $vgpr47
	s_mov_b32 s10, exec_lo
	s_delay_alu instid0(VALU_DEP_1) | instskip(SKIP_1) | instid1(VALU_DEP_2)
	v_and_b32_e32 v32, 0x7f800000, v10
	v_lshrrev_b32_e32 v11, 24, v10
	v_cmpx_ne_u64_e32 0x7f800000, v[32:33]
	s_xor_b32 s41, exec_lo, s10
	s_cbranch_execz .LBB2_2842
; %bb.2829:                             ;   in Loop: Header=BB2_2648 Depth=2
	v_and_b32_e32 v32, 0x7fffffff, v10
	v_and_b32_e32 v84, 0x80, v11
                                        ; implicit-def: $vgpr47
	s_mov_b32 s10, exec_lo
	s_delay_alu instid0(VALU_DEP_2)
	v_cmpx_gt_u64_e32 0x43e00001, v[32:33]
	s_xor_b32 s42, exec_lo, s10
	s_cbranch_execz .LBB2_2839
; %bb.2830:                             ;   in Loop: Header=BB2_2648 Depth=2
	v_mov_b32_e32 v47, 0
	s_mov_b32 s43, exec_lo
	v_cmpx_ne_u32_e32 0, v10
	s_cbranch_execz .LBB2_2838
; %bb.2831:                             ;   in Loop: Header=BB2_2648 Depth=2
	v_bfe_u32 v85, v10, 23, 8
	v_and_b32_e32 v32, 0x7fffff, v10
	s_delay_alu instid0(VALU_DEP_2) | instskip(NEXT) | instid1(VALU_DEP_2)
	v_cmp_gt_u32_e32 vcc_lo, 0x7a, v85
	v_or_b32_e32 v82, 0x800000, v32
	v_sub_nc_u32_e32 v11, 0x79, v85
	s_delay_alu instid0(VALU_DEP_1) | instskip(SKIP_1) | instid1(VALU_DEP_2)
	v_cndmask_b32_e32 v11, 0, v11, vcc_lo
	v_cmp_eq_u32_e32 vcc_lo, 0, v85
	v_cndmask_b32_e64 v115, v11, 0x78, vcc_lo
	s_delay_alu instid0(VALU_DEP_1) | instskip(SKIP_1) | instid1(VALU_DEP_2)
	v_dual_cndmask_b32 v32, v82, v32, vcc_lo :: v_dual_add_nc_u32 v10, 20, v115
	v_add_nc_u32_e32 v83, 19, v115
	v_lshlrev_b64_e64 v[10:11], v10, -1
	s_delay_alu instid0(VALU_DEP_2) | instskip(NEXT) | instid1(VALU_DEP_2)
	v_lshlrev_b64_e64 v[82:83], v83, 1
	v_bfi_b32 v41, v11, 0, 0
	s_delay_alu instid0(VALU_DEP_3) | instskip(SKIP_1) | instid1(VALU_DEP_2)
	v_bfi_b32 v40, v10, 0, v32
	v_lshrrev_b64 v[10:11], v115, v[32:33]
	v_cmp_eq_u64_e64 s10, v[40:41], v[82:83]
	s_delay_alu instid0(VALU_DEP_2)
	v_mov_b64_e32 v[82:83], v[10:11]
	s_and_saveexec_b32 s44, s10
; %bb.2832:                             ;   in Loop: Header=BB2_2648 Depth=2
	v_bfe_u32 v32, v10, 20, 1
	s_delay_alu instid0(VALU_DEP_1) | instskip(NEXT) | instid1(VALU_DEP_1)
	v_add_nc_u64_e32 v[82:83], v[10:11], v[32:33]
	v_add_nc_u64_e32 v[82:83], -1, v[82:83]
; %bb.2833:                             ;   in Loop: Header=BB2_2648 Depth=2
	s_or_b32 exec_lo, exec_lo, s44
	v_add_nc_u32_e32 v11, 0xffffff81, v85
	v_lshrrev_b32_e32 v32, 23, v10
	s_mov_b32 s10, exec_lo
	s_delay_alu instid0(VALU_DEP_2) | instskip(NEXT) | instid1(VALU_DEP_1)
	v_cndmask_b32_e64 v11, v11, 0xffffff82, vcc_lo
	v_add3_u32 v83, v115, v11, v32
	v_and_b32_e32 v11, 0xfffff, v82
                                        ; implicit-def: $vgpr82
	s_delay_alu instid0(VALU_DEP_1) | instskip(NEXT) | instid1(VALU_DEP_1)
	v_dual_add_nc_u32 v85, 6, v83 :: v_dual_add_nc_u32 v32, v11, v10
                                        ; implicit-def: $vgpr10_vgpr11
	v_cmpx_ne_u32_e32 0, v85
	s_xor_b32 s10, exec_lo, s10
; %bb.2834:                             ;   in Loop: Header=BB2_2648 Depth=2
	s_delay_alu instid0(VALU_DEP_2) | instskip(SKIP_1) | instid1(VALU_DEP_1)
	v_cmp_lt_u64_e32 vcc_lo, 0xffffff, v[32:33]
	v_add_nc_u32_e32 v10, 7, v83
	v_cndmask_b32_e32 v82, v85, v10, vcc_lo
	v_cndmask_b32_e64 v10, 0, 1, vcc_lo
	s_delay_alu instid0(VALU_DEP_1)
	v_lshrrev_b64 v[10:11], v10, v[32:33]
; %bb.2835:                             ;   in Loop: Header=BB2_2648 Depth=2
	s_and_not1_saveexec_b32 s10, s10
; %bb.2836:                             ;   in Loop: Header=BB2_2648 Depth=2
	v_mov_b64_e32 v[10:11], v[32:33]
	v_bfe_u32 v82, v32, 23, 1
; %bb.2837:                             ;   in Loop: Header=BB2_2648 Depth=2
	s_or_b32 exec_lo, exec_lo, s10
	s_delay_alu instid0(VALU_DEP_2) | instskip(NEXT) | instid1(VALU_DEP_2)
	v_lshrrev_b64 v[10:11], 20, v[10:11]
	v_cmp_gt_i32_e32 vcc_lo, 16, v82
	v_min_i32_e32 v32, 15, v82
	v_cmp_eq_u32_e64 s10, 0, v82
	s_delay_alu instid0(VALU_DEP_2) | instskip(SKIP_1) | instid1(VALU_DEP_2)
	v_dual_cndmask_b32 v11, 0, v11 :: v_dual_lshlrev_b32 v32, 3, v32
	v_cndmask_b32_e32 v10, 7, v10, vcc_lo
	v_and_b32_e32 v32, 0xf8, v32
	s_delay_alu instid0(VALU_DEP_2) | instskip(NEXT) | instid1(VALU_DEP_2)
	v_cmp_eq_u64_e32 vcc_lo, 0, v[10:11]
	v_and_or_b32 v10, v10, 7, v32
	s_and_b32 s10, s10, vcc_lo
	s_delay_alu instid0(VALU_DEP_1) | instid1(SALU_CYCLE_1)
	v_cndmask_b32_e64 v10, v10, 0, s10
	s_delay_alu instid0(VALU_DEP_1)
	v_or_b32_e32 v47, v10, v84
.LBB2_2838:                             ;   in Loop: Header=BB2_2648 Depth=2
	s_or_b32 exec_lo, exec_lo, s43
                                        ; implicit-def: $vgpr84
.LBB2_2839:                             ;   in Loop: Header=BB2_2648 Depth=2
	s_and_not1_saveexec_b32 s10, s42
; %bb.2840:                             ;   in Loop: Header=BB2_2648 Depth=2
	v_or_b32_e32 v47, 0x7e, v84
; %bb.2841:                             ;   in Loop: Header=BB2_2648 Depth=2
	s_or_b32 exec_lo, exec_lo, s10
                                        ; implicit-def: $vgpr11
.LBB2_2842:                             ;   in Loop: Header=BB2_2648 Depth=2
	s_and_not1_saveexec_b32 s10, s41
; %bb.2843:                             ;   in Loop: Header=BB2_2648 Depth=2
	v_or_b32_e32 v47, 0x7f, v11
; %bb.2844:                             ;   in Loop: Header=BB2_2648 Depth=2
	s_or_b32 exec_lo, exec_lo, s10
	v_and_b32_e32 v11, 0xff, v12
	v_mov_b32_e32 v10, 0
	s_mov_b32 s10, exec_lo
	s_delay_alu instid0(VALU_DEP_2)
	v_cmpx_ne_u16_e32 0, v11
	s_cbranch_execz .LBB2_2850
; %bb.2845:                             ;   in Loop: Header=BB2_2648 Depth=2
	v_bfrev_b32_e32 v10, 1
	s_mov_b32 s41, exec_lo
	v_cmpx_ne_u16_e32 0x80, v11
	s_cbranch_execz .LBB2_2849
; %bb.2846:                             ;   in Loop: Header=BB2_2648 Depth=2
	v_and_b32_e32 v11, 0x7f, v12
	v_mov_b32_e32 v10, 0x7f800001
	s_mov_b32 s42, exec_lo
	s_delay_alu instid0(VALU_DEP_2)
	v_cmpx_ne_u32_e32 0x7f, v11
	s_cbranch_execz .LBB2_2848
; %bb.2847:                             ;   in Loop: Header=BB2_2648 Depth=2
	v_dual_lshrrev_b32 v32, 3, v11 :: v_dual_bitop2_b32 v10, 7, v12 bitop3:0x40
	v_cmp_gt_u32_e32 vcc_lo, 8, v11
	s_delay_alu instid0(VALU_DEP_2) | instskip(NEXT) | instid1(VALU_DEP_1)
	v_clz_i32_u32_e32 v10, v10
	v_min_u32_e32 v10, 32, v10
	s_delay_alu instid0(VALU_DEP_1) | instskip(SKIP_1) | instid1(VALU_DEP_1)
	v_subrev_nc_u32_e32 v82, 28, v10
	v_sub_nc_u32_e32 v10, 29, v10
	v_cndmask_b32_e32 v32, v32, v10, vcc_lo
	s_delay_alu instid0(VALU_DEP_3) | instskip(NEXT) | instid1(VALU_DEP_1)
	v_cndmask_b32_e32 v10, 0, v82, vcc_lo
	v_lshlrev_b64_e32 v[10:11], v10, v[12:13]
	v_lshlrev_b32_e32 v11, 24, v12
	s_delay_alu instid0(VALU_DEP_1) | instskip(NEXT) | instid1(VALU_DEP_3)
	v_and_b32_e32 v11, 0x80000000, v11
	v_lshlrev_b32_e32 v10, 20, v10
	v_lshl_add_u32 v32, v32, 23, 0x3c000000
	s_delay_alu instid0(VALU_DEP_2) | instskip(NEXT) | instid1(VALU_DEP_1)
	v_and_b32_e32 v10, 0x700000, v10
	v_or3_b32 v10, v10, v11, v32
.LBB2_2848:                             ;   in Loop: Header=BB2_2648 Depth=2
	s_or_b32 exec_lo, exec_lo, s42
.LBB2_2849:                             ;   in Loop: Header=BB2_2648 Depth=2
	s_delay_alu instid0(SALU_CYCLE_1)
	s_or_b32 exec_lo, exec_lo, s41
.LBB2_2850:                             ;   in Loop: Header=BB2_2648 Depth=2
	s_delay_alu instid0(SALU_CYCLE_1) | instskip(NEXT) | instid1(VALU_DEP_1)
	s_or_b32 exec_lo, exec_lo, s10
	v_mul_f32_e32 v10, s11, v10
                                        ; implicit-def: $vgpr118
	s_mov_b32 s10, exec_lo
	s_delay_alu instid0(VALU_DEP_1) | instskip(SKIP_1) | instid1(VALU_DEP_2)
	v_and_b32_e32 v32, 0x7f800000, v10
	v_lshrrev_b32_e32 v11, 24, v10
	v_cmpx_ne_u64_e32 0x7f800000, v[32:33]
	s_xor_b32 s41, exec_lo, s10
	s_cbranch_execz .LBB2_2864
; %bb.2851:                             ;   in Loop: Header=BB2_2648 Depth=2
	v_and_b32_e32 v32, 0x7fffffff, v10
	v_and_b32_e32 v84, 0x80, v11
                                        ; implicit-def: $vgpr118
	s_mov_b32 s10, exec_lo
	s_delay_alu instid0(VALU_DEP_2)
	v_cmpx_gt_u64_e32 0x43e00001, v[32:33]
	s_xor_b32 s42, exec_lo, s10
	s_cbranch_execz .LBB2_2861
; %bb.2852:                             ;   in Loop: Header=BB2_2648 Depth=2
	v_mov_b32_e32 v118, 0
	s_mov_b32 s43, exec_lo
	v_cmpx_ne_u32_e32 0, v10
	s_cbranch_execz .LBB2_2860
; %bb.2853:                             ;   in Loop: Header=BB2_2648 Depth=2
	v_bfe_u32 v85, v10, 23, 8
	v_and_b32_e32 v32, 0x7fffff, v10
	s_delay_alu instid0(VALU_DEP_2) | instskip(NEXT) | instid1(VALU_DEP_2)
	v_cmp_gt_u32_e32 vcc_lo, 0x7a, v85
	v_or_b32_e32 v82, 0x800000, v32
	v_sub_nc_u32_e32 v11, 0x79, v85
	s_delay_alu instid0(VALU_DEP_1) | instskip(SKIP_1) | instid1(VALU_DEP_2)
	v_cndmask_b32_e32 v11, 0, v11, vcc_lo
	v_cmp_eq_u32_e32 vcc_lo, 0, v85
	v_cndmask_b32_e64 v115, v11, 0x78, vcc_lo
	s_delay_alu instid0(VALU_DEP_1) | instskip(SKIP_1) | instid1(VALU_DEP_2)
	v_dual_cndmask_b32 v32, v82, v32, vcc_lo :: v_dual_add_nc_u32 v10, 20, v115
	v_add_nc_u32_e32 v83, 19, v115
	v_lshlrev_b64_e64 v[10:11], v10, -1
	s_delay_alu instid0(VALU_DEP_2) | instskip(NEXT) | instid1(VALU_DEP_2)
	v_lshlrev_b64_e64 v[82:83], v83, 1
	v_bfi_b32 v41, v11, 0, 0
	s_delay_alu instid0(VALU_DEP_3) | instskip(SKIP_1) | instid1(VALU_DEP_2)
	v_bfi_b32 v40, v10, 0, v32
	v_lshrrev_b64 v[10:11], v115, v[32:33]
	v_cmp_eq_u64_e64 s10, v[40:41], v[82:83]
	s_delay_alu instid0(VALU_DEP_2)
	v_mov_b64_e32 v[82:83], v[10:11]
	s_and_saveexec_b32 s44, s10
; %bb.2854:                             ;   in Loop: Header=BB2_2648 Depth=2
	v_bfe_u32 v32, v10, 20, 1
	s_delay_alu instid0(VALU_DEP_1) | instskip(NEXT) | instid1(VALU_DEP_1)
	v_add_nc_u64_e32 v[82:83], v[10:11], v[32:33]
	v_add_nc_u64_e32 v[82:83], -1, v[82:83]
; %bb.2855:                             ;   in Loop: Header=BB2_2648 Depth=2
	s_or_b32 exec_lo, exec_lo, s44
	v_add_nc_u32_e32 v11, 0xffffff81, v85
	v_lshrrev_b32_e32 v32, 23, v10
	s_mov_b32 s10, exec_lo
	s_delay_alu instid0(VALU_DEP_2) | instskip(NEXT) | instid1(VALU_DEP_1)
	v_cndmask_b32_e64 v11, v11, 0xffffff82, vcc_lo
	v_add3_u32 v83, v115, v11, v32
	v_and_b32_e32 v11, 0xfffff, v82
                                        ; implicit-def: $vgpr82
	s_delay_alu instid0(VALU_DEP_1) | instskip(NEXT) | instid1(VALU_DEP_1)
	v_dual_add_nc_u32 v85, 6, v83 :: v_dual_add_nc_u32 v32, v11, v10
                                        ; implicit-def: $vgpr10_vgpr11
	v_cmpx_ne_u32_e32 0, v85
	s_xor_b32 s10, exec_lo, s10
; %bb.2856:                             ;   in Loop: Header=BB2_2648 Depth=2
	s_delay_alu instid0(VALU_DEP_2) | instskip(SKIP_1) | instid1(VALU_DEP_1)
	v_cmp_lt_u64_e32 vcc_lo, 0xffffff, v[32:33]
	v_add_nc_u32_e32 v10, 7, v83
	v_cndmask_b32_e32 v82, v85, v10, vcc_lo
	v_cndmask_b32_e64 v10, 0, 1, vcc_lo
	s_delay_alu instid0(VALU_DEP_1)
	v_lshrrev_b64 v[10:11], v10, v[32:33]
; %bb.2857:                             ;   in Loop: Header=BB2_2648 Depth=2
	s_and_not1_saveexec_b32 s10, s10
; %bb.2858:                             ;   in Loop: Header=BB2_2648 Depth=2
	v_mov_b64_e32 v[10:11], v[32:33]
	v_bfe_u32 v82, v32, 23, 1
; %bb.2859:                             ;   in Loop: Header=BB2_2648 Depth=2
	s_or_b32 exec_lo, exec_lo, s10
	s_delay_alu instid0(VALU_DEP_2) | instskip(NEXT) | instid1(VALU_DEP_2)
	v_lshrrev_b64 v[10:11], 20, v[10:11]
	v_cmp_gt_i32_e32 vcc_lo, 16, v82
	v_min_i32_e32 v32, 15, v82
	v_cmp_eq_u32_e64 s10, 0, v82
	s_delay_alu instid0(VALU_DEP_2) | instskip(SKIP_1) | instid1(VALU_DEP_2)
	v_dual_cndmask_b32 v11, 0, v11 :: v_dual_lshlrev_b32 v32, 3, v32
	v_cndmask_b32_e32 v10, 7, v10, vcc_lo
	v_and_b32_e32 v32, 0xf8, v32
	s_delay_alu instid0(VALU_DEP_2) | instskip(NEXT) | instid1(VALU_DEP_2)
	v_cmp_eq_u64_e32 vcc_lo, 0, v[10:11]
	v_and_or_b32 v10, v10, 7, v32
	s_and_b32 s10, s10, vcc_lo
	s_delay_alu instid0(VALU_DEP_1) | instid1(SALU_CYCLE_1)
	v_cndmask_b32_e64 v10, v10, 0, s10
	s_delay_alu instid0(VALU_DEP_1)
	v_or_b32_e32 v118, v10, v84
.LBB2_2860:                             ;   in Loop: Header=BB2_2648 Depth=2
	s_or_b32 exec_lo, exec_lo, s43
                                        ; implicit-def: $vgpr84
.LBB2_2861:                             ;   in Loop: Header=BB2_2648 Depth=2
	s_and_not1_saveexec_b32 s10, s42
; %bb.2862:                             ;   in Loop: Header=BB2_2648 Depth=2
	v_or_b32_e32 v118, 0x7e, v84
; %bb.2863:                             ;   in Loop: Header=BB2_2648 Depth=2
	s_or_b32 exec_lo, exec_lo, s10
                                        ; implicit-def: $vgpr11
.LBB2_2864:                             ;   in Loop: Header=BB2_2648 Depth=2
	s_and_not1_saveexec_b32 s10, s41
; %bb.2865:                             ;   in Loop: Header=BB2_2648 Depth=2
	v_or_b32_e32 v118, 0x7f, v11
; %bb.2866:                             ;   in Loop: Header=BB2_2648 Depth=2
	s_or_b32 exec_lo, exec_lo, s10
	v_lshrrev_b16 v11, 8, v12
	v_mov_b32_e32 v10, 0
	s_mov_b32 s10, exec_lo
	s_delay_alu instid0(VALU_DEP_2)
	v_cmpx_ne_u16_e32 0, v11
	s_cbranch_execz .LBB2_2874
; %bb.2867:                             ;   in Loop: Header=BB2_2648 Depth=2
	v_bfrev_b32_e32 v10, 1
	s_mov_b32 s41, exec_lo
	v_cmpx_ne_u16_e32 0x80, v11
	s_cbranch_execz .LBB2_2873
; %bb.2868:                             ;   in Loop: Header=BB2_2648 Depth=2
	v_and_b32_e32 v32, 0xffff, v11
	v_mov_b32_e32 v10, 0x7f800001
	s_mov_b32 s42, exec_lo
	s_delay_alu instid0(VALU_DEP_2) | instskip(NEXT) | instid1(VALU_DEP_1)
	v_and_b32_e32 v11, 0x7f, v32
	v_cmpx_ne_u32_e32 0x7f, v11
	s_cbranch_execz .LBB2_2872
; %bb.2869:                             ;   in Loop: Header=BB2_2648 Depth=2
	v_dual_lshrrev_b32 v10, 3, v11 :: v_dual_bitop2_b32 v32, 7, v32 bitop3:0x40
	s_mov_b32 s43, exec_lo
	v_cmpx_gt_u32_e32 8, v11
; %bb.2870:                             ;   in Loop: Header=BB2_2648 Depth=2
	s_delay_alu instid0(VALU_DEP_2) | instskip(NEXT) | instid1(VALU_DEP_1)
	v_clz_i32_u32_e32 v10, v32
	v_min_u32_e32 v10, 32, v10
	s_delay_alu instid0(VALU_DEP_1) | instskip(SKIP_1) | instid1(VALU_DEP_2)
	v_subrev_nc_u32_e32 v11, 28, v10
	v_sub_nc_u32_e32 v10, 29, v10
	v_lshlrev_b64_e32 v[82:83], v11, v[32:33]
	s_delay_alu instid0(VALU_DEP_1)
	v_and_b32_e32 v32, 7, v82
; %bb.2871:                             ;   in Loop: Header=BB2_2648 Depth=2
	s_or_b32 exec_lo, exec_lo, s43
	v_lshlrev_b32_e32 v11, 16, v12
	s_delay_alu instid0(VALU_DEP_2) | instskip(SKIP_1) | instid1(VALU_DEP_3)
	v_lshlrev_b32_e32 v32, 20, v32
	v_lshl_add_u32 v10, v10, 23, 0x3c000000
	v_and_b32_e32 v11, 0x80000000, v11
	s_delay_alu instid0(VALU_DEP_1)
	v_or3_b32 v10, v32, v11, v10
.LBB2_2872:                             ;   in Loop: Header=BB2_2648 Depth=2
	s_or_b32 exec_lo, exec_lo, s42
.LBB2_2873:                             ;   in Loop: Header=BB2_2648 Depth=2
	s_delay_alu instid0(SALU_CYCLE_1)
	s_or_b32 exec_lo, exec_lo, s41
.LBB2_2874:                             ;   in Loop: Header=BB2_2648 Depth=2
	s_delay_alu instid0(SALU_CYCLE_1) | instskip(NEXT) | instid1(VALU_DEP_1)
	s_or_b32 exec_lo, exec_lo, s10
	v_mul_f32_e32 v10, s11, v10
                                        ; implicit-def: $vgpr41
	s_mov_b32 s10, exec_lo
	s_delay_alu instid0(VALU_DEP_1) | instskip(SKIP_1) | instid1(VALU_DEP_2)
	v_and_b32_e32 v32, 0x7f800000, v10
	v_lshrrev_b32_e32 v11, 24, v10
	v_cmpx_ne_u64_e32 0x7f800000, v[32:33]
	s_xor_b32 s41, exec_lo, s10
	s_cbranch_execz .LBB2_2888
; %bb.2875:                             ;   in Loop: Header=BB2_2648 Depth=2
	v_and_b32_e32 v32, 0x7fffffff, v10
	v_and_b32_e32 v84, 0x80, v11
                                        ; implicit-def: $vgpr41
	s_mov_b32 s10, exec_lo
	s_delay_alu instid0(VALU_DEP_2)
	v_cmpx_gt_u64_e32 0x43e00001, v[32:33]
	s_xor_b32 s42, exec_lo, s10
	s_cbranch_execz .LBB2_2885
; %bb.2876:                             ;   in Loop: Header=BB2_2648 Depth=2
	v_mov_b32_e32 v41, 0
	s_mov_b32 s43, exec_lo
	v_cmpx_ne_u32_e32 0, v10
	s_cbranch_execz .LBB2_2884
; %bb.2877:                             ;   in Loop: Header=BB2_2648 Depth=2
	v_bfe_u32 v85, v10, 23, 8
	v_and_b32_e32 v32, 0x7fffff, v10
	s_delay_alu instid0(VALU_DEP_2) | instskip(NEXT) | instid1(VALU_DEP_2)
	v_cmp_gt_u32_e32 vcc_lo, 0x7a, v85
	v_or_b32_e32 v82, 0x800000, v32
	v_sub_nc_u32_e32 v11, 0x79, v85
	s_delay_alu instid0(VALU_DEP_1) | instskip(SKIP_1) | instid1(VALU_DEP_2)
	v_cndmask_b32_e32 v11, 0, v11, vcc_lo
	v_cmp_eq_u32_e32 vcc_lo, 0, v85
	v_cndmask_b32_e64 v115, v11, 0x78, vcc_lo
	s_delay_alu instid0(VALU_DEP_1) | instskip(SKIP_1) | instid1(VALU_DEP_2)
	v_dual_cndmask_b32 v32, v82, v32, vcc_lo :: v_dual_add_nc_u32 v10, 20, v115
	v_add_nc_u32_e32 v83, 19, v115
	v_lshlrev_b64_e64 v[10:11], v10, -1
	s_delay_alu instid0(VALU_DEP_2) | instskip(NEXT) | instid1(VALU_DEP_2)
	v_lshlrev_b64_e64 v[82:83], v83, 1
	v_bfi_b32 v41, v11, 0, 0
	s_delay_alu instid0(VALU_DEP_3) | instskip(SKIP_1) | instid1(VALU_DEP_2)
	v_bfi_b32 v40, v10, 0, v32
	v_lshrrev_b64 v[10:11], v115, v[32:33]
	v_cmp_eq_u64_e64 s10, v[40:41], v[82:83]
	s_delay_alu instid0(VALU_DEP_2)
	v_mov_b64_e32 v[82:83], v[10:11]
	s_and_saveexec_b32 s44, s10
; %bb.2878:                             ;   in Loop: Header=BB2_2648 Depth=2
	v_bfe_u32 v32, v10, 20, 1
	s_delay_alu instid0(VALU_DEP_1) | instskip(NEXT) | instid1(VALU_DEP_1)
	v_add_nc_u64_e32 v[82:83], v[10:11], v[32:33]
	v_add_nc_u64_e32 v[82:83], -1, v[82:83]
; %bb.2879:                             ;   in Loop: Header=BB2_2648 Depth=2
	s_or_b32 exec_lo, exec_lo, s44
	v_add_nc_u32_e32 v11, 0xffffff81, v85
	v_lshrrev_b32_e32 v32, 23, v10
	s_mov_b32 s10, exec_lo
	s_delay_alu instid0(VALU_DEP_2) | instskip(NEXT) | instid1(VALU_DEP_1)
	v_cndmask_b32_e64 v11, v11, 0xffffff82, vcc_lo
	v_add3_u32 v83, v115, v11, v32
	v_and_b32_e32 v11, 0xfffff, v82
                                        ; implicit-def: $vgpr82
	s_delay_alu instid0(VALU_DEP_1) | instskip(NEXT) | instid1(VALU_DEP_1)
	v_dual_add_nc_u32 v85, 6, v83 :: v_dual_add_nc_u32 v32, v11, v10
                                        ; implicit-def: $vgpr10_vgpr11
	v_cmpx_ne_u32_e32 0, v85
	s_xor_b32 s10, exec_lo, s10
; %bb.2880:                             ;   in Loop: Header=BB2_2648 Depth=2
	s_delay_alu instid0(VALU_DEP_2) | instskip(SKIP_1) | instid1(VALU_DEP_1)
	v_cmp_lt_u64_e32 vcc_lo, 0xffffff, v[32:33]
	v_add_nc_u32_e32 v10, 7, v83
	v_cndmask_b32_e32 v82, v85, v10, vcc_lo
	v_cndmask_b32_e64 v10, 0, 1, vcc_lo
	s_delay_alu instid0(VALU_DEP_1)
	v_lshrrev_b64 v[10:11], v10, v[32:33]
; %bb.2881:                             ;   in Loop: Header=BB2_2648 Depth=2
	s_and_not1_saveexec_b32 s10, s10
; %bb.2882:                             ;   in Loop: Header=BB2_2648 Depth=2
	v_mov_b64_e32 v[10:11], v[32:33]
	v_bfe_u32 v82, v32, 23, 1
; %bb.2883:                             ;   in Loop: Header=BB2_2648 Depth=2
	s_or_b32 exec_lo, exec_lo, s10
	s_delay_alu instid0(VALU_DEP_2) | instskip(NEXT) | instid1(VALU_DEP_2)
	v_lshrrev_b64 v[10:11], 20, v[10:11]
	v_cmp_gt_i32_e32 vcc_lo, 16, v82
	v_min_i32_e32 v32, 15, v82
	v_cmp_eq_u32_e64 s10, 0, v82
	s_delay_alu instid0(VALU_DEP_2) | instskip(SKIP_1) | instid1(VALU_DEP_2)
	v_dual_cndmask_b32 v11, 0, v11 :: v_dual_lshlrev_b32 v32, 3, v32
	v_cndmask_b32_e32 v10, 7, v10, vcc_lo
	v_and_b32_e32 v32, 0xf8, v32
	s_delay_alu instid0(VALU_DEP_2) | instskip(NEXT) | instid1(VALU_DEP_2)
	v_cmp_eq_u64_e32 vcc_lo, 0, v[10:11]
	v_and_or_b32 v10, v10, 7, v32
	s_and_b32 s10, s10, vcc_lo
	s_delay_alu instid0(VALU_DEP_1) | instid1(SALU_CYCLE_1)
	v_cndmask_b32_e64 v10, v10, 0, s10
	s_delay_alu instid0(VALU_DEP_1)
	v_or_b32_e32 v41, v10, v84
.LBB2_2884:                             ;   in Loop: Header=BB2_2648 Depth=2
	s_or_b32 exec_lo, exec_lo, s43
                                        ; implicit-def: $vgpr84
.LBB2_2885:                             ;   in Loop: Header=BB2_2648 Depth=2
	s_and_not1_saveexec_b32 s10, s42
; %bb.2886:                             ;   in Loop: Header=BB2_2648 Depth=2
	v_or_b32_e32 v41, 0x7e, v84
; %bb.2887:                             ;   in Loop: Header=BB2_2648 Depth=2
	s_or_b32 exec_lo, exec_lo, s10
                                        ; implicit-def: $vgpr11
.LBB2_2888:                             ;   in Loop: Header=BB2_2648 Depth=2
	s_and_not1_saveexec_b32 s10, s41
; %bb.2889:                             ;   in Loop: Header=BB2_2648 Depth=2
	v_or_b32_e32 v41, 0x7f, v11
; %bb.2890:                             ;   in Loop: Header=BB2_2648 Depth=2
	s_or_b32 exec_lo, exec_lo, s10
	v_dual_mov_b32 v11, 0 :: v_dual_lshrrev_b32 v10, 16, v12
	s_mov_b32 s10, exec_lo
	s_delay_alu instid0(VALU_DEP_1) | instskip(NEXT) | instid1(VALU_DEP_1)
	v_and_b32_e32 v32, 0xff, v10
	v_cmpx_ne_u16_e32 0, v32
	s_cbranch_execz .LBB2_2898
; %bb.2891:                             ;   in Loop: Header=BB2_2648 Depth=2
	v_bfrev_b32_e32 v11, 1
	s_mov_b32 s41, exec_lo
	v_cmpx_ne_u16_e32 0x80, v32
	s_cbranch_execz .LBB2_2897
; %bb.2892:                             ;   in Loop: Header=BB2_2648 Depth=2
	v_bfe_u32 v82, v12, 16, 7
	v_mov_b32_e32 v11, 0x7f800001
	s_mov_b32 s42, exec_lo
	s_delay_alu instid0(VALU_DEP_2)
	v_cmpx_ne_u32_e32 0x7f, v82
	s_cbranch_execz .LBB2_2896
; %bb.2893:                             ;   in Loop: Header=BB2_2648 Depth=2
	v_and_b32_e32 v32, 7, v10
	v_lshrrev_b32_e32 v11, 3, v82
	s_mov_b32 s43, exec_lo
	v_cmpx_gt_u32_e32 8, v82
; %bb.2894:                             ;   in Loop: Header=BB2_2648 Depth=2
	s_delay_alu instid0(VALU_DEP_3) | instskip(NEXT) | instid1(VALU_DEP_1)
	v_clz_i32_u32_e32 v11, v32
	v_min_u32_e32 v11, 32, v11
	s_delay_alu instid0(VALU_DEP_1) | instskip(NEXT) | instid1(VALU_DEP_1)
	v_subrev_nc_u32_e32 v82, 28, v11
	v_lshlrev_b64_e32 v[82:83], v82, v[32:33]
	s_delay_alu instid0(VALU_DEP_1)
	v_dual_sub_nc_u32 v11, 29, v11 :: v_dual_bitop2_b32 v32, 7, v82 bitop3:0x40
; %bb.2895:                             ;   in Loop: Header=BB2_2648 Depth=2
	s_or_b32 exec_lo, exec_lo, s43
	s_delay_alu instid0(VALU_DEP_1) | instskip(NEXT) | instid1(VALU_DEP_2)
	v_dual_lshlrev_b32 v10, 24, v10 :: v_dual_lshlrev_b32 v32, 20, v32
	v_lshl_add_u32 v11, v11, 23, 0x3c000000
	s_delay_alu instid0(VALU_DEP_2) | instskip(NEXT) | instid1(VALU_DEP_1)
	v_and_b32_e32 v10, 0x80000000, v10
	v_or3_b32 v11, v32, v10, v11
.LBB2_2896:                             ;   in Loop: Header=BB2_2648 Depth=2
	s_or_b32 exec_lo, exec_lo, s42
.LBB2_2897:                             ;   in Loop: Header=BB2_2648 Depth=2
	s_delay_alu instid0(SALU_CYCLE_1)
	s_or_b32 exec_lo, exec_lo, s41
.LBB2_2898:                             ;   in Loop: Header=BB2_2648 Depth=2
	s_delay_alu instid0(SALU_CYCLE_1) | instskip(NEXT) | instid1(VALU_DEP_1)
	s_or_b32 exec_lo, exec_lo, s10
	v_mul_f32_e32 v10, s11, v11
                                        ; implicit-def: $vgpr44
	s_mov_b32 s10, exec_lo
	s_delay_alu instid0(VALU_DEP_1) | instskip(SKIP_1) | instid1(VALU_DEP_2)
	v_and_b32_e32 v32, 0x7f800000, v10
	v_lshrrev_b32_e32 v11, 24, v10
	v_cmpx_ne_u64_e32 0x7f800000, v[32:33]
	s_xor_b32 s41, exec_lo, s10
	s_cbranch_execz .LBB2_2912
; %bb.2899:                             ;   in Loop: Header=BB2_2648 Depth=2
	v_and_b32_e32 v32, 0x7fffffff, v10
	v_and_b32_e32 v84, 0x80, v11
                                        ; implicit-def: $vgpr44
	s_mov_b32 s10, exec_lo
	s_delay_alu instid0(VALU_DEP_2)
	v_cmpx_gt_u64_e32 0x43e00001, v[32:33]
	s_xor_b32 s42, exec_lo, s10
	s_cbranch_execz .LBB2_2909
; %bb.2900:                             ;   in Loop: Header=BB2_2648 Depth=2
	v_mov_b32_e32 v44, 0
	s_mov_b32 s43, exec_lo
	v_cmpx_ne_u32_e32 0, v10
	s_cbranch_execz .LBB2_2908
; %bb.2901:                             ;   in Loop: Header=BB2_2648 Depth=2
	v_bfe_u32 v85, v10, 23, 8
	v_and_b32_e32 v32, 0x7fffff, v10
	s_delay_alu instid0(VALU_DEP_2) | instskip(NEXT) | instid1(VALU_DEP_2)
	v_cmp_gt_u32_e32 vcc_lo, 0x7a, v85
	v_or_b32_e32 v82, 0x800000, v32
	v_sub_nc_u32_e32 v11, 0x79, v85
	s_delay_alu instid0(VALU_DEP_1) | instskip(SKIP_1) | instid1(VALU_DEP_2)
	v_cndmask_b32_e32 v11, 0, v11, vcc_lo
	v_cmp_eq_u32_e32 vcc_lo, 0, v85
	v_cndmask_b32_e64 v115, v11, 0x78, vcc_lo
	s_delay_alu instid0(VALU_DEP_1) | instskip(SKIP_1) | instid1(VALU_DEP_2)
	v_dual_cndmask_b32 v32, v82, v32, vcc_lo :: v_dual_add_nc_u32 v10, 20, v115
	v_add_nc_u32_e32 v83, 19, v115
	v_lshlrev_b64_e64 v[10:11], v10, -1
	s_delay_alu instid0(VALU_DEP_2) | instskip(NEXT) | instid1(VALU_DEP_2)
	v_lshlrev_b64_e64 v[82:83], v83, 1
	v_bfi_b32 v43, v11, 0, 0
	s_delay_alu instid0(VALU_DEP_3) | instskip(SKIP_1) | instid1(VALU_DEP_2)
	v_bfi_b32 v42, v10, 0, v32
	v_lshrrev_b64 v[10:11], v115, v[32:33]
	v_cmp_eq_u64_e64 s10, v[42:43], v[82:83]
	s_delay_alu instid0(VALU_DEP_2)
	v_mov_b64_e32 v[82:83], v[10:11]
	s_and_saveexec_b32 s44, s10
; %bb.2902:                             ;   in Loop: Header=BB2_2648 Depth=2
	v_bfe_u32 v32, v10, 20, 1
	s_delay_alu instid0(VALU_DEP_1) | instskip(NEXT) | instid1(VALU_DEP_1)
	v_add_nc_u64_e32 v[82:83], v[10:11], v[32:33]
	v_add_nc_u64_e32 v[82:83], -1, v[82:83]
; %bb.2903:                             ;   in Loop: Header=BB2_2648 Depth=2
	s_or_b32 exec_lo, exec_lo, s44
	v_add_nc_u32_e32 v11, 0xffffff81, v85
	v_lshrrev_b32_e32 v32, 23, v10
	s_mov_b32 s10, exec_lo
	s_delay_alu instid0(VALU_DEP_2) | instskip(NEXT) | instid1(VALU_DEP_1)
	v_cndmask_b32_e64 v11, v11, 0xffffff82, vcc_lo
	v_add3_u32 v83, v115, v11, v32
	v_and_b32_e32 v11, 0xfffff, v82
                                        ; implicit-def: $vgpr82
	s_delay_alu instid0(VALU_DEP_1) | instskip(NEXT) | instid1(VALU_DEP_1)
	v_dual_add_nc_u32 v85, 6, v83 :: v_dual_add_nc_u32 v32, v11, v10
                                        ; implicit-def: $vgpr10_vgpr11
	v_cmpx_ne_u32_e32 0, v85
	s_xor_b32 s10, exec_lo, s10
; %bb.2904:                             ;   in Loop: Header=BB2_2648 Depth=2
	s_delay_alu instid0(VALU_DEP_2) | instskip(SKIP_1) | instid1(VALU_DEP_1)
	v_cmp_lt_u64_e32 vcc_lo, 0xffffff, v[32:33]
	v_add_nc_u32_e32 v10, 7, v83
	v_cndmask_b32_e32 v82, v85, v10, vcc_lo
	v_cndmask_b32_e64 v10, 0, 1, vcc_lo
	s_delay_alu instid0(VALU_DEP_1)
	v_lshrrev_b64 v[10:11], v10, v[32:33]
; %bb.2905:                             ;   in Loop: Header=BB2_2648 Depth=2
	s_and_not1_saveexec_b32 s10, s10
; %bb.2906:                             ;   in Loop: Header=BB2_2648 Depth=2
	v_mov_b64_e32 v[10:11], v[32:33]
	v_bfe_u32 v82, v32, 23, 1
; %bb.2907:                             ;   in Loop: Header=BB2_2648 Depth=2
	s_or_b32 exec_lo, exec_lo, s10
	s_delay_alu instid0(VALU_DEP_2) | instskip(NEXT) | instid1(VALU_DEP_2)
	v_lshrrev_b64 v[10:11], 20, v[10:11]
	v_cmp_gt_i32_e32 vcc_lo, 16, v82
	v_min_i32_e32 v32, 15, v82
	v_cmp_eq_u32_e64 s10, 0, v82
	s_delay_alu instid0(VALU_DEP_2) | instskip(SKIP_1) | instid1(VALU_DEP_2)
	v_dual_cndmask_b32 v11, 0, v11 :: v_dual_lshlrev_b32 v32, 3, v32
	v_cndmask_b32_e32 v10, 7, v10, vcc_lo
	v_and_b32_e32 v32, 0xf8, v32
	s_delay_alu instid0(VALU_DEP_2) | instskip(NEXT) | instid1(VALU_DEP_2)
	v_cmp_eq_u64_e32 vcc_lo, 0, v[10:11]
	v_and_or_b32 v10, v10, 7, v32
	s_and_b32 s10, s10, vcc_lo
	s_delay_alu instid0(VALU_DEP_1) | instid1(SALU_CYCLE_1)
	v_cndmask_b32_e64 v10, v10, 0, s10
	s_delay_alu instid0(VALU_DEP_1)
	v_or_b32_e32 v44, v10, v84
.LBB2_2908:                             ;   in Loop: Header=BB2_2648 Depth=2
	s_or_b32 exec_lo, exec_lo, s43
                                        ; implicit-def: $vgpr84
.LBB2_2909:                             ;   in Loop: Header=BB2_2648 Depth=2
	s_and_not1_saveexec_b32 s10, s42
; %bb.2910:                             ;   in Loop: Header=BB2_2648 Depth=2
	v_or_b32_e32 v44, 0x7e, v84
; %bb.2911:                             ;   in Loop: Header=BB2_2648 Depth=2
	s_or_b32 exec_lo, exec_lo, s10
                                        ; implicit-def: $vgpr11
.LBB2_2912:                             ;   in Loop: Header=BB2_2648 Depth=2
	s_and_not1_saveexec_b32 s10, s41
; %bb.2913:                             ;   in Loop: Header=BB2_2648 Depth=2
	v_or_b32_e32 v44, 0x7f, v11
; %bb.2914:                             ;   in Loop: Header=BB2_2648 Depth=2
	s_or_b32 exec_lo, exec_lo, s10
	v_mov_b32_e32 v11, 0
	s_mov_b32 s10, exec_lo
	v_cmpx_lt_u32_e32 0xffffff, v12
	s_cbranch_execz .LBB2_2922
; %bb.2915:                             ;   in Loop: Header=BB2_2648 Depth=2
	v_lshrrev_b32_e32 v10, 24, v12
	v_bfrev_b32_e32 v11, 1
	s_mov_b32 s41, exec_lo
	s_delay_alu instid0(VALU_DEP_2)
	v_cmpx_ne_u32_e32 0x80, v10
	s_cbranch_execz .LBB2_2921
; %bb.2916:                             ;   in Loop: Header=BB2_2648 Depth=2
	v_bfe_u32 v82, v12, 24, 7
	v_mov_b32_e32 v11, 0x7f800001
	s_mov_b32 s42, exec_lo
	s_delay_alu instid0(VALU_DEP_2)
	v_cmpx_ne_u32_e32 0x7f, v82
	s_cbranch_execz .LBB2_2920
; %bb.2917:                             ;   in Loop: Header=BB2_2648 Depth=2
	v_and_b32_e32 v32, 7, v10
	v_lshrrev_b32_e32 v11, 3, v82
	s_mov_b32 s43, exec_lo
	v_cmpx_gt_u32_e32 8, v82
; %bb.2918:                             ;   in Loop: Header=BB2_2648 Depth=2
	s_delay_alu instid0(VALU_DEP_3) | instskip(NEXT) | instid1(VALU_DEP_1)
	v_clz_i32_u32_e32 v11, v32
	v_min_u32_e32 v11, 32, v11
	s_delay_alu instid0(VALU_DEP_1) | instskip(NEXT) | instid1(VALU_DEP_1)
	v_subrev_nc_u32_e32 v82, 28, v11
	v_lshlrev_b64_e32 v[82:83], v82, v[32:33]
	s_delay_alu instid0(VALU_DEP_1)
	v_dual_sub_nc_u32 v11, 29, v11 :: v_dual_bitop2_b32 v32, 7, v82 bitop3:0x40
; %bb.2919:                             ;   in Loop: Header=BB2_2648 Depth=2
	s_or_b32 exec_lo, exec_lo, s43
	s_delay_alu instid0(VALU_DEP_1) | instskip(NEXT) | instid1(VALU_DEP_2)
	v_dual_lshlrev_b32 v10, 24, v10 :: v_dual_lshlrev_b32 v32, 20, v32
	v_lshl_add_u32 v11, v11, 23, 0x3c000000
	s_delay_alu instid0(VALU_DEP_2) | instskip(NEXT) | instid1(VALU_DEP_1)
	v_and_b32_e32 v10, 0x80000000, v10
	v_or3_b32 v11, v32, v10, v11
.LBB2_2920:                             ;   in Loop: Header=BB2_2648 Depth=2
	s_or_b32 exec_lo, exec_lo, s42
.LBB2_2921:                             ;   in Loop: Header=BB2_2648 Depth=2
	s_delay_alu instid0(SALU_CYCLE_1)
	s_or_b32 exec_lo, exec_lo, s41
.LBB2_2922:                             ;   in Loop: Header=BB2_2648 Depth=2
	s_delay_alu instid0(SALU_CYCLE_1) | instskip(NEXT) | instid1(VALU_DEP_1)
	s_or_b32 exec_lo, exec_lo, s10
	v_mul_f32_e32 v10, s11, v11
                                        ; implicit-def: $vgpr45
	s_mov_b32 s10, exec_lo
	s_delay_alu instid0(VALU_DEP_1) | instskip(SKIP_1) | instid1(VALU_DEP_2)
	v_and_b32_e32 v32, 0x7f800000, v10
	v_lshrrev_b32_e32 v11, 24, v10
	v_cmpx_ne_u64_e32 0x7f800000, v[32:33]
	s_xor_b32 s41, exec_lo, s10
	s_cbranch_execz .LBB2_2936
; %bb.2923:                             ;   in Loop: Header=BB2_2648 Depth=2
	v_and_b32_e32 v32, 0x7fffffff, v10
	v_and_b32_e32 v84, 0x80, v11
                                        ; implicit-def: $vgpr45
	s_mov_b32 s10, exec_lo
	s_delay_alu instid0(VALU_DEP_2)
	v_cmpx_gt_u64_e32 0x43e00001, v[32:33]
	s_xor_b32 s42, exec_lo, s10
	s_cbranch_execz .LBB2_2933
; %bb.2924:                             ;   in Loop: Header=BB2_2648 Depth=2
	v_mov_b32_e32 v45, 0
	s_mov_b32 s43, exec_lo
	v_cmpx_ne_u32_e32 0, v10
	s_cbranch_execz .LBB2_2932
; %bb.2925:                             ;   in Loop: Header=BB2_2648 Depth=2
	v_bfe_u32 v85, v10, 23, 8
	v_and_b32_e32 v32, 0x7fffff, v10
	s_delay_alu instid0(VALU_DEP_2) | instskip(NEXT) | instid1(VALU_DEP_2)
	v_cmp_gt_u32_e32 vcc_lo, 0x7a, v85
	v_or_b32_e32 v82, 0x800000, v32
	v_sub_nc_u32_e32 v11, 0x79, v85
	s_delay_alu instid0(VALU_DEP_1) | instskip(SKIP_1) | instid1(VALU_DEP_2)
	v_cndmask_b32_e32 v11, 0, v11, vcc_lo
	v_cmp_eq_u32_e32 vcc_lo, 0, v85
	v_cndmask_b32_e64 v115, v11, 0x78, vcc_lo
	s_delay_alu instid0(VALU_DEP_1) | instskip(SKIP_1) | instid1(VALU_DEP_2)
	v_dual_cndmask_b32 v32, v82, v32, vcc_lo :: v_dual_add_nc_u32 v10, 20, v115
	v_add_nc_u32_e32 v83, 19, v115
	v_lshlrev_b64_e64 v[10:11], v10, -1
	s_delay_alu instid0(VALU_DEP_2) | instskip(NEXT) | instid1(VALU_DEP_2)
	v_lshlrev_b64_e64 v[82:83], v83, 1
	v_bfi_b32 v43, v11, 0, 0
	s_delay_alu instid0(VALU_DEP_3) | instskip(SKIP_1) | instid1(VALU_DEP_2)
	v_bfi_b32 v42, v10, 0, v32
	v_lshrrev_b64 v[10:11], v115, v[32:33]
	v_cmp_eq_u64_e64 s10, v[42:43], v[82:83]
	s_delay_alu instid0(VALU_DEP_2)
	v_mov_b64_e32 v[82:83], v[10:11]
	s_and_saveexec_b32 s44, s10
; %bb.2926:                             ;   in Loop: Header=BB2_2648 Depth=2
	v_bfe_u32 v32, v10, 20, 1
	s_delay_alu instid0(VALU_DEP_1) | instskip(NEXT) | instid1(VALU_DEP_1)
	v_add_nc_u64_e32 v[82:83], v[10:11], v[32:33]
	v_add_nc_u64_e32 v[82:83], -1, v[82:83]
; %bb.2927:                             ;   in Loop: Header=BB2_2648 Depth=2
	s_or_b32 exec_lo, exec_lo, s44
	v_add_nc_u32_e32 v11, 0xffffff81, v85
	v_lshrrev_b32_e32 v32, 23, v10
	s_mov_b32 s10, exec_lo
	s_delay_alu instid0(VALU_DEP_2) | instskip(NEXT) | instid1(VALU_DEP_1)
	v_cndmask_b32_e64 v11, v11, 0xffffff82, vcc_lo
	v_add3_u32 v83, v115, v11, v32
	v_and_b32_e32 v11, 0xfffff, v82
                                        ; implicit-def: $vgpr82
	s_delay_alu instid0(VALU_DEP_1) | instskip(NEXT) | instid1(VALU_DEP_1)
	v_dual_add_nc_u32 v85, 6, v83 :: v_dual_add_nc_u32 v32, v11, v10
                                        ; implicit-def: $vgpr10_vgpr11
	v_cmpx_ne_u32_e32 0, v85
	s_xor_b32 s10, exec_lo, s10
; %bb.2928:                             ;   in Loop: Header=BB2_2648 Depth=2
	s_delay_alu instid0(VALU_DEP_2) | instskip(SKIP_1) | instid1(VALU_DEP_1)
	v_cmp_lt_u64_e32 vcc_lo, 0xffffff, v[32:33]
	v_add_nc_u32_e32 v10, 7, v83
	v_cndmask_b32_e32 v82, v85, v10, vcc_lo
	v_cndmask_b32_e64 v10, 0, 1, vcc_lo
	s_delay_alu instid0(VALU_DEP_1)
	v_lshrrev_b64 v[10:11], v10, v[32:33]
; %bb.2929:                             ;   in Loop: Header=BB2_2648 Depth=2
	s_and_not1_saveexec_b32 s10, s10
; %bb.2930:                             ;   in Loop: Header=BB2_2648 Depth=2
	v_mov_b64_e32 v[10:11], v[32:33]
	v_bfe_u32 v82, v32, 23, 1
; %bb.2931:                             ;   in Loop: Header=BB2_2648 Depth=2
	s_or_b32 exec_lo, exec_lo, s10
	s_delay_alu instid0(VALU_DEP_2) | instskip(NEXT) | instid1(VALU_DEP_2)
	v_lshrrev_b64 v[10:11], 20, v[10:11]
	v_cmp_gt_i32_e32 vcc_lo, 16, v82
	v_min_i32_e32 v32, 15, v82
	v_cmp_eq_u32_e64 s10, 0, v82
	s_delay_alu instid0(VALU_DEP_2) | instskip(SKIP_1) | instid1(VALU_DEP_2)
	v_dual_cndmask_b32 v11, 0, v11 :: v_dual_lshlrev_b32 v32, 3, v32
	v_cndmask_b32_e32 v10, 7, v10, vcc_lo
	v_and_b32_e32 v32, 0xf8, v32
	s_delay_alu instid0(VALU_DEP_2) | instskip(NEXT) | instid1(VALU_DEP_2)
	v_cmp_eq_u64_e32 vcc_lo, 0, v[10:11]
	v_and_or_b32 v10, v10, 7, v32
	s_and_b32 s10, s10, vcc_lo
	s_delay_alu instid0(VALU_DEP_1) | instid1(SALU_CYCLE_1)
	v_cndmask_b32_e64 v10, v10, 0, s10
	s_delay_alu instid0(VALU_DEP_1)
	v_or_b32_e32 v45, v10, v84
.LBB2_2932:                             ;   in Loop: Header=BB2_2648 Depth=2
	s_or_b32 exec_lo, exec_lo, s43
                                        ; implicit-def: $vgpr84
.LBB2_2933:                             ;   in Loop: Header=BB2_2648 Depth=2
	s_and_not1_saveexec_b32 s10, s42
; %bb.2934:                             ;   in Loop: Header=BB2_2648 Depth=2
	v_or_b32_e32 v45, 0x7e, v84
; %bb.2935:                             ;   in Loop: Header=BB2_2648 Depth=2
	s_or_b32 exec_lo, exec_lo, s10
                                        ; implicit-def: $vgpr11
.LBB2_2936:                             ;   in Loop: Header=BB2_2648 Depth=2
	s_and_not1_saveexec_b32 s10, s41
; %bb.2937:                             ;   in Loop: Header=BB2_2648 Depth=2
	v_or_b32_e32 v45, 0x7f, v11
; %bb.2938:                             ;   in Loop: Header=BB2_2648 Depth=2
	s_or_b32 exec_lo, exec_lo, s10
	v_and_b32_e32 v11, 0xff, v13
	v_dual_mov_b32 v32, v13 :: v_dual_mov_b32 v10, 0
	s_mov_b32 s10, exec_lo
	s_delay_alu instid0(VALU_DEP_2)
	v_cmpx_ne_u16_e32 0, v11
	s_cbranch_execz .LBB2_2944
; %bb.2939:                             ;   in Loop: Header=BB2_2648 Depth=2
	v_bfrev_b32_e32 v10, 1
	s_mov_b32 s41, exec_lo
	v_cmpx_ne_u16_e32 0x80, v11
	s_cbranch_execz .LBB2_2943
; %bb.2940:                             ;   in Loop: Header=BB2_2648 Depth=2
	v_and_b32_e32 v11, 0x7f, v13
	v_mov_b32_e32 v10, 0x7f800001
	s_mov_b32 s42, exec_lo
	s_delay_alu instid0(VALU_DEP_2)
	v_cmpx_ne_u32_e32 0x7f, v11
	s_cbranch_execz .LBB2_2942
; %bb.2941:                             ;   in Loop: Header=BB2_2648 Depth=2
	v_dual_lshrrev_b32 v82, 3, v11 :: v_dual_bitop2_b32 v10, 7, v13 bitop3:0x40
	v_cmp_gt_u32_e32 vcc_lo, 8, v11
	s_delay_alu instid0(VALU_DEP_2) | instskip(NEXT) | instid1(VALU_DEP_1)
	v_clz_i32_u32_e32 v10, v10
	v_min_u32_e32 v10, 32, v10
	s_delay_alu instid0(VALU_DEP_1) | instskip(SKIP_1) | instid1(VALU_DEP_1)
	v_subrev_nc_u32_e32 v83, 28, v10
	v_sub_nc_u32_e32 v10, 29, v10
	v_dual_cndmask_b32 v82, v82, v10, vcc_lo :: v_dual_cndmask_b32 v10, 0, v83, vcc_lo
	s_delay_alu instid0(VALU_DEP_1) | instskip(NEXT) | instid1(VALU_DEP_2)
	v_lshl_add_u32 v82, v82, 23, 0x3c000000
	v_lshlrev_b64_e32 v[10:11], v10, v[32:33]
	v_lshlrev_b32_e32 v11, 24, v32
	s_delay_alu instid0(VALU_DEP_1) | instskip(NEXT) | instid1(VALU_DEP_3)
	v_and_b32_e32 v11, 0x80000000, v11
	v_lshlrev_b32_e32 v10, 20, v10
	s_delay_alu instid0(VALU_DEP_1) | instskip(NEXT) | instid1(VALU_DEP_1)
	v_and_b32_e32 v10, 0x700000, v10
	v_or3_b32 v10, v10, v11, v82
.LBB2_2942:                             ;   in Loop: Header=BB2_2648 Depth=2
	s_or_b32 exec_lo, exec_lo, s42
.LBB2_2943:                             ;   in Loop: Header=BB2_2648 Depth=2
	s_delay_alu instid0(SALU_CYCLE_1)
	s_or_b32 exec_lo, exec_lo, s41
.LBB2_2944:                             ;   in Loop: Header=BB2_2648 Depth=2
	s_delay_alu instid0(SALU_CYCLE_1) | instskip(NEXT) | instid1(VALU_DEP_1)
	s_or_b32 exec_lo, exec_lo, s10
	v_dual_mul_f32 v10, s11, v10 :: v_dual_mov_b32 v83, v33
                                        ; implicit-def: $vgpr115
	s_mov_b32 s10, exec_lo
	s_delay_alu instid0(VALU_DEP_1) | instskip(SKIP_1) | instid1(VALU_DEP_2)
	v_and_b32_e32 v82, 0x7f800000, v10
	v_lshrrev_b32_e32 v11, 24, v10
	v_cmpx_ne_u64_e32 0x7f800000, v[82:83]
	s_xor_b32 s41, exec_lo, s10
	s_cbranch_execz .LBB2_2958
; %bb.2945:                             ;   in Loop: Header=BB2_2648 Depth=2
	v_and_b32_e32 v82, 0x7fffffff, v10
	v_mov_b32_e32 v83, v33
	v_and_b32_e32 v84, 0x80, v11
                                        ; implicit-def: $vgpr115
	s_mov_b32 s10, exec_lo
	s_delay_alu instid0(VALU_DEP_2)
	v_cmpx_gt_u64_e32 0x43e00001, v[82:83]
	s_xor_b32 s42, exec_lo, s10
	s_cbranch_execz .LBB2_2955
; %bb.2946:                             ;   in Loop: Header=BB2_2648 Depth=2
	v_mov_b32_e32 v115, 0
	s_mov_b32 s43, exec_lo
	v_cmpx_ne_u32_e32 0, v10
	s_cbranch_execz .LBB2_2954
; %bb.2947:                             ;   in Loop: Header=BB2_2648 Depth=2
	v_bfe_u32 v85, v10, 23, 8
	v_and_b32_e32 v82, 0x7fffff, v10
	s_mov_b32 s44, exec_lo
	s_delay_alu instid0(VALU_DEP_2) | instskip(NEXT) | instid1(VALU_DEP_2)
	v_cmp_gt_u32_e32 vcc_lo, 0x7a, v85
	v_or_b32_e32 v83, 0x800000, v82
	v_sub_nc_u32_e32 v11, 0x79, v85
	s_delay_alu instid0(VALU_DEP_1) | instskip(SKIP_1) | instid1(VALU_DEP_4)
	v_cndmask_b32_e32 v11, 0, v11, vcc_lo
	v_cmp_eq_u32_e32 vcc_lo, 0, v85
	v_dual_cndmask_b32 v82, v83, v82 :: v_dual_mov_b32 v83, v33
	s_delay_alu instid0(VALU_DEP_3) | instskip(NEXT) | instid1(VALU_DEP_1)
	v_cndmask_b32_e64 v115, v11, 0x78, vcc_lo
	v_dual_add_nc_u32 v10, 20, v115 :: v_dual_add_nc_u32 v117, 19, v115
	s_delay_alu instid0(VALU_DEP_1) | instskip(NEXT) | instid1(VALU_DEP_2)
	v_lshlrev_b64_e64 v[10:11], v10, -1
	v_lshlrev_b64_e64 v[42:43], v117, 1
	s_delay_alu instid0(VALU_DEP_2) | instskip(NEXT) | instid1(VALU_DEP_3)
	v_bfi_b32 v57, v11, 0, 0
	v_bfi_b32 v56, v10, 0, v82
	v_lshrrev_b64 v[10:11], v115, v[82:83]
	s_delay_alu instid0(VALU_DEP_1) | instskip(NEXT) | instid1(VALU_DEP_3)
	v_mov_b64_e32 v[82:83], v[10:11]
	v_cmpx_eq_u64_e64 v[56:57], v[42:43]
; %bb.2948:                             ;   in Loop: Header=BB2_2648 Depth=2
	v_bfe_u32 v82, v10, 20, 1
	v_mov_b32_e32 v83, v33
	s_delay_alu instid0(VALU_DEP_1) | instskip(NEXT) | instid1(VALU_DEP_1)
	v_add_nc_u64_e32 v[82:83], v[10:11], v[82:83]
	v_add_nc_u64_e32 v[82:83], -1, v[82:83]
; %bb.2949:                             ;   in Loop: Header=BB2_2648 Depth=2
	s_or_b32 exec_lo, exec_lo, s44
	v_add_nc_u32_e32 v11, 0xffffff81, v85
	v_lshrrev_b32_e32 v83, 23, v10
	s_mov_b32 s10, exec_lo
	s_delay_alu instid0(VALU_DEP_2) | instskip(NEXT) | instid1(VALU_DEP_1)
	v_cndmask_b32_e64 v11, v11, 0xffffff82, vcc_lo
	v_add3_u32 v83, v115, v11, v83
	v_and_b32_e32 v11, 0xfffff, v82
                                        ; implicit-def: $vgpr82
	s_delay_alu instid0(VALU_DEP_1) | instskip(SKIP_1) | instid1(VALU_DEP_2)
	v_dual_add_nc_u32 v85, 6, v83 :: v_dual_add_nc_u32 v10, v11, v10
	v_mov_b32_e32 v11, v33
	v_cmpx_ne_u32_e32 0, v85
	s_xor_b32 s10, exec_lo, s10
; %bb.2950:                             ;   in Loop: Header=BB2_2648 Depth=2
	s_delay_alu instid0(VALU_DEP_2) | instskip(SKIP_2) | instid1(VALU_DEP_2)
	v_cmp_lt_u64_e32 vcc_lo, 0xffffff, v[10:11]
	v_add_nc_u32_e32 v82, 7, v83
	v_cndmask_b32_e64 v83, 0, 1, vcc_lo
	v_cndmask_b32_e32 v82, v85, v82, vcc_lo
	s_delay_alu instid0(VALU_DEP_2)
	v_lshrrev_b64 v[10:11], v83, v[10:11]
; %bb.2951:                             ;   in Loop: Header=BB2_2648 Depth=2
	s_and_not1_saveexec_b32 s10, s10
; %bb.2952:                             ;   in Loop: Header=BB2_2648 Depth=2
	s_delay_alu instid0(VALU_DEP_1)
	v_bfe_u32 v82, v10, 23, 1
; %bb.2953:                             ;   in Loop: Header=BB2_2648 Depth=2
	s_or_b32 exec_lo, exec_lo, s10
	s_delay_alu instid0(VALU_DEP_2) | instskip(NEXT) | instid1(VALU_DEP_2)
	v_lshrrev_b64 v[10:11], 20, v[10:11]
	v_cmp_gt_i32_e32 vcc_lo, 16, v82
	v_min_i32_e32 v83, 15, v82
	v_cmp_eq_u32_e64 s10, 0, v82
	s_delay_alu instid0(VALU_DEP_4) | instskip(NEXT) | instid1(VALU_DEP_3)
	v_cndmask_b32_e32 v11, 0, v11, vcc_lo
	v_dual_cndmask_b32 v10, 7, v10 :: v_dual_lshlrev_b32 v83, 3, v83
	s_delay_alu instid0(VALU_DEP_1) | instskip(NEXT) | instid1(VALU_DEP_2)
	v_and_b32_e32 v83, 0xf8, v83
	v_cmp_eq_u64_e32 vcc_lo, 0, v[10:11]
	s_delay_alu instid0(VALU_DEP_2)
	v_and_or_b32 v10, v10, 7, v83
	s_and_b32 s10, s10, vcc_lo
	s_delay_alu instid0(VALU_DEP_1) | instid1(SALU_CYCLE_1)
	v_cndmask_b32_e64 v10, v10, 0, s10
	s_delay_alu instid0(VALU_DEP_1)
	v_or_b32_e32 v115, v10, v84
.LBB2_2954:                             ;   in Loop: Header=BB2_2648 Depth=2
	s_or_b32 exec_lo, exec_lo, s43
                                        ; implicit-def: $vgpr84
.LBB2_2955:                             ;   in Loop: Header=BB2_2648 Depth=2
	s_and_not1_saveexec_b32 s10, s42
; %bb.2956:                             ;   in Loop: Header=BB2_2648 Depth=2
	v_or_b32_e32 v115, 0x7e, v84
; %bb.2957:                             ;   in Loop: Header=BB2_2648 Depth=2
	s_or_b32 exec_lo, exec_lo, s10
                                        ; implicit-def: $vgpr11
.LBB2_2958:                             ;   in Loop: Header=BB2_2648 Depth=2
	s_and_not1_saveexec_b32 s10, s41
; %bb.2959:                             ;   in Loop: Header=BB2_2648 Depth=2
	v_or_b32_e32 v115, 0x7f, v11
; %bb.2960:                             ;   in Loop: Header=BB2_2648 Depth=2
	s_or_b32 exec_lo, exec_lo, s10
	v_lshrrev_b16 v11, 8, v32
	v_mov_b32_e32 v10, 0
	s_mov_b32 s10, exec_lo
	s_delay_alu instid0(VALU_DEP_2)
	v_cmpx_ne_u16_e32 0, v11
	s_cbranch_execz .LBB2_2968
; %bb.2961:                             ;   in Loop: Header=BB2_2648 Depth=2
	v_bfrev_b32_e32 v10, 1
	s_mov_b32 s41, exec_lo
	v_cmpx_ne_u16_e32 0x80, v11
	s_cbranch_execz .LBB2_2967
; %bb.2962:                             ;   in Loop: Header=BB2_2648 Depth=2
	v_and_b32_e32 v11, 0xffff, v11
	v_mov_b32_e32 v10, 0x7f800001
	s_mov_b32 s42, exec_lo
	s_delay_alu instid0(VALU_DEP_2) | instskip(NEXT) | instid1(VALU_DEP_1)
	v_and_b32_e32 v83, 0x7f, v11
	v_cmpx_ne_u32_e32 0x7f, v83
	s_cbranch_execz .LBB2_2966
; %bb.2963:                             ;   in Loop: Header=BB2_2648 Depth=2
	v_dual_mov_b32 v11, v33 :: v_dual_bitop2_b32 v10, 7, v11 bitop3:0x40
	v_lshrrev_b32_e32 v82, 3, v83
	s_mov_b32 s43, exec_lo
	v_cmpx_gt_u32_e32 8, v83
; %bb.2964:                             ;   in Loop: Header=BB2_2648 Depth=2
	s_delay_alu instid0(VALU_DEP_3) | instskip(NEXT) | instid1(VALU_DEP_1)
	v_clz_i32_u32_e32 v82, v10
	v_min_u32_e32 v82, 32, v82
	s_delay_alu instid0(VALU_DEP_1) | instskip(SKIP_1) | instid1(VALU_DEP_2)
	v_subrev_nc_u32_e32 v83, 28, v82
	v_sub_nc_u32_e32 v82, 29, v82
	v_lshlrev_b64_e32 v[10:11], v83, v[10:11]
	s_delay_alu instid0(VALU_DEP_1)
	v_and_b32_e32 v10, 7, v10
; %bb.2965:                             ;   in Loop: Header=BB2_2648 Depth=2
	s_or_b32 exec_lo, exec_lo, s43
	s_delay_alu instid0(VALU_DEP_1) | instskip(SKIP_1) | instid1(VALU_DEP_2)
	v_dual_lshlrev_b32 v11, 16, v32 :: v_dual_lshlrev_b32 v10, 20, v10
	v_lshl_add_u32 v32, v82, 23, 0x3c000000
	v_and_b32_e32 v11, 0x80000000, v11
	s_delay_alu instid0(VALU_DEP_1)
	v_or3_b32 v10, v10, v11, v32
.LBB2_2966:                             ;   in Loop: Header=BB2_2648 Depth=2
	s_or_b32 exec_lo, exec_lo, s42
.LBB2_2967:                             ;   in Loop: Header=BB2_2648 Depth=2
	s_delay_alu instid0(SALU_CYCLE_1)
	s_or_b32 exec_lo, exec_lo, s41
.LBB2_2968:                             ;   in Loop: Header=BB2_2648 Depth=2
	s_delay_alu instid0(SALU_CYCLE_1) | instskip(NEXT) | instid1(VALU_DEP_1)
	s_or_b32 exec_lo, exec_lo, s10
	v_mul_f32_e32 v10, s11, v10
                                        ; implicit-def: $vgpr117
	s_mov_b32 s10, exec_lo
	s_delay_alu instid0(VALU_DEP_1) | instskip(SKIP_1) | instid1(VALU_DEP_2)
	v_and_b32_e32 v32, 0x7f800000, v10
	v_lshrrev_b32_e32 v11, 24, v10
	v_cmpx_ne_u64_e32 0x7f800000, v[32:33]
	s_xor_b32 s41, exec_lo, s10
	s_cbranch_execz .LBB2_2982
; %bb.2969:                             ;   in Loop: Header=BB2_2648 Depth=2
	v_and_b32_e32 v32, 0x7fffffff, v10
	v_and_b32_e32 v84, 0x80, v11
                                        ; implicit-def: $vgpr117
	s_mov_b32 s10, exec_lo
	s_delay_alu instid0(VALU_DEP_2)
	v_cmpx_gt_u64_e32 0x43e00001, v[32:33]
	s_xor_b32 s42, exec_lo, s10
	s_cbranch_execz .LBB2_2979
; %bb.2970:                             ;   in Loop: Header=BB2_2648 Depth=2
	v_mov_b32_e32 v117, 0
	s_mov_b32 s43, exec_lo
	v_cmpx_ne_u32_e32 0, v10
	s_cbranch_execz .LBB2_2978
; %bb.2971:                             ;   in Loop: Header=BB2_2648 Depth=2
	v_bfe_u32 v85, v10, 23, 8
	v_and_b32_e32 v32, 0x7fffff, v10
	s_delay_alu instid0(VALU_DEP_2) | instskip(NEXT) | instid1(VALU_DEP_2)
	v_cmp_gt_u32_e32 vcc_lo, 0x7a, v85
	v_or_b32_e32 v82, 0x800000, v32
	v_sub_nc_u32_e32 v11, 0x79, v85
	s_delay_alu instid0(VALU_DEP_1) | instskip(SKIP_1) | instid1(VALU_DEP_2)
	v_cndmask_b32_e32 v11, 0, v11, vcc_lo
	v_cmp_eq_u32_e32 vcc_lo, 0, v85
	v_cndmask_b32_e64 v117, v11, 0x78, vcc_lo
	s_delay_alu instid0(VALU_DEP_1) | instskip(SKIP_1) | instid1(VALU_DEP_2)
	v_dual_cndmask_b32 v32, v82, v32, vcc_lo :: v_dual_add_nc_u32 v10, 20, v117
	v_add_nc_u32_e32 v83, 19, v117
	v_lshlrev_b64_e64 v[10:11], v10, -1
	s_delay_alu instid0(VALU_DEP_2) | instskip(NEXT) | instid1(VALU_DEP_2)
	v_lshlrev_b64_e64 v[82:83], v83, 1
	v_bfi_b32 v43, v11, 0, 0
	s_delay_alu instid0(VALU_DEP_3) | instskip(SKIP_1) | instid1(VALU_DEP_2)
	v_bfi_b32 v42, v10, 0, v32
	v_lshrrev_b64 v[10:11], v117, v[32:33]
	v_cmp_eq_u64_e64 s10, v[42:43], v[82:83]
	s_delay_alu instid0(VALU_DEP_2)
	v_mov_b64_e32 v[82:83], v[10:11]
	s_and_saveexec_b32 s44, s10
; %bb.2972:                             ;   in Loop: Header=BB2_2648 Depth=2
	v_bfe_u32 v32, v10, 20, 1
	s_delay_alu instid0(VALU_DEP_1) | instskip(NEXT) | instid1(VALU_DEP_1)
	v_add_nc_u64_e32 v[82:83], v[10:11], v[32:33]
	v_add_nc_u64_e32 v[82:83], -1, v[82:83]
; %bb.2973:                             ;   in Loop: Header=BB2_2648 Depth=2
	s_or_b32 exec_lo, exec_lo, s44
	v_add_nc_u32_e32 v11, 0xffffff81, v85
	v_lshrrev_b32_e32 v32, 23, v10
	s_mov_b32 s10, exec_lo
	s_delay_alu instid0(VALU_DEP_2) | instskip(NEXT) | instid1(VALU_DEP_1)
	v_cndmask_b32_e64 v11, v11, 0xffffff82, vcc_lo
	v_add3_u32 v83, v117, v11, v32
	v_and_b32_e32 v11, 0xfffff, v82
                                        ; implicit-def: $vgpr82
	s_delay_alu instid0(VALU_DEP_1) | instskip(NEXT) | instid1(VALU_DEP_1)
	v_dual_add_nc_u32 v85, 6, v83 :: v_dual_add_nc_u32 v32, v11, v10
                                        ; implicit-def: $vgpr10_vgpr11
	v_cmpx_ne_u32_e32 0, v85
	s_xor_b32 s10, exec_lo, s10
; %bb.2974:                             ;   in Loop: Header=BB2_2648 Depth=2
	s_delay_alu instid0(VALU_DEP_2) | instskip(SKIP_1) | instid1(VALU_DEP_1)
	v_cmp_lt_u64_e32 vcc_lo, 0xffffff, v[32:33]
	v_add_nc_u32_e32 v10, 7, v83
	v_cndmask_b32_e32 v82, v85, v10, vcc_lo
	v_cndmask_b32_e64 v10, 0, 1, vcc_lo
	s_delay_alu instid0(VALU_DEP_1)
	v_lshrrev_b64 v[10:11], v10, v[32:33]
; %bb.2975:                             ;   in Loop: Header=BB2_2648 Depth=2
	s_and_not1_saveexec_b32 s10, s10
; %bb.2976:                             ;   in Loop: Header=BB2_2648 Depth=2
	v_mov_b64_e32 v[10:11], v[32:33]
	v_bfe_u32 v82, v32, 23, 1
; %bb.2977:                             ;   in Loop: Header=BB2_2648 Depth=2
	s_or_b32 exec_lo, exec_lo, s10
	s_delay_alu instid0(VALU_DEP_2) | instskip(NEXT) | instid1(VALU_DEP_2)
	v_lshrrev_b64 v[10:11], 20, v[10:11]
	v_cmp_gt_i32_e32 vcc_lo, 16, v82
	v_min_i32_e32 v32, 15, v82
	v_cmp_eq_u32_e64 s10, 0, v82
	s_delay_alu instid0(VALU_DEP_2) | instskip(SKIP_1) | instid1(VALU_DEP_2)
	v_dual_cndmask_b32 v11, 0, v11 :: v_dual_lshlrev_b32 v32, 3, v32
	v_cndmask_b32_e32 v10, 7, v10, vcc_lo
	v_and_b32_e32 v32, 0xf8, v32
	s_delay_alu instid0(VALU_DEP_2) | instskip(NEXT) | instid1(VALU_DEP_2)
	v_cmp_eq_u64_e32 vcc_lo, 0, v[10:11]
	v_and_or_b32 v10, v10, 7, v32
	s_and_b32 s10, s10, vcc_lo
	s_delay_alu instid0(VALU_DEP_1) | instid1(SALU_CYCLE_1)
	v_cndmask_b32_e64 v10, v10, 0, s10
	s_delay_alu instid0(VALU_DEP_1)
	v_or_b32_e32 v117, v10, v84
.LBB2_2978:                             ;   in Loop: Header=BB2_2648 Depth=2
	s_or_b32 exec_lo, exec_lo, s43
                                        ; implicit-def: $vgpr84
.LBB2_2979:                             ;   in Loop: Header=BB2_2648 Depth=2
	s_and_not1_saveexec_b32 s10, s42
; %bb.2980:                             ;   in Loop: Header=BB2_2648 Depth=2
	v_or_b32_e32 v117, 0x7e, v84
; %bb.2981:                             ;   in Loop: Header=BB2_2648 Depth=2
	s_or_b32 exec_lo, exec_lo, s10
                                        ; implicit-def: $vgpr11
.LBB2_2982:                             ;   in Loop: Header=BB2_2648 Depth=2
	s_and_not1_saveexec_b32 s10, s41
; %bb.2983:                             ;   in Loop: Header=BB2_2648 Depth=2
	v_or_b32_e32 v117, 0x7f, v11
; %bb.2984:                             ;   in Loop: Header=BB2_2648 Depth=2
	s_or_b32 exec_lo, exec_lo, s10
	v_dual_mov_b32 v11, 0 :: v_dual_lshrrev_b32 v10, 16, v13
	s_mov_b32 s10, exec_lo
	s_delay_alu instid0(VALU_DEP_1) | instskip(NEXT) | instid1(VALU_DEP_1)
	v_and_b32_e32 v32, 0xff, v10
	v_cmpx_ne_u16_e32 0, v32
	s_cbranch_execz .LBB2_2992
; %bb.2985:                             ;   in Loop: Header=BB2_2648 Depth=2
	v_bfrev_b32_e32 v11, 1
	s_mov_b32 s41, exec_lo
	v_cmpx_ne_u16_e32 0x80, v32
	s_cbranch_execz .LBB2_2991
; %bb.2986:                             ;   in Loop: Header=BB2_2648 Depth=2
	v_bfe_u32 v82, v13, 16, 7
	v_mov_b32_e32 v11, 0x7f800001
	s_mov_b32 s42, exec_lo
	s_delay_alu instid0(VALU_DEP_2)
	v_cmpx_ne_u32_e32 0x7f, v82
	s_cbranch_execz .LBB2_2990
; %bb.2987:                             ;   in Loop: Header=BB2_2648 Depth=2
	v_and_b32_e32 v32, 7, v10
	v_lshrrev_b32_e32 v11, 3, v82
	s_mov_b32 s43, exec_lo
	v_cmpx_gt_u32_e32 8, v82
; %bb.2988:                             ;   in Loop: Header=BB2_2648 Depth=2
	s_delay_alu instid0(VALU_DEP_3) | instskip(NEXT) | instid1(VALU_DEP_1)
	v_clz_i32_u32_e32 v11, v32
	v_min_u32_e32 v11, 32, v11
	s_delay_alu instid0(VALU_DEP_1) | instskip(NEXT) | instid1(VALU_DEP_1)
	v_subrev_nc_u32_e32 v82, 28, v11
	v_lshlrev_b64_e32 v[82:83], v82, v[32:33]
	s_delay_alu instid0(VALU_DEP_1)
	v_dual_sub_nc_u32 v11, 29, v11 :: v_dual_bitop2_b32 v32, 7, v82 bitop3:0x40
; %bb.2989:                             ;   in Loop: Header=BB2_2648 Depth=2
	s_or_b32 exec_lo, exec_lo, s43
	s_delay_alu instid0(VALU_DEP_1) | instskip(NEXT) | instid1(VALU_DEP_2)
	v_dual_lshlrev_b32 v10, 24, v10 :: v_dual_lshlrev_b32 v32, 20, v32
	v_lshl_add_u32 v11, v11, 23, 0x3c000000
	s_delay_alu instid0(VALU_DEP_2) | instskip(NEXT) | instid1(VALU_DEP_1)
	v_and_b32_e32 v10, 0x80000000, v10
	v_or3_b32 v11, v32, v10, v11
.LBB2_2990:                             ;   in Loop: Header=BB2_2648 Depth=2
	s_or_b32 exec_lo, exec_lo, s42
.LBB2_2991:                             ;   in Loop: Header=BB2_2648 Depth=2
	s_delay_alu instid0(SALU_CYCLE_1)
	s_or_b32 exec_lo, exec_lo, s41
.LBB2_2992:                             ;   in Loop: Header=BB2_2648 Depth=2
	s_delay_alu instid0(SALU_CYCLE_1) | instskip(NEXT) | instid1(VALU_DEP_1)
	s_or_b32 exec_lo, exec_lo, s10
	v_mul_f32_e32 v10, s11, v11
                                        ; implicit-def: $vgpr40
	s_mov_b32 s10, exec_lo
	s_delay_alu instid0(VALU_DEP_1) | instskip(SKIP_1) | instid1(VALU_DEP_2)
	v_and_b32_e32 v32, 0x7f800000, v10
	v_lshrrev_b32_e32 v11, 24, v10
	v_cmpx_ne_u64_e32 0x7f800000, v[32:33]
	s_xor_b32 s41, exec_lo, s10
	s_cbranch_execz .LBB2_3006
; %bb.2993:                             ;   in Loop: Header=BB2_2648 Depth=2
	v_and_b32_e32 v32, 0x7fffffff, v10
	v_and_b32_e32 v84, 0x80, v11
                                        ; implicit-def: $vgpr40
	s_mov_b32 s10, exec_lo
	s_delay_alu instid0(VALU_DEP_2)
	v_cmpx_gt_u64_e32 0x43e00001, v[32:33]
	s_xor_b32 s42, exec_lo, s10
	s_cbranch_execz .LBB2_3003
; %bb.2994:                             ;   in Loop: Header=BB2_2648 Depth=2
	v_mov_b32_e32 v40, 0
	s_mov_b32 s43, exec_lo
	v_cmpx_ne_u32_e32 0, v10
	s_cbranch_execz .LBB2_3002
; %bb.2995:                             ;   in Loop: Header=BB2_2648 Depth=2
	v_bfe_u32 v85, v10, 23, 8
	v_and_b32_e32 v32, 0x7fffff, v10
	s_delay_alu instid0(VALU_DEP_2) | instskip(NEXT) | instid1(VALU_DEP_2)
	v_cmp_gt_u32_e32 vcc_lo, 0x7a, v85
	v_or_b32_e32 v82, 0x800000, v32
	v_sub_nc_u32_e32 v11, 0x79, v85
	s_delay_alu instid0(VALU_DEP_1) | instskip(SKIP_1) | instid1(VALU_DEP_2)
	v_cndmask_b32_e32 v11, 0, v11, vcc_lo
	v_cmp_eq_u32_e32 vcc_lo, 0, v85
	v_cndmask_b32_e64 v40, v11, 0x78, vcc_lo
	v_cndmask_b32_e32 v32, v82, v32, vcc_lo
	s_delay_alu instid0(VALU_DEP_2) | instskip(NEXT) | instid1(VALU_DEP_1)
	v_dual_add_nc_u32 v10, 20, v40 :: v_dual_add_nc_u32 v83, 19, v40
	v_lshlrev_b64_e64 v[10:11], v10, -1
	s_delay_alu instid0(VALU_DEP_2) | instskip(NEXT) | instid1(VALU_DEP_2)
	v_lshlrev_b64_e64 v[82:83], v83, 1
	v_bfi_b32 v43, v11, 0, 0
	s_delay_alu instid0(VALU_DEP_3) | instskip(SKIP_1) | instid1(VALU_DEP_2)
	v_bfi_b32 v42, v10, 0, v32
	v_lshrrev_b64 v[10:11], v40, v[32:33]
	v_cmp_eq_u64_e64 s10, v[42:43], v[82:83]
	s_delay_alu instid0(VALU_DEP_2)
	v_mov_b64_e32 v[82:83], v[10:11]
	s_and_saveexec_b32 s44, s10
; %bb.2996:                             ;   in Loop: Header=BB2_2648 Depth=2
	v_bfe_u32 v32, v10, 20, 1
	s_delay_alu instid0(VALU_DEP_1) | instskip(NEXT) | instid1(VALU_DEP_1)
	v_add_nc_u64_e32 v[82:83], v[10:11], v[32:33]
	v_add_nc_u64_e32 v[82:83], -1, v[82:83]
; %bb.2997:                             ;   in Loop: Header=BB2_2648 Depth=2
	s_or_b32 exec_lo, exec_lo, s44
	v_add_nc_u32_e32 v11, 0xffffff81, v85
	v_lshrrev_b32_e32 v32, 23, v10
	s_mov_b32 s10, exec_lo
	s_delay_alu instid0(VALU_DEP_2) | instskip(NEXT) | instid1(VALU_DEP_1)
	v_cndmask_b32_e64 v11, v11, 0xffffff82, vcc_lo
	v_add3_u32 v83, v40, v11, v32
	v_and_b32_e32 v11, 0xfffff, v82
                                        ; implicit-def: $vgpr82
	s_delay_alu instid0(VALU_DEP_1) | instskip(NEXT) | instid1(VALU_DEP_1)
	v_dual_add_nc_u32 v85, 6, v83 :: v_dual_add_nc_u32 v32, v11, v10
                                        ; implicit-def: $vgpr10_vgpr11
	v_cmpx_ne_u32_e32 0, v85
	s_xor_b32 s10, exec_lo, s10
; %bb.2998:                             ;   in Loop: Header=BB2_2648 Depth=2
	s_delay_alu instid0(VALU_DEP_2) | instskip(SKIP_1) | instid1(VALU_DEP_1)
	v_cmp_lt_u64_e32 vcc_lo, 0xffffff, v[32:33]
	v_add_nc_u32_e32 v10, 7, v83
	v_cndmask_b32_e32 v82, v85, v10, vcc_lo
	v_cndmask_b32_e64 v10, 0, 1, vcc_lo
	s_delay_alu instid0(VALU_DEP_1)
	v_lshrrev_b64 v[10:11], v10, v[32:33]
; %bb.2999:                             ;   in Loop: Header=BB2_2648 Depth=2
	s_and_not1_saveexec_b32 s10, s10
; %bb.3000:                             ;   in Loop: Header=BB2_2648 Depth=2
	v_mov_b64_e32 v[10:11], v[32:33]
	v_bfe_u32 v82, v32, 23, 1
; %bb.3001:                             ;   in Loop: Header=BB2_2648 Depth=2
	s_or_b32 exec_lo, exec_lo, s10
	s_delay_alu instid0(VALU_DEP_2) | instskip(NEXT) | instid1(VALU_DEP_2)
	v_lshrrev_b64 v[10:11], 20, v[10:11]
	v_cmp_gt_i32_e32 vcc_lo, 16, v82
	v_min_i32_e32 v32, 15, v82
	v_cmp_eq_u32_e64 s10, 0, v82
	s_delay_alu instid0(VALU_DEP_2) | instskip(SKIP_1) | instid1(VALU_DEP_2)
	v_dual_cndmask_b32 v11, 0, v11 :: v_dual_lshlrev_b32 v32, 3, v32
	v_cndmask_b32_e32 v10, 7, v10, vcc_lo
	v_and_b32_e32 v32, 0xf8, v32
	s_delay_alu instid0(VALU_DEP_2) | instskip(NEXT) | instid1(VALU_DEP_2)
	v_cmp_eq_u64_e32 vcc_lo, 0, v[10:11]
	v_and_or_b32 v10, v10, 7, v32
	s_and_b32 s10, s10, vcc_lo
	s_delay_alu instid0(VALU_DEP_1) | instid1(SALU_CYCLE_1)
	v_cndmask_b32_e64 v10, v10, 0, s10
	s_delay_alu instid0(VALU_DEP_1)
	v_or_b32_e32 v40, v10, v84
.LBB2_3002:                             ;   in Loop: Header=BB2_2648 Depth=2
	s_or_b32 exec_lo, exec_lo, s43
                                        ; implicit-def: $vgpr84
.LBB2_3003:                             ;   in Loop: Header=BB2_2648 Depth=2
	s_and_not1_saveexec_b32 s10, s42
; %bb.3004:                             ;   in Loop: Header=BB2_2648 Depth=2
	v_or_b32_e32 v40, 0x7e, v84
; %bb.3005:                             ;   in Loop: Header=BB2_2648 Depth=2
	s_or_b32 exec_lo, exec_lo, s10
                                        ; implicit-def: $vgpr11
.LBB2_3006:                             ;   in Loop: Header=BB2_2648 Depth=2
	s_and_not1_saveexec_b32 s10, s41
; %bb.3007:                             ;   in Loop: Header=BB2_2648 Depth=2
	v_or_b32_e32 v40, 0x7f, v11
; %bb.3008:                             ;   in Loop: Header=BB2_2648 Depth=2
	s_or_b32 exec_lo, exec_lo, s10
	v_mov_b32_e32 v11, 0
	s_mov_b32 s10, exec_lo
	v_cmpx_lt_u64_e64 s[12:13], v[12:13]
	s_cbranch_execz .LBB2_3016
; %bb.3009:                             ;   in Loop: Header=BB2_2648 Depth=2
	v_lshrrev_b32_e32 v10, 24, v13
	v_bfrev_b32_e32 v11, 1
	s_mov_b32 s41, exec_lo
	s_delay_alu instid0(VALU_DEP_2)
	v_cmpx_ne_u32_e32 0x80, v10
	s_cbranch_execz .LBB2_3015
; %bb.3010:                             ;   in Loop: Header=BB2_2648 Depth=2
	v_bfe_u32 v12, v13, 24, 7
	v_mov_b32_e32 v11, 0x7f800001
	s_mov_b32 s42, exec_lo
	s_delay_alu instid0(VALU_DEP_2)
	v_cmpx_ne_u32_e32 0x7f, v12
	s_cbranch_execz .LBB2_3014
; %bb.3011:                             ;   in Loop: Header=BB2_2648 Depth=2
	v_dual_lshrrev_b32 v11, 3, v12 :: v_dual_bitop2_b32 v32, 7, v10 bitop3:0x40
	s_mov_b32 s43, exec_lo
	v_cmpx_gt_u32_e32 8, v12
; %bb.3012:                             ;   in Loop: Header=BB2_2648 Depth=2
	s_delay_alu instid0(VALU_DEP_2) | instskip(NEXT) | instid1(VALU_DEP_1)
	v_clz_i32_u32_e32 v11, v32
	v_min_u32_e32 v11, 32, v11
	s_delay_alu instid0(VALU_DEP_1) | instskip(NEXT) | instid1(VALU_DEP_1)
	v_subrev_nc_u32_e32 v12, 28, v11
	v_lshlrev_b64_e32 v[12:13], v12, v[32:33]
	s_delay_alu instid0(VALU_DEP_1)
	v_dual_sub_nc_u32 v11, 29, v11 :: v_dual_bitop2_b32 v32, 7, v12 bitop3:0x40
; %bb.3013:                             ;   in Loop: Header=BB2_2648 Depth=2
	s_or_b32 exec_lo, exec_lo, s43
	s_delay_alu instid0(VALU_DEP_1) | instskip(NEXT) | instid1(VALU_DEP_2)
	v_dual_lshlrev_b32 v10, 24, v10 :: v_dual_lshlrev_b32 v12, 20, v32
	v_lshl_add_u32 v11, v11, 23, 0x3c000000
	s_delay_alu instid0(VALU_DEP_2) | instskip(NEXT) | instid1(VALU_DEP_1)
	v_and_b32_e32 v10, 0x80000000, v10
	v_or3_b32 v11, v12, v10, v11
.LBB2_3014:                             ;   in Loop: Header=BB2_2648 Depth=2
	s_or_b32 exec_lo, exec_lo, s42
.LBB2_3015:                             ;   in Loop: Header=BB2_2648 Depth=2
	s_delay_alu instid0(SALU_CYCLE_1)
	s_or_b32 exec_lo, exec_lo, s41
.LBB2_3016:                             ;   in Loop: Header=BB2_2648 Depth=2
	s_delay_alu instid0(SALU_CYCLE_1) | instskip(NEXT) | instid1(VALU_DEP_1)
	s_or_b32 exec_lo, exec_lo, s10
	v_mul_f32_e32 v10, s11, v11
                                        ; implicit-def: $vgpr43
	s_mov_b32 s10, exec_lo
	s_delay_alu instid0(VALU_DEP_1) | instskip(SKIP_1) | instid1(VALU_DEP_2)
	v_and_b32_e32 v32, 0x7f800000, v10
	v_lshrrev_b32_e32 v11, 24, v10
	v_cmpx_ne_u64_e32 0x7f800000, v[32:33]
	s_xor_b32 s11, exec_lo, s10
	s_cbranch_execz .LBB2_3030
; %bb.3017:                             ;   in Loop: Header=BB2_2648 Depth=2
	v_and_b32_e32 v32, 0x7fffffff, v10
	v_and_b32_e32 v82, 0x80, v11
                                        ; implicit-def: $vgpr43
	s_mov_b32 s10, exec_lo
	s_delay_alu instid0(VALU_DEP_2)
	v_cmpx_gt_u64_e32 0x43e00001, v[32:33]
	s_xor_b32 s41, exec_lo, s10
	s_cbranch_execz .LBB2_3027
; %bb.3018:                             ;   in Loop: Header=BB2_2648 Depth=2
	v_mov_b32_e32 v43, 0
	s_mov_b32 s42, exec_lo
	v_cmpx_ne_u32_e32 0, v10
	s_cbranch_execz .LBB2_3026
; %bb.3019:                             ;   in Loop: Header=BB2_2648 Depth=2
	v_bfe_u32 v83, v10, 23, 8
	v_and_b32_e32 v12, 0x7fffff, v10
	s_delay_alu instid0(VALU_DEP_2) | instskip(NEXT) | instid1(VALU_DEP_2)
	v_cmp_gt_u32_e32 vcc_lo, 0x7a, v83
	v_or_b32_e32 v13, 0x800000, v12
	v_sub_nc_u32_e32 v11, 0x79, v83
	s_delay_alu instid0(VALU_DEP_1) | instskip(SKIP_1) | instid1(VALU_DEP_2)
	v_cndmask_b32_e32 v11, 0, v11, vcc_lo
	v_cmp_eq_u32_e32 vcc_lo, 0, v83
	v_cndmask_b32_e64 v84, v11, 0x78, vcc_lo
	v_cndmask_b32_e32 v32, v13, v12, vcc_lo
	s_delay_alu instid0(VALU_DEP_2) | instskip(NEXT) | instid1(VALU_DEP_1)
	v_dual_add_nc_u32 v10, 20, v84 :: v_dual_add_nc_u32 v85, 19, v84
	v_lshlrev_b64_e64 v[10:11], v10, -1
	s_delay_alu instid0(VALU_DEP_2) | instskip(NEXT) | instid1(VALU_DEP_2)
	v_lshlrev_b64_e64 v[12:13], v85, 1
	v_bfi_b32 v43, v11, 0, 0
	s_delay_alu instid0(VALU_DEP_3) | instskip(SKIP_1) | instid1(VALU_DEP_2)
	v_bfi_b32 v42, v10, 0, v32
	v_lshrrev_b64 v[10:11], v84, v[32:33]
	v_cmp_eq_u64_e64 s10, v[42:43], v[12:13]
	s_delay_alu instid0(VALU_DEP_2)
	v_mov_b64_e32 v[12:13], v[10:11]
	s_and_saveexec_b32 s43, s10
; %bb.3020:                             ;   in Loop: Header=BB2_2648 Depth=2
	v_bfe_u32 v32, v10, 20, 1
	s_delay_alu instid0(VALU_DEP_1) | instskip(NEXT) | instid1(VALU_DEP_1)
	v_add_nc_u64_e32 v[12:13], v[10:11], v[32:33]
	v_add_nc_u64_e32 v[12:13], -1, v[12:13]
; %bb.3021:                             ;   in Loop: Header=BB2_2648 Depth=2
	s_or_b32 exec_lo, exec_lo, s43
	v_add_nc_u32_e32 v11, 0xffffff81, v83
	v_lshrrev_b32_e32 v13, 23, v10
	s_mov_b32 s10, exec_lo
	s_delay_alu instid0(VALU_DEP_2) | instskip(NEXT) | instid1(VALU_DEP_1)
	v_cndmask_b32_e64 v11, v11, 0xffffff82, vcc_lo
	v_add3_u32 v13, v84, v11, v13
	v_and_b32_e32 v11, 0xfffff, v12
                                        ; implicit-def: $vgpr12
	s_delay_alu instid0(VALU_DEP_1) | instskip(NEXT) | instid1(VALU_DEP_1)
	v_dual_add_nc_u32 v83, 6, v13 :: v_dual_add_nc_u32 v32, v11, v10
                                        ; implicit-def: $vgpr10_vgpr11
	v_cmpx_ne_u32_e32 0, v83
	s_xor_b32 s10, exec_lo, s10
; %bb.3022:                             ;   in Loop: Header=BB2_2648 Depth=2
	s_delay_alu instid0(VALU_DEP_2) | instskip(SKIP_1) | instid1(VALU_DEP_1)
	v_cmp_lt_u64_e32 vcc_lo, 0xffffff, v[32:33]
	v_add_nc_u32_e32 v10, 7, v13
	v_cndmask_b32_e32 v12, v83, v10, vcc_lo
	v_cndmask_b32_e64 v10, 0, 1, vcc_lo
	s_delay_alu instid0(VALU_DEP_1)
	v_lshrrev_b64 v[10:11], v10, v[32:33]
; %bb.3023:                             ;   in Loop: Header=BB2_2648 Depth=2
	s_and_not1_saveexec_b32 s10, s10
; %bb.3024:                             ;   in Loop: Header=BB2_2648 Depth=2
	v_mov_b64_e32 v[10:11], v[32:33]
	v_bfe_u32 v12, v32, 23, 1
; %bb.3025:                             ;   in Loop: Header=BB2_2648 Depth=2
	s_or_b32 exec_lo, exec_lo, s10
	s_delay_alu instid0(VALU_DEP_2) | instskip(NEXT) | instid1(VALU_DEP_2)
	v_lshrrev_b64 v[10:11], 20, v[10:11]
	v_cmp_gt_i32_e32 vcc_lo, 16, v12
	v_min_i32_e32 v13, 15, v12
	v_cmp_eq_u32_e64 s10, 0, v12
	s_delay_alu instid0(VALU_DEP_2) | instskip(SKIP_1) | instid1(VALU_DEP_2)
	v_dual_cndmask_b32 v11, 0, v11, vcc_lo :: v_dual_lshlrev_b32 v13, 3, v13
	v_cndmask_b32_e32 v10, 7, v10, vcc_lo
	v_and_b32_e32 v13, 0xf8, v13
	s_delay_alu instid0(VALU_DEP_2) | instskip(NEXT) | instid1(VALU_DEP_2)
	v_cmp_eq_u64_e32 vcc_lo, 0, v[10:11]
	v_and_or_b32 v10, v10, 7, v13
	s_and_b32 s10, s10, vcc_lo
	s_delay_alu instid0(VALU_DEP_1) | instid1(SALU_CYCLE_1)
	v_cndmask_b32_e64 v10, v10, 0, s10
	s_delay_alu instid0(VALU_DEP_1)
	v_or_b32_e32 v43, v10, v82
.LBB2_3026:                             ;   in Loop: Header=BB2_2648 Depth=2
	s_or_b32 exec_lo, exec_lo, s42
                                        ; implicit-def: $vgpr82
.LBB2_3027:                             ;   in Loop: Header=BB2_2648 Depth=2
	s_and_not1_saveexec_b32 s10, s41
; %bb.3028:                             ;   in Loop: Header=BB2_2648 Depth=2
	v_or_b32_e32 v43, 0x7e, v82
; %bb.3029:                             ;   in Loop: Header=BB2_2648 Depth=2
	s_or_b32 exec_lo, exec_lo, s10
                                        ; implicit-def: $vgpr11
.LBB2_3030:                             ;   in Loop: Header=BB2_2648 Depth=2
	s_and_not1_saveexec_b32 s10, s11
; %bb.3031:                             ;   in Loop: Header=BB2_2648 Depth=2
	v_or_b32_e32 v43, 0x7f, v11
; %bb.3032:                             ;   in Loop: Header=BB2_2648 Depth=2
	s_or_b32 exec_lo, exec_lo, s10
	global_load_b128 v[10:13], v[80:81], off th:TH_LOAD_NT
	v_lshl_or_b32 v42, v114, 8, v30
	v_dual_lshlrev_b32 v32, 16, v116 :: v_dual_lshlrev_b32 v82, 24, v119
	s_mov_b32 s10, exec_lo
	s_delay_alu instid0(VALU_DEP_1)
	v_or3_b32 v32, v32, v82, v42
	v_mov_b32_e32 v82, 0
	s_wait_xcnt 0x0
	v_cmpx_ne_u32_e32 0, v30
	s_cbranch_execz .LBB2_3038
; %bb.3033:                             ;   in Loop: Header=BB2_2648 Depth=2
	v_bfrev_b32_e32 v82, 1
	s_mov_b32 s11, exec_lo
	v_cmpx_ne_u32_e32 0x80, v30
	s_cbranch_execz .LBB2_3037
; %bb.3034:                             ;   in Loop: Header=BB2_2648 Depth=2
	v_and_b32_e32 v83, 0x7f, v30
	v_mov_b32_e32 v82, 0x7f800001
	s_mov_b32 s41, exec_lo
	s_delay_alu instid0(VALU_DEP_2)
	v_cmpx_ne_u32_e32 0x7f, v83
	s_cbranch_execz .LBB2_3036
; %bb.3035:                             ;   in Loop: Header=BB2_2648 Depth=2
	v_dual_lshrrev_b32 v82, 3, v83 :: v_dual_bitop2_b32 v30, 7, v30 bitop3:0x40
	v_cmp_gt_u32_e32 vcc_lo, 8, v83
	s_delay_alu instid0(VALU_DEP_2) | instskip(NEXT) | instid1(VALU_DEP_1)
	v_clz_i32_u32_e32 v30, v30
	v_min_u32_e32 v30, 32, v30
	s_delay_alu instid0(VALU_DEP_1) | instskip(SKIP_1) | instid1(VALU_DEP_1)
	v_subrev_nc_u32_e32 v84, 28, v30
	v_sub_nc_u32_e32 v30, 29, v30
	v_dual_cndmask_b32 v30, v82, v30, vcc_lo :: v_dual_cndmask_b32 v82, 0, v84, vcc_lo
	s_delay_alu instid0(VALU_DEP_1) | instskip(SKIP_1) | instid1(VALU_DEP_3)
	v_lshlrev_b64_e32 v[82:83], v82, v[32:33]
	v_lshlrev_b32_e32 v83, 24, v32
	v_lshl_add_u32 v30, v30, 23, 0x3c000000
	s_delay_alu instid0(VALU_DEP_2) | instskip(NEXT) | instid1(VALU_DEP_4)
	v_and_b32_e32 v83, 0x80000000, v83
	v_lshlrev_b32_e32 v82, 20, v82
	s_delay_alu instid0(VALU_DEP_1) | instskip(NEXT) | instid1(VALU_DEP_1)
	v_and_b32_e32 v82, 0x700000, v82
	v_or3_b32 v82, v82, v83, v30
.LBB2_3036:                             ;   in Loop: Header=BB2_2648 Depth=2
	s_or_b32 exec_lo, exec_lo, s41
.LBB2_3037:                             ;   in Loop: Header=BB2_2648 Depth=2
	s_delay_alu instid0(SALU_CYCLE_1)
	s_or_b32 exec_lo, exec_lo, s11
.LBB2_3038:                             ;   in Loop: Header=BB2_2648 Depth=2
	s_delay_alu instid0(SALU_CYCLE_1) | instskip(SKIP_4) | instid1(VALU_DEP_1)
	s_or_b32 exec_lo, exec_lo, s10
	s_wait_loadcnt 0x0
	v_and_b32_e32 v83, 0xff, v10
	s_mov_b32 s10, 0
	s_mov_b32 s11, exec_lo
	v_cmpx_lt_i16_e32 0x7f, v83
	s_xor_b32 s11, exec_lo, s11
	s_cbranch_execnz .LBB2_3069
; %bb.3039:                             ;   in Loop: Header=BB2_2648 Depth=2
	s_or_saveexec_b32 s11, s11
	v_bfrev_b32_e32 v30, 1
	s_xor_b32 exec_lo, exec_lo, s11
	s_cbranch_execnz .LBB2_3072
.LBB2_3040:                             ;   in Loop: Header=BB2_2648 Depth=2
	s_or_b32 exec_lo, exec_lo, s11
	s_and_saveexec_b32 s11, s10
	s_cbranch_execz .LBB2_3042
.LBB2_3041:                             ;   in Loop: Header=BB2_2648 Depth=2
	v_and_b32_e32 v83, 0x7f, v10
	v_bfe_u32 v84, v10, 3, 4
	s_delay_alu instid0(VALU_DEP_2) | instskip(SKIP_1) | instid1(VALU_DEP_1)
	v_cmp_gt_u32_e32 vcc_lo, 8, v83
	v_and_b32_e32 v30, 7, v10
	v_clz_i32_u32_e32 v30, v30
	s_delay_alu instid0(VALU_DEP_1) | instskip(NEXT) | instid1(VALU_DEP_1)
	v_min_u32_e32 v30, 32, v30
	v_subrev_nc_u32_e32 v85, 28, v30
	v_sub_nc_u32_e32 v30, 29, v30
	s_delay_alu instid0(VALU_DEP_1) | instskip(SKIP_1) | instid1(VALU_DEP_2)
	v_dual_cndmask_b32 v30, v84, v30, vcc_lo :: v_dual_cndmask_b32 v84, 0, v85, vcc_lo
	v_cmp_ne_u32_e32 vcc_lo, 0x7f, v83
	v_lshl_add_u32 v30, v30, 23, 0x3c000000
	s_delay_alu instid0(VALU_DEP_3) | instskip(SKIP_1) | instid1(VALU_DEP_1)
	v_lshlrev_b64_e32 v[84:85], v84, v[10:11]
	v_lshlrev_b32_e32 v85, 24, v10
	v_and_b32_e32 v85, 0x80000000, v85
	s_delay_alu instid0(VALU_DEP_3) | instskip(NEXT) | instid1(VALU_DEP_1)
	v_lshlrev_b32_e32 v84, 20, v84
	v_and_b32_e32 v84, 0x700000, v84
	s_delay_alu instid0(VALU_DEP_1) | instskip(NEXT) | instid1(VALU_DEP_1)
	v_or3_b32 v30, v84, v85, v30
	v_cndmask_b32_e32 v30, 0x7f800001, v30, vcc_lo
.LBB2_3042:                             ;   in Loop: Header=BB2_2648 Depth=2
	s_or_b32 exec_lo, exec_lo, s11
	s_delay_alu instid0(VALU_DEP_1) | instskip(SKIP_1) | instid1(VALU_DEP_1)
	v_dual_add_f32 v82, v82, v30 :: v_dual_mov_b32 v85, v33
                                        ; implicit-def: $vgpr114
	s_mov_b32 s10, exec_lo
	v_and_b32_e32 v84, 0x7f800000, v82
	v_lshrrev_b32_e32 v30, 24, v82
	s_delay_alu instid0(VALU_DEP_2)
	v_cmpx_ne_u64_e32 0x7f800000, v[84:85]
	s_xor_b32 s11, exec_lo, s10
	s_cbranch_execz .LBB2_3056
; %bb.3043:                             ;   in Loop: Header=BB2_2648 Depth=2
	v_and_b32_e32 v84, 0x7fffffff, v82
	v_mov_b32_e32 v85, v33
	v_and_b32_e32 v30, 0x80, v30
                                        ; implicit-def: $vgpr114
	s_mov_b32 s10, exec_lo
	s_delay_alu instid0(VALU_DEP_2)
	v_cmpx_gt_u64_e32 0x43e00001, v[84:85]
	s_xor_b32 s41, exec_lo, s10
	s_cbranch_execz .LBB2_3053
; %bb.3044:                             ;   in Loop: Header=BB2_2648 Depth=2
	v_mov_b32_e32 v114, 0
	s_mov_b32 s42, exec_lo
	v_cmpx_ne_u32_e32 0, v82
	s_cbranch_execz .LBB2_3052
; %bb.3045:                             ;   in Loop: Header=BB2_2648 Depth=2
	v_bfe_u32 v114, v82, 23, 8
	v_and_b32_e32 v84, 0x7fffff, v82
	s_mov_b32 s43, exec_lo
	s_delay_alu instid0(VALU_DEP_2) | instskip(NEXT) | instid1(VALU_DEP_2)
	v_cmp_gt_u32_e32 vcc_lo, 0x7a, v114
	v_or_b32_e32 v85, 0x800000, v84
	v_sub_nc_u32_e32 v83, 0x79, v114
	s_delay_alu instid0(VALU_DEP_1) | instskip(SKIP_1) | instid1(VALU_DEP_2)
	v_cndmask_b32_e32 v83, 0, v83, vcc_lo
	v_cmp_eq_u32_e32 vcc_lo, 0, v114
	v_cndmask_b32_e64 v116, v83, 0x78, vcc_lo
	v_cndmask_b32_e32 v84, v85, v84, vcc_lo
	s_delay_alu instid0(VALU_DEP_2) | instskip(SKIP_1) | instid1(VALU_DEP_2)
	v_dual_mov_b32 v85, v33 :: v_dual_add_nc_u32 v119, 19, v116
	v_add_nc_u32_e32 v82, 20, v116
	v_lshlrev_b64_e64 v[56:57], v119, 1
	s_delay_alu instid0(VALU_DEP_2) | instskip(NEXT) | instid1(VALU_DEP_1)
	v_lshlrev_b64_e64 v[82:83], v82, -1
	v_bfi_b32 v59, v83, 0, 0
	s_delay_alu instid0(VALU_DEP_2) | instskip(SKIP_1) | instid1(VALU_DEP_1)
	v_bfi_b32 v58, v82, 0, v84
	v_lshrrev_b64 v[82:83], v116, v[84:85]
	v_mov_b64_e32 v[84:85], v[82:83]
	s_delay_alu instid0(VALU_DEP_3)
	v_cmpx_eq_u64_e64 v[58:59], v[56:57]
; %bb.3046:                             ;   in Loop: Header=BB2_2648 Depth=2
	v_bfe_u32 v84, v82, 20, 1
	v_mov_b32_e32 v85, v33
	s_delay_alu instid0(VALU_DEP_1) | instskip(NEXT) | instid1(VALU_DEP_1)
	v_add_nc_u64_e32 v[84:85], v[82:83], v[84:85]
	v_add_nc_u64_e32 v[84:85], -1, v[84:85]
; %bb.3047:                             ;   in Loop: Header=BB2_2648 Depth=2
	s_or_b32 exec_lo, exec_lo, s43
	v_add_nc_u32_e32 v83, 0xffffff81, v114
	v_lshrrev_b32_e32 v85, 23, v82
	s_mov_b32 s10, exec_lo
	s_delay_alu instid0(VALU_DEP_2) | instskip(NEXT) | instid1(VALU_DEP_1)
	v_cndmask_b32_e64 v83, v83, 0xffffff82, vcc_lo
	v_add3_u32 v85, v116, v83, v85
	v_and_b32_e32 v83, 0xfffff, v84
                                        ; implicit-def: $vgpr84
	s_delay_alu instid0(VALU_DEP_1) | instskip(SKIP_1) | instid1(VALU_DEP_2)
	v_dual_add_nc_u32 v114, 6, v85 :: v_dual_add_nc_u32 v82, v83, v82
	v_mov_b32_e32 v83, v33
	v_cmpx_ne_u32_e32 0, v114
	s_xor_b32 s10, exec_lo, s10
; %bb.3048:                             ;   in Loop: Header=BB2_2648 Depth=2
	s_delay_alu instid0(VALU_DEP_2) | instskip(SKIP_2) | instid1(VALU_DEP_2)
	v_cmp_lt_u64_e32 vcc_lo, 0xffffff, v[82:83]
	v_add_nc_u32_e32 v84, 7, v85
	v_cndmask_b32_e64 v85, 0, 1, vcc_lo
	v_cndmask_b32_e32 v84, v114, v84, vcc_lo
	s_delay_alu instid0(VALU_DEP_2)
	v_lshrrev_b64 v[82:83], v85, v[82:83]
; %bb.3049:                             ;   in Loop: Header=BB2_2648 Depth=2
	s_and_not1_saveexec_b32 s10, s10
; %bb.3050:                             ;   in Loop: Header=BB2_2648 Depth=2
	s_delay_alu instid0(VALU_DEP_1)
	v_bfe_u32 v84, v82, 23, 1
; %bb.3051:                             ;   in Loop: Header=BB2_2648 Depth=2
	s_or_b32 exec_lo, exec_lo, s10
	s_delay_alu instid0(VALU_DEP_2) | instskip(NEXT) | instid1(VALU_DEP_2)
	v_lshrrev_b64 v[82:83], 20, v[82:83]
	v_cmp_gt_i32_e32 vcc_lo, 16, v84
	v_min_i32_e32 v85, 15, v84
	v_cmp_eq_u32_e64 s10, 0, v84
	s_delay_alu instid0(VALU_DEP_2) | instskip(SKIP_1) | instid1(VALU_DEP_2)
	v_dual_cndmask_b32 v83, 0, v83, vcc_lo :: v_dual_lshlrev_b32 v85, 3, v85
	v_cndmask_b32_e32 v82, 7, v82, vcc_lo
	v_and_b32_e32 v85, 0xf8, v85
	s_delay_alu instid0(VALU_DEP_2) | instskip(NEXT) | instid1(VALU_DEP_2)
	v_cmp_eq_u64_e32 vcc_lo, 0, v[82:83]
	v_and_or_b32 v82, v82, 7, v85
	s_and_b32 s10, s10, vcc_lo
	s_delay_alu instid0(VALU_DEP_1) | instid1(SALU_CYCLE_1)
	v_cndmask_b32_e64 v82, v82, 0, s10
	s_delay_alu instid0(VALU_DEP_1)
	v_or_b32_e32 v114, v82, v30
.LBB2_3052:                             ;   in Loop: Header=BB2_2648 Depth=2
	s_or_b32 exec_lo, exec_lo, s42
                                        ; implicit-def: $vgpr30
.LBB2_3053:                             ;   in Loop: Header=BB2_2648 Depth=2
	s_and_not1_saveexec_b32 s10, s41
; %bb.3054:                             ;   in Loop: Header=BB2_2648 Depth=2
	v_or_b32_e32 v114, 0x7e, v30
; %bb.3055:                             ;   in Loop: Header=BB2_2648 Depth=2
	s_or_b32 exec_lo, exec_lo, s10
                                        ; implicit-def: $vgpr30
.LBB2_3056:                             ;   in Loop: Header=BB2_2648 Depth=2
	s_and_not1_saveexec_b32 s10, s11
; %bb.3057:                             ;   in Loop: Header=BB2_2648 Depth=2
	v_or_b32_e32 v114, 0x7f, v30
; %bb.3058:                             ;   in Loop: Header=BB2_2648 Depth=2
	s_or_b32 exec_lo, exec_lo, s10
	v_lshrrev_b16 v30, 8, v42
	v_mov_b32_e32 v82, 0
	s_mov_b32 s10, exec_lo
	s_delay_alu instid0(VALU_DEP_2)
	v_cmpx_ne_u16_e32 0, v30
	s_cbranch_execz .LBB2_3066
; %bb.3059:                             ;   in Loop: Header=BB2_2648 Depth=2
	v_bfrev_b32_e32 v82, 1
	s_mov_b32 s11, exec_lo
	v_cmpx_ne_u16_e32 0x80, v30
	s_cbranch_execz .LBB2_3065
; %bb.3060:                             ;   in Loop: Header=BB2_2648 Depth=2
	v_and_b32_e32 v30, 0xffff, v30
	v_mov_b32_e32 v82, 0x7f800001
	s_mov_b32 s41, exec_lo
	s_delay_alu instid0(VALU_DEP_2) | instskip(NEXT) | instid1(VALU_DEP_1)
	v_and_b32_e32 v84, 0x7f, v30
	v_cmpx_ne_u32_e32 0x7f, v84
	s_cbranch_execz .LBB2_3064
; %bb.3061:                             ;   in Loop: Header=BB2_2648 Depth=2
	v_dual_mov_b32 v83, v33 :: v_dual_bitop2_b32 v82, 7, v30 bitop3:0x40
	v_lshrrev_b32_e32 v30, 3, v84
	s_mov_b32 s42, exec_lo
	v_cmpx_gt_u32_e32 8, v84
; %bb.3062:                             ;   in Loop: Header=BB2_2648 Depth=2
	s_delay_alu instid0(VALU_DEP_3) | instskip(NEXT) | instid1(VALU_DEP_1)
	v_clz_i32_u32_e32 v30, v82
	v_min_u32_e32 v30, 32, v30
	s_delay_alu instid0(VALU_DEP_1) | instskip(SKIP_1) | instid1(VALU_DEP_2)
	v_subrev_nc_u32_e32 v84, 28, v30
	v_sub_nc_u32_e32 v30, 29, v30
	v_lshlrev_b64_e32 v[82:83], v84, v[82:83]
	s_delay_alu instid0(VALU_DEP_1)
	v_and_b32_e32 v82, 7, v82
; %bb.3063:                             ;   in Loop: Header=BB2_2648 Depth=2
	s_or_b32 exec_lo, exec_lo, s42
	v_lshlrev_b32_e32 v83, 16, v42
	s_delay_alu instid0(VALU_DEP_2) | instskip(SKIP_1) | instid1(VALU_DEP_3)
	v_lshlrev_b32_e32 v82, 20, v82
	v_lshl_add_u32 v30, v30, 23, 0x3c000000
	v_and_b32_e32 v83, 0x80000000, v83
	s_delay_alu instid0(VALU_DEP_1)
	v_or3_b32 v82, v82, v83, v30
.LBB2_3064:                             ;   in Loop: Header=BB2_2648 Depth=2
	s_or_b32 exec_lo, exec_lo, s41
.LBB2_3065:                             ;   in Loop: Header=BB2_2648 Depth=2
	s_delay_alu instid0(SALU_CYCLE_1)
	s_or_b32 exec_lo, exec_lo, s11
.LBB2_3066:                             ;   in Loop: Header=BB2_2648 Depth=2
	s_delay_alu instid0(SALU_CYCLE_1) | instskip(SKIP_3) | instid1(VALU_DEP_1)
	s_or_b32 exec_lo, exec_lo, s10
	v_lshrrev_b16 v83, 8, v10
	s_mov_b32 s11, 0
	s_mov_b32 s10, exec_lo
	v_cmpx_lt_i16_e32 0x7f, v83
	s_xor_b32 s10, exec_lo, s10
	s_cbranch_execnz .LBB2_3073
; %bb.3067:                             ;   in Loop: Header=BB2_2648 Depth=2
	s_or_saveexec_b32 s10, s10
	v_bfrev_b32_e32 v84, 1
	s_xor_b32 exec_lo, exec_lo, s10
	s_cbranch_execnz .LBB2_3076
.LBB2_3068:                             ;   in Loop: Header=BB2_2648 Depth=2
	s_or_b32 exec_lo, exec_lo, s10
	s_and_saveexec_b32 s10, s11
	s_cbranch_execnz .LBB2_3077
	s_branch .LBB2_3080
.LBB2_3069:                             ;   in Loop: Header=BB2_2648 Depth=2
	s_mov_b32 s10, -1
	s_mov_b32 s41, exec_lo
	v_cmpx_eq_u16_e32 0x80, v83
; %bb.3070:                             ;   in Loop: Header=BB2_2648 Depth=2
	s_xor_b32 s10, exec_lo, -1
; %bb.3071:                             ;   in Loop: Header=BB2_2648 Depth=2
	s_or_b32 exec_lo, exec_lo, s41
	s_delay_alu instid0(SALU_CYCLE_1)
	s_and_b32 s10, s10, exec_lo
                                        ; implicit-def: $vgpr83
	s_or_saveexec_b32 s11, s11
	v_bfrev_b32_e32 v30, 1
	s_xor_b32 exec_lo, exec_lo, s11
	s_cbranch_execz .LBB2_3040
.LBB2_3072:                             ;   in Loop: Header=BB2_2648 Depth=2
	v_cmp_ne_u16_e32 vcc_lo, 0, v83
	v_mov_b32_e32 v30, 0
	s_and_not1_b32 s10, s10, exec_lo
	s_and_b32 s41, vcc_lo, exec_lo
	s_delay_alu instid0(SALU_CYCLE_1)
	s_or_b32 s10, s10, s41
	s_or_b32 exec_lo, exec_lo, s11
	s_and_saveexec_b32 s11, s10
	s_cbranch_execnz .LBB2_3041
	s_branch .LBB2_3042
.LBB2_3073:                             ;   in Loop: Header=BB2_2648 Depth=2
	s_mov_b32 s11, -1
	s_mov_b32 s41, exec_lo
	v_cmpx_eq_u16_e32 0x80, v83
; %bb.3074:                             ;   in Loop: Header=BB2_2648 Depth=2
	s_xor_b32 s11, exec_lo, -1
; %bb.3075:                             ;   in Loop: Header=BB2_2648 Depth=2
	s_or_b32 exec_lo, exec_lo, s41
	s_delay_alu instid0(SALU_CYCLE_1)
	s_and_b32 s11, s11, exec_lo
	s_or_saveexec_b32 s10, s10
	v_bfrev_b32_e32 v84, 1
	s_xor_b32 exec_lo, exec_lo, s10
	s_cbranch_execz .LBB2_3068
.LBB2_3076:                             ;   in Loop: Header=BB2_2648 Depth=2
	v_cmp_ne_u16_e32 vcc_lo, 0, v83
	v_mov_b32_e32 v84, 0
	s_and_not1_b32 s11, s11, exec_lo
	s_and_b32 s41, vcc_lo, exec_lo
	s_delay_alu instid0(SALU_CYCLE_1)
	s_or_b32 s11, s11, s41
	s_or_b32 exec_lo, exec_lo, s10
	s_and_saveexec_b32 s10, s11
	s_cbranch_execz .LBB2_3080
.LBB2_3077:                             ;   in Loop: Header=BB2_2648 Depth=2
	v_and_b32_e32 v30, 0xffff, v83
	v_mov_b32_e32 v84, 0x7f800001
	s_mov_b32 s11, exec_lo
	s_delay_alu instid0(VALU_DEP_2) | instskip(NEXT) | instid1(VALU_DEP_1)
	v_and_b32_e32 v85, 0x7f, v30
	v_cmpx_ne_u32_e32 0x7f, v85
	s_cbranch_execz .LBB2_3079
; %bb.3078:                             ;   in Loop: Header=BB2_2648 Depth=2
	v_and_b32_e32 v84, 7, v30
	v_cmp_gt_u32_e32 vcc_lo, 8, v85
	v_lshlrev_b32_e32 v83, 24, v83
	s_delay_alu instid0(VALU_DEP_3) | instskip(NEXT) | instid1(VALU_DEP_2)
	v_clz_i32_u32_e32 v116, v84
	v_and_b32_e32 v83, 0x80000000, v83
	s_delay_alu instid0(VALU_DEP_2) | instskip(NEXT) | instid1(VALU_DEP_1)
	v_min_u32_e32 v116, 32, v116
	v_subrev_nc_u32_e32 v119, 28, v116
	v_sub_nc_u32_e32 v116, 29, v116
	s_delay_alu instid0(VALU_DEP_2) | instskip(NEXT) | instid1(VALU_DEP_1)
	v_lshlrev_b64_e32 v[56:57], v119, v[30:31]
	v_dual_lshrrev_b32 v30, 3, v85 :: v_dual_bitop2_b32 v85, 7, v56 bitop3:0x40
	s_delay_alu instid0(VALU_DEP_1) | instskip(NEXT) | instid1(VALU_DEP_1)
	v_dual_cndmask_b32 v30, v30, v116, vcc_lo :: v_dual_cndmask_b32 v84, v84, v85, vcc_lo
	v_lshl_add_u32 v30, v30, 23, 0x3c000000
	s_delay_alu instid0(VALU_DEP_2) | instskip(NEXT) | instid1(VALU_DEP_1)
	v_lshlrev_b32_e32 v84, 20, v84
	v_or3_b32 v84, v84, v83, v30
.LBB2_3079:                             ;   in Loop: Header=BB2_2648 Depth=2
	s_or_b32 exec_lo, exec_lo, s11
.LBB2_3080:                             ;   in Loop: Header=BB2_2648 Depth=2
	s_delay_alu instid0(SALU_CYCLE_1) | instskip(NEXT) | instid1(VALU_DEP_1)
	s_or_b32 exec_lo, exec_lo, s10
	v_dual_add_f32 v82, v82, v84 :: v_dual_mov_b32 v85, v33
                                        ; implicit-def: $vgpr116
	s_mov_b32 s10, exec_lo
	s_delay_alu instid0(VALU_DEP_1) | instskip(SKIP_1) | instid1(VALU_DEP_2)
	v_and_b32_e32 v84, 0x7f800000, v82
	v_lshrrev_b32_e32 v30, 24, v82
	v_cmpx_ne_u64_e32 0x7f800000, v[84:85]
	s_xor_b32 s11, exec_lo, s10
	s_cbranch_execz .LBB2_3094
; %bb.3081:                             ;   in Loop: Header=BB2_2648 Depth=2
	v_and_b32_e32 v84, 0x7fffffff, v82
	v_mov_b32_e32 v85, v33
	v_and_b32_e32 v30, 0x80, v30
                                        ; implicit-def: $vgpr116
	s_mov_b32 s10, exec_lo
	s_delay_alu instid0(VALU_DEP_2)
	v_cmpx_gt_u64_e32 0x43e00001, v[84:85]
	s_xor_b32 s41, exec_lo, s10
	s_cbranch_execz .LBB2_3091
; %bb.3082:                             ;   in Loop: Header=BB2_2648 Depth=2
	v_mov_b32_e32 v116, 0
	s_mov_b32 s42, exec_lo
	v_cmpx_ne_u32_e32 0, v82
	s_cbranch_execz .LBB2_3090
; %bb.3083:                             ;   in Loop: Header=BB2_2648 Depth=2
	v_bfe_u32 v116, v82, 23, 8
	v_and_b32_e32 v84, 0x7fffff, v82
	s_mov_b32 s43, exec_lo
	s_delay_alu instid0(VALU_DEP_2) | instskip(SKIP_1) | instid1(VALU_DEP_3)
	v_sub_nc_u32_e32 v83, 0x79, v116
	v_cmp_gt_u32_e32 vcc_lo, 0x7a, v116
	v_or_b32_e32 v85, 0x800000, v84
	s_delay_alu instid0(VALU_DEP_3) | instskip(SKIP_1) | instid1(VALU_DEP_3)
	v_cndmask_b32_e32 v83, 0, v83, vcc_lo
	v_cmp_eq_u32_e32 vcc_lo, 0, v116
	v_cndmask_b32_e32 v84, v85, v84, vcc_lo
	s_delay_alu instid0(VALU_DEP_3) | instskip(NEXT) | instid1(VALU_DEP_1)
	v_cndmask_b32_e64 v119, v83, 0x78, vcc_lo
	v_dual_mov_b32 v85, v33 :: v_dual_add_nc_u32 v82, 20, v119
	v_add_nc_u32_e32 v42, 19, v119
	s_delay_alu instid0(VALU_DEP_2) | instskip(NEXT) | instid1(VALU_DEP_2)
	v_lshlrev_b64_e64 v[82:83], v82, -1
	v_lshlrev_b64_e64 v[56:57], v42, 1
	s_delay_alu instid0(VALU_DEP_2) | instskip(NEXT) | instid1(VALU_DEP_3)
	v_bfi_b32 v59, v83, 0, 0
	v_bfi_b32 v58, v82, 0, v84
	v_lshrrev_b64 v[82:83], v119, v[84:85]
	s_delay_alu instid0(VALU_DEP_1) | instskip(NEXT) | instid1(VALU_DEP_3)
	v_mov_b64_e32 v[84:85], v[82:83]
	v_cmpx_eq_u64_e64 v[58:59], v[56:57]
; %bb.3084:                             ;   in Loop: Header=BB2_2648 Depth=2
	v_bfe_u32 v84, v82, 20, 1
	v_mov_b32_e32 v85, v33
	s_delay_alu instid0(VALU_DEP_1) | instskip(NEXT) | instid1(VALU_DEP_1)
	v_add_nc_u64_e32 v[84:85], v[82:83], v[84:85]
	v_add_nc_u64_e32 v[84:85], -1, v[84:85]
; %bb.3085:                             ;   in Loop: Header=BB2_2648 Depth=2
	s_or_b32 exec_lo, exec_lo, s43
	v_add_nc_u32_e32 v83, 0xffffff81, v116
	v_lshrrev_b32_e32 v85, 23, v82
	s_mov_b32 s10, exec_lo
	s_delay_alu instid0(VALU_DEP_2) | instskip(NEXT) | instid1(VALU_DEP_1)
	v_cndmask_b32_e64 v83, v83, 0xffffff82, vcc_lo
	v_add3_u32 v85, v119, v83, v85
	v_and_b32_e32 v83, 0xfffff, v84
                                        ; implicit-def: $vgpr84
	s_delay_alu instid0(VALU_DEP_1) | instskip(SKIP_1) | instid1(VALU_DEP_2)
	v_dual_add_nc_u32 v116, 6, v85 :: v_dual_add_nc_u32 v82, v83, v82
	v_mov_b32_e32 v83, v33
	v_cmpx_ne_u32_e32 0, v116
	s_xor_b32 s10, exec_lo, s10
; %bb.3086:                             ;   in Loop: Header=BB2_2648 Depth=2
	s_delay_alu instid0(VALU_DEP_2) | instskip(SKIP_2) | instid1(VALU_DEP_2)
	v_cmp_lt_u64_e32 vcc_lo, 0xffffff, v[82:83]
	v_add_nc_u32_e32 v84, 7, v85
	v_cndmask_b32_e64 v85, 0, 1, vcc_lo
	v_cndmask_b32_e32 v84, v116, v84, vcc_lo
	s_delay_alu instid0(VALU_DEP_2)
	v_lshrrev_b64 v[82:83], v85, v[82:83]
; %bb.3087:                             ;   in Loop: Header=BB2_2648 Depth=2
	s_and_not1_saveexec_b32 s10, s10
; %bb.3088:                             ;   in Loop: Header=BB2_2648 Depth=2
	s_delay_alu instid0(VALU_DEP_1)
	v_bfe_u32 v84, v82, 23, 1
; %bb.3089:                             ;   in Loop: Header=BB2_2648 Depth=2
	s_or_b32 exec_lo, exec_lo, s10
	s_delay_alu instid0(VALU_DEP_2) | instskip(NEXT) | instid1(VALU_DEP_2)
	v_lshrrev_b64 v[82:83], 20, v[82:83]
	v_cmp_gt_i32_e32 vcc_lo, 16, v84
	v_min_i32_e32 v85, 15, v84
	v_cmp_eq_u32_e64 s10, 0, v84
	s_delay_alu instid0(VALU_DEP_2) | instskip(SKIP_1) | instid1(VALU_DEP_2)
	v_dual_cndmask_b32 v83, 0, v83, vcc_lo :: v_dual_lshlrev_b32 v85, 3, v85
	v_cndmask_b32_e32 v82, 7, v82, vcc_lo
	v_and_b32_e32 v85, 0xf8, v85
	s_delay_alu instid0(VALU_DEP_2) | instskip(NEXT) | instid1(VALU_DEP_2)
	v_cmp_eq_u64_e32 vcc_lo, 0, v[82:83]
	v_and_or_b32 v82, v82, 7, v85
	s_and_b32 s10, s10, vcc_lo
	s_delay_alu instid0(VALU_DEP_1) | instid1(SALU_CYCLE_1)
	v_cndmask_b32_e64 v82, v82, 0, s10
	s_delay_alu instid0(VALU_DEP_1)
	v_or_b32_e32 v116, v82, v30
.LBB2_3090:                             ;   in Loop: Header=BB2_2648 Depth=2
	s_or_b32 exec_lo, exec_lo, s42
                                        ; implicit-def: $vgpr30
.LBB2_3091:                             ;   in Loop: Header=BB2_2648 Depth=2
	s_and_not1_saveexec_b32 s10, s41
; %bb.3092:                             ;   in Loop: Header=BB2_2648 Depth=2
	v_or_b32_e32 v116, 0x7e, v30
; %bb.3093:                             ;   in Loop: Header=BB2_2648 Depth=2
	s_or_b32 exec_lo, exec_lo, s10
                                        ; implicit-def: $vgpr30
.LBB2_3094:                             ;   in Loop: Header=BB2_2648 Depth=2
	s_and_not1_saveexec_b32 s10, s11
; %bb.3095:                             ;   in Loop: Header=BB2_2648 Depth=2
	v_or_b32_e32 v116, 0x7f, v30
; %bb.3096:                             ;   in Loop: Header=BB2_2648 Depth=2
	s_or_b32 exec_lo, exec_lo, s10
	v_dual_lshrrev_b32 v30, 16, v32 :: v_dual_mov_b32 v82, 0
	s_mov_b32 s10, exec_lo
	s_delay_alu instid0(VALU_DEP_1) | instskip(NEXT) | instid1(VALU_DEP_1)
	v_and_b32_e32 v83, 0xff, v30
	v_cmpx_ne_u16_e32 0, v83
	s_cbranch_execz .LBB2_3104
; %bb.3097:                             ;   in Loop: Header=BB2_2648 Depth=2
	v_bfrev_b32_e32 v82, 1
	s_mov_b32 s11, exec_lo
	v_cmpx_ne_u16_e32 0x80, v83
	s_cbranch_execz .LBB2_3103
; %bb.3098:                             ;   in Loop: Header=BB2_2648 Depth=2
	v_bfe_u32 v85, v32, 16, 7
	v_mov_b32_e32 v82, 0x7f800001
	s_mov_b32 s41, exec_lo
	s_delay_alu instid0(VALU_DEP_2)
	v_cmpx_ne_u32_e32 0x7f, v85
	s_cbranch_execz .LBB2_3102
; %bb.3099:                             ;   in Loop: Header=BB2_2648 Depth=2
	v_dual_mov_b32 v83, v33 :: v_dual_bitop2_b32 v82, 7, v30 bitop3:0x40
	v_lshrrev_b32_e32 v84, 3, v85
	s_mov_b32 s42, exec_lo
	v_cmpx_gt_u32_e32 8, v85
; %bb.3100:                             ;   in Loop: Header=BB2_2648 Depth=2
	s_delay_alu instid0(VALU_DEP_3) | instskip(NEXT) | instid1(VALU_DEP_1)
	v_clz_i32_u32_e32 v84, v82
	v_min_u32_e32 v84, 32, v84
	s_delay_alu instid0(VALU_DEP_1) | instskip(NEXT) | instid1(VALU_DEP_1)
	v_subrev_nc_u32_e32 v85, 28, v84
	v_lshlrev_b64_e32 v[82:83], v85, v[82:83]
	s_delay_alu instid0(VALU_DEP_1)
	v_dual_sub_nc_u32 v84, 29, v84 :: v_dual_bitop2_b32 v82, 7, v82 bitop3:0x40
; %bb.3101:                             ;   in Loop: Header=BB2_2648 Depth=2
	s_or_b32 exec_lo, exec_lo, s42
	v_lshlrev_b32_e32 v30, 24, v30
	s_delay_alu instid0(VALU_DEP_2) | instskip(NEXT) | instid1(VALU_DEP_3)
	v_lshlrev_b32_e32 v82, 20, v82
	v_lshl_add_u32 v83, v84, 23, 0x3c000000
	s_delay_alu instid0(VALU_DEP_3) | instskip(NEXT) | instid1(VALU_DEP_1)
	v_and_b32_e32 v30, 0x80000000, v30
	v_or3_b32 v82, v82, v30, v83
.LBB2_3102:                             ;   in Loop: Header=BB2_2648 Depth=2
	s_or_b32 exec_lo, exec_lo, s41
.LBB2_3103:                             ;   in Loop: Header=BB2_2648 Depth=2
	s_delay_alu instid0(SALU_CYCLE_1)
	s_or_b32 exec_lo, exec_lo, s11
.LBB2_3104:                             ;   in Loop: Header=BB2_2648 Depth=2
	s_delay_alu instid0(SALU_CYCLE_1) | instskip(SKIP_3) | instid1(VALU_DEP_1)
	s_or_b32 exec_lo, exec_lo, s10
	v_lshrrev_b32_e32 v30, 16, v10
	s_mov_b32 s11, 0
	s_mov_b32 s10, exec_lo
	v_and_b32_e32 v84, 0xff, v30
	s_delay_alu instid0(VALU_DEP_1)
	v_cmpx_lt_i16_e32 0x7f, v84
	s_xor_b32 s10, exec_lo, s10
	s_cbranch_execnz .LBB2_3107
; %bb.3105:                             ;   in Loop: Header=BB2_2648 Depth=2
	s_or_saveexec_b32 s10, s10
	v_bfrev_b32_e32 v83, 1
	s_xor_b32 exec_lo, exec_lo, s10
	s_cbranch_execnz .LBB2_3110
.LBB2_3106:                             ;   in Loop: Header=BB2_2648 Depth=2
	s_or_b32 exec_lo, exec_lo, s10
	s_and_saveexec_b32 s10, s11
	s_cbranch_execnz .LBB2_3111
	s_branch .LBB2_3114
.LBB2_3107:                             ;   in Loop: Header=BB2_2648 Depth=2
	s_mov_b32 s11, -1
	s_mov_b32 s41, exec_lo
	v_cmpx_eq_u16_e32 0x80, v84
; %bb.3108:                             ;   in Loop: Header=BB2_2648 Depth=2
	s_xor_b32 s11, exec_lo, -1
; %bb.3109:                             ;   in Loop: Header=BB2_2648 Depth=2
	s_or_b32 exec_lo, exec_lo, s41
	s_delay_alu instid0(SALU_CYCLE_1)
	s_and_b32 s11, s11, exec_lo
                                        ; implicit-def: $vgpr84
	s_or_saveexec_b32 s10, s10
	v_bfrev_b32_e32 v83, 1
	s_xor_b32 exec_lo, exec_lo, s10
	s_cbranch_execz .LBB2_3106
.LBB2_3110:                             ;   in Loop: Header=BB2_2648 Depth=2
	v_cmp_ne_u16_e32 vcc_lo, 0, v84
	v_mov_b32_e32 v83, 0
	s_and_not1_b32 s11, s11, exec_lo
	s_and_b32 s41, vcc_lo, exec_lo
	s_delay_alu instid0(SALU_CYCLE_1)
	s_or_b32 s11, s11, s41
	s_or_b32 exec_lo, exec_lo, s10
	s_and_saveexec_b32 s10, s11
	s_cbranch_execz .LBB2_3114
.LBB2_3111:                             ;   in Loop: Header=BB2_2648 Depth=2
	v_and_b32_e32 v84, 0x7f, v30
	v_mov_b32_e32 v83, 0x7f800001
	s_mov_b32 s11, exec_lo
	s_delay_alu instid0(VALU_DEP_2)
	v_cmpx_ne_u32_e32 0x7f, v84
	s_cbranch_execz .LBB2_3113
; %bb.3112:                             ;   in Loop: Header=BB2_2648 Depth=2
	v_and_b32_e32 v83, 7, v30
	v_cmp_gt_u32_e32 vcc_lo, 8, v84
	s_delay_alu instid0(VALU_DEP_2) | instskip(NEXT) | instid1(VALU_DEP_1)
	v_clz_i32_u32_e32 v85, v83
	v_min_u32_e32 v85, 32, v85
	s_delay_alu instid0(VALU_DEP_1) | instskip(NEXT) | instid1(VALU_DEP_1)
	v_subrev_nc_u32_e32 v119, 28, v85
	v_lshlrev_b64_e32 v[56:57], v119, v[30:31]
	v_dual_lshrrev_b32 v119, 3, v84 :: v_dual_sub_nc_u32 v85, 29, v85
	s_delay_alu instid0(VALU_DEP_2) | instskip(NEXT) | instid1(VALU_DEP_2)
	v_dual_lshlrev_b32 v30, 24, v30 :: v_dual_bitop2_b32 v84, 7, v56 bitop3:0x40
	v_cndmask_b32_e32 v85, v119, v85, vcc_lo
	s_delay_alu instid0(VALU_DEP_2) | instskip(NEXT) | instid1(VALU_DEP_3)
	v_cndmask_b32_e32 v83, v83, v84, vcc_lo
	v_and_b32_e32 v30, 0x80000000, v30
	s_delay_alu instid0(VALU_DEP_3) | instskip(NEXT) | instid1(VALU_DEP_3)
	v_lshl_add_u32 v84, v85, 23, 0x3c000000
	v_lshlrev_b32_e32 v83, 20, v83
	s_delay_alu instid0(VALU_DEP_1)
	v_or3_b32 v83, v83, v30, v84
.LBB2_3113:                             ;   in Loop: Header=BB2_2648 Depth=2
	s_or_b32 exec_lo, exec_lo, s11
.LBB2_3114:                             ;   in Loop: Header=BB2_2648 Depth=2
	s_delay_alu instid0(SALU_CYCLE_1) | instskip(NEXT) | instid1(VALU_DEP_1)
	s_or_b32 exec_lo, exec_lo, s10
	v_dual_add_f32 v82, v82, v83 :: v_dual_mov_b32 v85, v33
                                        ; implicit-def: $vgpr119
	s_mov_b32 s10, exec_lo
	s_delay_alu instid0(VALU_DEP_1) | instskip(SKIP_1) | instid1(VALU_DEP_2)
	v_and_b32_e32 v84, 0x7f800000, v82
	v_lshrrev_b32_e32 v30, 24, v82
	v_cmpx_ne_u64_e32 0x7f800000, v[84:85]
	s_xor_b32 s11, exec_lo, s10
	s_cbranch_execz .LBB2_3128
; %bb.3115:                             ;   in Loop: Header=BB2_2648 Depth=2
	v_and_b32_e32 v84, 0x7fffffff, v82
	v_mov_b32_e32 v85, v33
	v_and_b32_e32 v30, 0x80, v30
                                        ; implicit-def: $vgpr119
	s_mov_b32 s10, exec_lo
	s_delay_alu instid0(VALU_DEP_2)
	v_cmpx_gt_u64_e32 0x43e00001, v[84:85]
	s_xor_b32 s41, exec_lo, s10
	s_cbranch_execz .LBB2_3125
; %bb.3116:                             ;   in Loop: Header=BB2_2648 Depth=2
	v_mov_b32_e32 v119, 0
	s_mov_b32 s42, exec_lo
	v_cmpx_ne_u32_e32 0, v82
	s_cbranch_execz .LBB2_3124
; %bb.3117:                             ;   in Loop: Header=BB2_2648 Depth=2
	v_bfe_u32 v119, v82, 23, 8
	v_and_b32_e32 v84, 0x7fffff, v82
	s_mov_b32 s43, exec_lo
	s_delay_alu instid0(VALU_DEP_2) | instskip(NEXT) | instid1(VALU_DEP_2)
	v_cmp_gt_u32_e32 vcc_lo, 0x7a, v119
	v_or_b32_e32 v85, 0x800000, v84
	v_sub_nc_u32_e32 v83, 0x79, v119
	s_delay_alu instid0(VALU_DEP_1) | instskip(SKIP_1) | instid1(VALU_DEP_2)
	v_cndmask_b32_e32 v83, 0, v83, vcc_lo
	v_cmp_eq_u32_e32 vcc_lo, 0, v119
	v_cndmask_b32_e64 v42, v83, 0x78, vcc_lo
	v_cndmask_b32_e32 v84, v85, v84, vcc_lo
	s_delay_alu instid0(VALU_DEP_2) | instskip(SKIP_1) | instid1(VALU_DEP_2)
	v_dual_mov_b32 v85, v33 :: v_dual_add_nc_u32 v56, 19, v42
	v_add_nc_u32_e32 v82, 20, v42
	v_lshlrev_b64_e64 v[56:57], v56, 1
	s_delay_alu instid0(VALU_DEP_2) | instskip(NEXT) | instid1(VALU_DEP_1)
	v_lshlrev_b64_e64 v[82:83], v82, -1
	v_bfi_b32 v59, v83, 0, 0
	s_delay_alu instid0(VALU_DEP_2) | instskip(SKIP_1) | instid1(VALU_DEP_1)
	v_bfi_b32 v58, v82, 0, v84
	v_lshrrev_b64 v[82:83], v42, v[84:85]
	v_mov_b64_e32 v[84:85], v[82:83]
	s_delay_alu instid0(VALU_DEP_3)
	v_cmpx_eq_u64_e64 v[58:59], v[56:57]
; %bb.3118:                             ;   in Loop: Header=BB2_2648 Depth=2
	v_bfe_u32 v84, v82, 20, 1
	v_mov_b32_e32 v85, v33
	s_delay_alu instid0(VALU_DEP_1) | instskip(NEXT) | instid1(VALU_DEP_1)
	v_add_nc_u64_e32 v[84:85], v[82:83], v[84:85]
	v_add_nc_u64_e32 v[84:85], -1, v[84:85]
; %bb.3119:                             ;   in Loop: Header=BB2_2648 Depth=2
	s_or_b32 exec_lo, exec_lo, s43
	v_add_nc_u32_e32 v83, 0xffffff81, v119
	v_lshrrev_b32_e32 v85, 23, v82
	s_mov_b32 s10, exec_lo
	s_delay_alu instid0(VALU_DEP_2) | instskip(NEXT) | instid1(VALU_DEP_1)
	v_cndmask_b32_e64 v83, v83, 0xffffff82, vcc_lo
	v_add3_u32 v85, v42, v83, v85
	v_and_b32_e32 v83, 0xfffff, v84
                                        ; implicit-def: $vgpr84
	s_delay_alu instid0(VALU_DEP_1) | instskip(SKIP_1) | instid1(VALU_DEP_2)
	v_dual_add_nc_u32 v119, 6, v85 :: v_dual_add_nc_u32 v82, v83, v82
	v_mov_b32_e32 v83, v33
	v_cmpx_ne_u32_e32 0, v119
	s_xor_b32 s10, exec_lo, s10
; %bb.3120:                             ;   in Loop: Header=BB2_2648 Depth=2
	s_delay_alu instid0(VALU_DEP_2) | instskip(SKIP_2) | instid1(VALU_DEP_2)
	v_cmp_lt_u64_e32 vcc_lo, 0xffffff, v[82:83]
	v_add_nc_u32_e32 v84, 7, v85
	v_cndmask_b32_e64 v85, 0, 1, vcc_lo
	v_cndmask_b32_e32 v84, v119, v84, vcc_lo
	s_delay_alu instid0(VALU_DEP_2)
	v_lshrrev_b64 v[82:83], v85, v[82:83]
; %bb.3121:                             ;   in Loop: Header=BB2_2648 Depth=2
	s_and_not1_saveexec_b32 s10, s10
; %bb.3122:                             ;   in Loop: Header=BB2_2648 Depth=2
	s_delay_alu instid0(VALU_DEP_1)
	v_bfe_u32 v84, v82, 23, 1
; %bb.3123:                             ;   in Loop: Header=BB2_2648 Depth=2
	s_or_b32 exec_lo, exec_lo, s10
	s_delay_alu instid0(VALU_DEP_2) | instskip(NEXT) | instid1(VALU_DEP_2)
	v_lshrrev_b64 v[82:83], 20, v[82:83]
	v_cmp_gt_i32_e32 vcc_lo, 16, v84
	v_min_i32_e32 v85, 15, v84
	v_cmp_eq_u32_e64 s10, 0, v84
	s_delay_alu instid0(VALU_DEP_2) | instskip(SKIP_1) | instid1(VALU_DEP_2)
	v_dual_cndmask_b32 v83, 0, v83, vcc_lo :: v_dual_lshlrev_b32 v85, 3, v85
	v_cndmask_b32_e32 v82, 7, v82, vcc_lo
	v_and_b32_e32 v85, 0xf8, v85
	s_delay_alu instid0(VALU_DEP_2) | instskip(NEXT) | instid1(VALU_DEP_2)
	v_cmp_eq_u64_e32 vcc_lo, 0, v[82:83]
	v_and_or_b32 v82, v82, 7, v85
	s_and_b32 s10, s10, vcc_lo
	s_delay_alu instid0(VALU_DEP_1) | instid1(SALU_CYCLE_1)
	v_cndmask_b32_e64 v82, v82, 0, s10
	s_delay_alu instid0(VALU_DEP_1)
	v_or_b32_e32 v119, v82, v30
.LBB2_3124:                             ;   in Loop: Header=BB2_2648 Depth=2
	s_or_b32 exec_lo, exec_lo, s42
                                        ; implicit-def: $vgpr30
.LBB2_3125:                             ;   in Loop: Header=BB2_2648 Depth=2
	s_and_not1_saveexec_b32 s10, s41
; %bb.3126:                             ;   in Loop: Header=BB2_2648 Depth=2
	v_or_b32_e32 v119, 0x7e, v30
; %bb.3127:                             ;   in Loop: Header=BB2_2648 Depth=2
	s_or_b32 exec_lo, exec_lo, s10
                                        ; implicit-def: $vgpr30
.LBB2_3128:                             ;   in Loop: Header=BB2_2648 Depth=2
	s_and_not1_saveexec_b32 s10, s11
; %bb.3129:                             ;   in Loop: Header=BB2_2648 Depth=2
	v_or_b32_e32 v119, 0x7f, v30
; %bb.3130:                             ;   in Loop: Header=BB2_2648 Depth=2
	s_or_b32 exec_lo, exec_lo, s10
	v_mov_b32_e32 v82, 0
	s_mov_b32 s10, exec_lo
	v_cmpx_lt_u32_e32 0xffffff, v32
	s_cbranch_execz .LBB2_3138
; %bb.3131:                             ;   in Loop: Header=BB2_2648 Depth=2
	v_lshrrev_b32_e32 v30, 24, v32
	v_bfrev_b32_e32 v82, 1
	s_mov_b32 s11, exec_lo
	s_delay_alu instid0(VALU_DEP_2)
	v_cmpx_ne_u32_e32 0x80, v30
	s_cbranch_execz .LBB2_3137
; %bb.3132:                             ;   in Loop: Header=BB2_2648 Depth=2
	v_bfe_u32 v83, v32, 24, 7
	v_mov_b32_e32 v82, 0x7f800001
	s_mov_b32 s41, exec_lo
	s_delay_alu instid0(VALU_DEP_2)
	v_cmpx_ne_u32_e32 0x7f, v83
	s_cbranch_execz .LBB2_3136
; %bb.3133:                             ;   in Loop: Header=BB2_2648 Depth=2
	v_dual_lshrrev_b32 v82, 3, v83 :: v_dual_bitop2_b32 v32, 7, v30 bitop3:0x40
	s_mov_b32 s42, exec_lo
	v_cmpx_gt_u32_e32 8, v83
; %bb.3134:                             ;   in Loop: Header=BB2_2648 Depth=2
	s_delay_alu instid0(VALU_DEP_2) | instskip(NEXT) | instid1(VALU_DEP_1)
	v_clz_i32_u32_e32 v82, v32
	v_min_u32_e32 v82, 32, v82
	s_delay_alu instid0(VALU_DEP_1) | instskip(NEXT) | instid1(VALU_DEP_1)
	v_subrev_nc_u32_e32 v83, 28, v82
	v_lshlrev_b64_e32 v[84:85], v83, v[32:33]
	s_delay_alu instid0(VALU_DEP_1)
	v_dual_sub_nc_u32 v82, 29, v82 :: v_dual_bitop2_b32 v32, 7, v84 bitop3:0x40
; %bb.3135:                             ;   in Loop: Header=BB2_2648 Depth=2
	s_or_b32 exec_lo, exec_lo, s42
	s_delay_alu instid0(VALU_DEP_1) | instskip(NEXT) | instid1(VALU_DEP_2)
	v_dual_lshlrev_b32 v30, 24, v30 :: v_dual_lshlrev_b32 v32, 20, v32
	v_lshl_add_u32 v82, v82, 23, 0x3c000000
	s_delay_alu instid0(VALU_DEP_2) | instskip(NEXT) | instid1(VALU_DEP_1)
	v_and_b32_e32 v30, 0x80000000, v30
	v_or3_b32 v82, v32, v30, v82
.LBB2_3136:                             ;   in Loop: Header=BB2_2648 Depth=2
	s_or_b32 exec_lo, exec_lo, s41
.LBB2_3137:                             ;   in Loop: Header=BB2_2648 Depth=2
	s_delay_alu instid0(SALU_CYCLE_1)
	s_or_b32 exec_lo, exec_lo, s11
.LBB2_3138:                             ;   in Loop: Header=BB2_2648 Depth=2
	s_delay_alu instid0(SALU_CYCLE_1) | instskip(SKIP_3) | instid1(VALU_DEP_3)
	s_or_b32 exec_lo, exec_lo, s10
	v_lshrrev_b32_e32 v30, 24, v10
	v_bfe_u32 v32, v10, 24, 7
	v_cmp_gt_u32_e64 s11, 0x1000000, v10
	v_cmp_eq_u32_e32 vcc_lo, 0x80, v30
	s_delay_alu instid0(VALU_DEP_3) | instskip(SKIP_2) | instid1(VALU_DEP_1)
	v_cmp_eq_u32_e64 s10, 0x7f, v32
	v_cndmask_b32_e32 v83, 0x7f800001, v99, vcc_lo
	s_or_b32 s10, vcc_lo, s10
	v_cndmask_b32_e64 v83, v83, 0, s11
	s_nor_b32 s11, s11, s10
	s_delay_alu instid0(SALU_CYCLE_1)
	s_and_saveexec_b32 s10, s11
	s_cbranch_execz .LBB2_3140
; %bb.3139:                             ;   in Loop: Header=BB2_2648 Depth=2
	v_and_b32_e32 v83, 7, v30
	v_cmp_gt_u32_e32 vcc_lo, 8, v32
	s_delay_alu instid0(VALU_DEP_2) | instskip(NEXT) | instid1(VALU_DEP_1)
	v_clz_i32_u32_e32 v84, v83
	v_min_u32_e32 v42, 32, v84
	s_delay_alu instid0(VALU_DEP_1) | instskip(NEXT) | instid1(VALU_DEP_1)
	v_subrev_nc_u32_e32 v84, 28, v42
	v_lshlrev_b64_e32 v[84:85], v84, v[30:31]
	v_dual_lshrrev_b32 v85, 3, v32 :: v_dual_sub_nc_u32 v42, 29, v42
	s_delay_alu instid0(VALU_DEP_2) | instskip(NEXT) | instid1(VALU_DEP_1)
	v_dual_lshlrev_b32 v30, 24, v30 :: v_dual_bitop2_b32 v32, 7, v84 bitop3:0x40
	v_dual_cndmask_b32 v32, v83, v32, vcc_lo :: v_dual_cndmask_b32 v84, v85, v42, vcc_lo
	s_delay_alu instid0(VALU_DEP_2) | instskip(NEXT) | instid1(VALU_DEP_2)
	v_and_b32_e32 v30, 0x80000000, v30
	v_lshlrev_b32_e32 v32, 20, v32
	s_delay_alu instid0(VALU_DEP_3) | instskip(NEXT) | instid1(VALU_DEP_1)
	v_lshl_add_u32 v83, v84, 23, 0x3c000000
	v_or3_b32 v83, v32, v30, v83
.LBB2_3140:                             ;   in Loop: Header=BB2_2648 Depth=2
	s_or_b32 exec_lo, exec_lo, s10
	s_delay_alu instid0(VALU_DEP_1) | instskip(SKIP_1) | instid1(VALU_DEP_1)
	v_add_f32_e32 v82, v82, v83
                                        ; implicit-def: $vgpr42
	s_mov_b32 s10, exec_lo
	v_and_b32_e32 v32, 0x7f800000, v82
	v_lshrrev_b32_e32 v30, 24, v82
	s_delay_alu instid0(VALU_DEP_2)
	v_cmpx_ne_u64_e32 0x7f800000, v[32:33]
	s_xor_b32 s11, exec_lo, s10
	s_cbranch_execz .LBB2_3154
; %bb.3141:                             ;   in Loop: Header=BB2_2648 Depth=2
	v_and_b32_e32 v32, 0x7fffffff, v82
	v_and_b32_e32 v30, 0x80, v30
                                        ; implicit-def: $vgpr42
	s_mov_b32 s10, exec_lo
	s_delay_alu instid0(VALU_DEP_2)
	v_cmpx_gt_u64_e32 0x43e00001, v[32:33]
	s_xor_b32 s41, exec_lo, s10
	s_cbranch_execz .LBB2_3151
; %bb.3142:                             ;   in Loop: Header=BB2_2648 Depth=2
	v_mov_b32_e32 v42, 0
	s_mov_b32 s42, exec_lo
	v_cmpx_ne_u32_e32 0, v82
	s_cbranch_execz .LBB2_3150
; %bb.3143:                             ;   in Loop: Header=BB2_2648 Depth=2
	v_bfe_u32 v42, v82, 23, 8
	s_delay_alu instid0(VALU_DEP_1) | instskip(SKIP_1) | instid1(VALU_DEP_2)
	v_sub_nc_u32_e32 v32, 0x79, v42
	v_cmp_gt_u32_e32 vcc_lo, 0x7a, v42
	v_cndmask_b32_e32 v32, 0, v32, vcc_lo
	v_cmp_eq_u32_e32 vcc_lo, 0, v42
	s_delay_alu instid0(VALU_DEP_2) | instskip(SKIP_1) | instid1(VALU_DEP_2)
	v_cndmask_b32_e64 v56, v32, 0x78, vcc_lo
	v_and_b32_e32 v32, 0x7fffff, v82
	v_dual_add_nc_u32 v82, 20, v56 :: v_dual_add_nc_u32 v85, 19, v56
	s_delay_alu instid0(VALU_DEP_2) | instskip(NEXT) | instid1(VALU_DEP_2)
	v_or_b32_e32 v84, 0x800000, v32
	v_lshlrev_b64_e64 v[82:83], v82, -1
	s_delay_alu instid0(VALU_DEP_2) | instskip(NEXT) | instid1(VALU_DEP_4)
	v_cndmask_b32_e32 v32, v84, v32, vcc_lo
	v_lshlrev_b64_e64 v[84:85], v85, 1
	s_delay_alu instid0(VALU_DEP_3) | instskip(NEXT) | instid1(VALU_DEP_3)
	v_bfi_b32 v59, v83, 0, 0
	v_bfi_b32 v58, v82, 0, v32
	v_lshrrev_b64 v[82:83], v56, v[32:33]
	s_delay_alu instid0(VALU_DEP_2) | instskip(NEXT) | instid1(VALU_DEP_2)
	v_cmp_eq_u64_e64 s10, v[58:59], v[84:85]
	v_mov_b64_e32 v[84:85], v[82:83]
	s_and_saveexec_b32 s43, s10
; %bb.3144:                             ;   in Loop: Header=BB2_2648 Depth=2
	v_bfe_u32 v32, v82, 20, 1
	s_delay_alu instid0(VALU_DEP_1) | instskip(NEXT) | instid1(VALU_DEP_1)
	v_add_nc_u64_e32 v[84:85], v[82:83], v[32:33]
	v_add_nc_u64_e32 v[84:85], -1, v[84:85]
; %bb.3145:                             ;   in Loop: Header=BB2_2648 Depth=2
	s_or_b32 exec_lo, exec_lo, s43
	v_add_nc_u32_e32 v32, 0xffffff81, v42
	v_lshrrev_b32_e32 v83, 23, v82
	s_mov_b32 s10, exec_lo
	s_delay_alu instid0(VALU_DEP_2) | instskip(NEXT) | instid1(VALU_DEP_1)
	v_cndmask_b32_e64 v32, v32, 0xffffff82, vcc_lo
	v_add3_u32 v85, v56, v32, v83
	v_and_b32_e32 v32, 0xfffff, v84
                                        ; implicit-def: $vgpr84
	s_delay_alu instid0(VALU_DEP_1) | instskip(NEXT) | instid1(VALU_DEP_1)
	v_dual_add_nc_u32 v42, 6, v85 :: v_dual_add_nc_u32 v32, v32, v82
                                        ; implicit-def: $vgpr82_vgpr83
	v_cmpx_ne_u32_e32 0, v42
	s_xor_b32 s10, exec_lo, s10
; %bb.3146:                             ;   in Loop: Header=BB2_2648 Depth=2
	s_delay_alu instid0(VALU_DEP_2) | instskip(SKIP_1) | instid1(VALU_DEP_1)
	v_cmp_lt_u64_e32 vcc_lo, 0xffffff, v[32:33]
	v_add_nc_u32_e32 v82, 7, v85
	v_cndmask_b32_e32 v84, v42, v82, vcc_lo
	v_cndmask_b32_e64 v82, 0, 1, vcc_lo
	s_delay_alu instid0(VALU_DEP_1)
	v_lshrrev_b64 v[82:83], v82, v[32:33]
; %bb.3147:                             ;   in Loop: Header=BB2_2648 Depth=2
	s_and_not1_saveexec_b32 s10, s10
; %bb.3148:                             ;   in Loop: Header=BB2_2648 Depth=2
	v_mov_b64_e32 v[82:83], v[32:33]
	v_bfe_u32 v84, v32, 23, 1
; %bb.3149:                             ;   in Loop: Header=BB2_2648 Depth=2
	s_or_b32 exec_lo, exec_lo, s10
	s_delay_alu instid0(VALU_DEP_2) | instskip(NEXT) | instid1(VALU_DEP_2)
	v_lshrrev_b64 v[82:83], 20, v[82:83]
	v_cmp_gt_i32_e32 vcc_lo, 16, v84
	v_min_i32_e32 v32, 15, v84
	v_cmp_eq_u32_e64 s10, 0, v84
	s_delay_alu instid0(VALU_DEP_2) | instskip(SKIP_1) | instid1(VALU_DEP_2)
	v_dual_cndmask_b32 v83, 0, v83 :: v_dual_lshlrev_b32 v32, 3, v32
	v_cndmask_b32_e32 v82, 7, v82, vcc_lo
	v_and_b32_e32 v32, 0xf8, v32
	s_delay_alu instid0(VALU_DEP_2) | instskip(NEXT) | instid1(VALU_DEP_2)
	v_cmp_eq_u64_e32 vcc_lo, 0, v[82:83]
	v_and_or_b32 v32, v82, 7, v32
	s_and_b32 s10, s10, vcc_lo
	s_delay_alu instid0(VALU_DEP_1) | instid1(SALU_CYCLE_1)
	v_cndmask_b32_e64 v32, v32, 0, s10
	s_delay_alu instid0(VALU_DEP_1)
	v_or_b32_e32 v42, v32, v30
.LBB2_3150:                             ;   in Loop: Header=BB2_2648 Depth=2
	s_or_b32 exec_lo, exec_lo, s42
                                        ; implicit-def: $vgpr30
.LBB2_3151:                             ;   in Loop: Header=BB2_2648 Depth=2
	s_and_not1_saveexec_b32 s10, s41
; %bb.3152:                             ;   in Loop: Header=BB2_2648 Depth=2
	v_or_b32_e32 v42, 0x7e, v30
; %bb.3153:                             ;   in Loop: Header=BB2_2648 Depth=2
	s_or_b32 exec_lo, exec_lo, s10
                                        ; implicit-def: $vgpr30
.LBB2_3154:                             ;   in Loop: Header=BB2_2648 Depth=2
	s_and_not1_saveexec_b32 s10, s11
; %bb.3155:                             ;   in Loop: Header=BB2_2648 Depth=2
	v_or_b32_e32 v42, 0x7f, v30
; %bb.3156:                             ;   in Loop: Header=BB2_2648 Depth=2
	s_or_b32 exec_lo, exec_lo, s10
	v_lshl_or_b32 v30, v87, 8, v86
	v_dual_lshlrev_b32 v32, 16, v46 :: v_dual_lshlrev_b32 v82, 24, v47
	v_mov_b32_e32 v84, 0
	s_mov_b32 s10, exec_lo
	s_delay_alu instid0(VALU_DEP_2)
	v_or3_b32 v32, v32, v82, v30
	v_cmpx_ne_u32_e32 0, v86
	s_cbranch_execz .LBB2_3162
; %bb.3157:                             ;   in Loop: Header=BB2_2648 Depth=2
	v_bfrev_b32_e32 v84, 1
	s_mov_b32 s11, exec_lo
	v_cmpx_ne_u32_e32 0x80, v86
	s_cbranch_execz .LBB2_3161
; %bb.3158:                             ;   in Loop: Header=BB2_2648 Depth=2
	v_and_b32_e32 v82, 0x7f, v86
	v_mov_b32_e32 v84, 0x7f800001
	s_mov_b32 s41, exec_lo
	s_delay_alu instid0(VALU_DEP_2)
	v_cmpx_ne_u32_e32 0x7f, v82
	s_cbranch_execz .LBB2_3160
; %bb.3159:                             ;   in Loop: Header=BB2_2648 Depth=2
	v_cmp_gt_u32_e32 vcc_lo, 8, v82
	v_and_b32_e32 v83, 7, v86
	s_delay_alu instid0(VALU_DEP_1) | instskip(NEXT) | instid1(VALU_DEP_1)
	v_clz_i32_u32_e32 v83, v83
	v_min_u32_e32 v83, 32, v83
	v_lshrrev_b32_e32 v84, 3, v82
	s_delay_alu instid0(VALU_DEP_2) | instskip(NEXT) | instid1(VALU_DEP_1)
	v_subrev_nc_u32_e32 v85, 28, v83
	v_dual_cndmask_b32 v82, 0, v85 :: v_dual_sub_nc_u32 v83, 29, v83
	s_delay_alu instid0(VALU_DEP_1) | instskip(NEXT) | instid1(VALU_DEP_2)
	v_cndmask_b32_e32 v84, v84, v83, vcc_lo
	v_lshlrev_b64_e32 v[82:83], v82, v[32:33]
	v_lshlrev_b32_e32 v83, 24, v32
	s_delay_alu instid0(VALU_DEP_3) | instskip(NEXT) | instid1(VALU_DEP_2)
	v_lshl_add_u32 v84, v84, 23, 0x3c000000
	v_and_b32_e32 v83, 0x80000000, v83
	s_delay_alu instid0(VALU_DEP_4) | instskip(NEXT) | instid1(VALU_DEP_1)
	v_lshlrev_b32_e32 v82, 20, v82
	v_and_b32_e32 v82, 0x700000, v82
	s_delay_alu instid0(VALU_DEP_1)
	v_or3_b32 v84, v82, v83, v84
.LBB2_3160:                             ;   in Loop: Header=BB2_2648 Depth=2
	s_or_b32 exec_lo, exec_lo, s41
.LBB2_3161:                             ;   in Loop: Header=BB2_2648 Depth=2
	s_delay_alu instid0(SALU_CYCLE_1)
	s_or_b32 exec_lo, exec_lo, s11
.LBB2_3162:                             ;   in Loop: Header=BB2_2648 Depth=2
	s_delay_alu instid0(SALU_CYCLE_1) | instskip(SKIP_4) | instid1(VALU_DEP_2)
	s_or_b32 exec_lo, exec_lo, s10
	v_and_b32_e32 v83, 0xff, v11
	v_mov_b32_e32 v82, v11
	s_mov_b32 s10, 0
	s_mov_b32 s11, exec_lo
	v_cmpx_lt_i16_e32 0x7f, v83
	s_xor_b32 s11, exec_lo, s11
	s_cbranch_execnz .LBB2_3193
; %bb.3163:                             ;   in Loop: Header=BB2_2648 Depth=2
	s_or_saveexec_b32 s11, s11
	v_bfrev_b32_e32 v85, 1
	s_xor_b32 exec_lo, exec_lo, s11
	s_cbranch_execnz .LBB2_3196
.LBB2_3164:                             ;   in Loop: Header=BB2_2648 Depth=2
	s_or_b32 exec_lo, exec_lo, s11
	v_mov_b32_e32 v83, v33
	s_and_saveexec_b32 s11, s10
	s_cbranch_execz .LBB2_3166
.LBB2_3165:                             ;   in Loop: Header=BB2_2648 Depth=2
	v_and_b32_e32 v85, 7, v11
	v_and_b32_e32 v46, 0x7f, v11
	v_bfe_u32 v86, v11, 3, 4
	s_delay_alu instid0(VALU_DEP_3) | instskip(NEXT) | instid1(VALU_DEP_3)
	v_clz_i32_u32_e32 v85, v85
	v_cmp_gt_u32_e32 vcc_lo, 8, v46
	s_delay_alu instid0(VALU_DEP_2) | instskip(NEXT) | instid1(VALU_DEP_1)
	v_min_u32_e32 v85, 32, v85
	v_subrev_nc_u32_e32 v87, 28, v85
	v_sub_nc_u32_e32 v85, 29, v85
	s_delay_alu instid0(VALU_DEP_1) | instskip(SKIP_1) | instid1(VALU_DEP_2)
	v_dual_cndmask_b32 v85, v86, v85 :: v_dual_cndmask_b32 v86, 0, v87
	v_cmp_ne_u32_e32 vcc_lo, 0x7f, v46
	v_lshlrev_b64_e32 v[86:87], v86, v[82:83]
	v_lshlrev_b32_e32 v83, 24, v82
	s_delay_alu instid0(VALU_DEP_1) | instskip(NEXT) | instid1(VALU_DEP_3)
	v_and_b32_e32 v83, 0x80000000, v83
	v_lshlrev_b32_e32 v86, 20, v86
	v_lshl_add_u32 v85, v85, 23, 0x3c000000
	s_delay_alu instid0(VALU_DEP_2) | instskip(NEXT) | instid1(VALU_DEP_1)
	v_and_b32_e32 v86, 0x700000, v86
	v_or3_b32 v83, v86, v83, v85
	s_delay_alu instid0(VALU_DEP_1)
	v_cndmask_b32_e32 v85, 0x7f800001, v83, vcc_lo
.LBB2_3166:                             ;   in Loop: Header=BB2_2648 Depth=2
	s_or_b32 exec_lo, exec_lo, s11
	s_delay_alu instid0(VALU_DEP_1) | instskip(NEXT) | instid1(VALU_DEP_1)
	v_dual_add_f32 v84, v84, v85 :: v_dual_mov_b32 v87, v33
	v_and_b32_e32 v86, 0x7f800000, v84
	v_lshrrev_b32_e32 v83, 24, v84
	s_delay_alu instid0(VALU_DEP_2) | instskip(SKIP_1) | instid1(SALU_CYCLE_1)
	v_cmp_ne_u64_e32 vcc_lo, 0x7f800000, v[86:87]
                                        ; implicit-def: $vgpr86
	s_and_saveexec_b32 s10, vcc_lo
	s_xor_b32 s11, exec_lo, s10
	s_cbranch_execz .LBB2_3180
; %bb.3167:                             ;   in Loop: Header=BB2_2648 Depth=2
	v_and_b32_e32 v86, 0x7fffffff, v84
	v_mov_b32_e32 v87, v33
	v_and_b32_e32 v83, 0x80, v83
	s_delay_alu instid0(VALU_DEP_2) | instskip(SKIP_1) | instid1(SALU_CYCLE_1)
	v_cmp_gt_u64_e32 vcc_lo, 0x43e00001, v[86:87]
                                        ; implicit-def: $vgpr86
	s_and_saveexec_b32 s10, vcc_lo
	s_xor_b32 s41, exec_lo, s10
	s_cbranch_execz .LBB2_3177
; %bb.3168:                             ;   in Loop: Header=BB2_2648 Depth=2
	v_mov_b32_e32 v86, 0
	s_mov_b32 s42, exec_lo
	v_cmpx_ne_u32_e32 0, v84
	s_cbranch_execz .LBB2_3176
; %bb.3169:                             ;   in Loop: Header=BB2_2648 Depth=2
	v_bfe_u32 v46, v84, 23, 8
	v_and_b32_e32 v86, 0x7fffff, v84
	s_mov_b32 s43, exec_lo
	s_delay_alu instid0(VALU_DEP_2) | instskip(SKIP_1) | instid1(VALU_DEP_3)
	v_sub_nc_u32_e32 v85, 0x79, v46
	v_cmp_gt_u32_e32 vcc_lo, 0x7a, v46
	v_or_b32_e32 v87, 0x800000, v86
	s_delay_alu instid0(VALU_DEP_3) | instskip(SKIP_1) | instid1(VALU_DEP_2)
	v_cndmask_b32_e32 v85, 0, v85, vcc_lo
	v_cmp_eq_u32_e32 vcc_lo, 0, v46
	v_cndmask_b32_e64 v47, v85, 0x78, vcc_lo
	s_delay_alu instid0(VALU_DEP_4) | instskip(NEXT) | instid1(VALU_DEP_2)
	v_dual_cndmask_b32 v86, v87, v86 :: v_dual_mov_b32 v87, v33
	v_dual_add_nc_u32 v84, 20, v47 :: v_dual_add_nc_u32 v56, 19, v47
	s_delay_alu instid0(VALU_DEP_1) | instskip(NEXT) | instid1(VALU_DEP_2)
	v_lshlrev_b64_e64 v[84:85], v84, -1
	v_lshlrev_b64_e64 v[56:57], v56, 1
	s_delay_alu instid0(VALU_DEP_2) | instskip(NEXT) | instid1(VALU_DEP_3)
	v_bfi_b32 v59, v85, 0, 0
	v_bfi_b32 v58, v84, 0, v86
	v_lshrrev_b64 v[84:85], v47, v[86:87]
	s_delay_alu instid0(VALU_DEP_1) | instskip(NEXT) | instid1(VALU_DEP_3)
	v_mov_b64_e32 v[86:87], v[84:85]
	v_cmpx_eq_u64_e64 v[58:59], v[56:57]
; %bb.3170:                             ;   in Loop: Header=BB2_2648 Depth=2
	v_bfe_u32 v86, v84, 20, 1
	v_mov_b32_e32 v87, v33
	s_delay_alu instid0(VALU_DEP_1) | instskip(NEXT) | instid1(VALU_DEP_1)
	v_add_nc_u64_e32 v[86:87], v[84:85], v[86:87]
	v_add_nc_u64_e32 v[86:87], -1, v[86:87]
; %bb.3171:                             ;   in Loop: Header=BB2_2648 Depth=2
	s_or_b32 exec_lo, exec_lo, s43
	v_add_nc_u32_e32 v85, 0xffffff81, v46
	v_lshrrev_b32_e32 v87, 23, v84
	s_mov_b32 s10, exec_lo
	s_delay_alu instid0(VALU_DEP_2) | instskip(NEXT) | instid1(VALU_DEP_1)
	v_cndmask_b32_e64 v85, v85, 0xffffff82, vcc_lo
	v_add3_u32 v87, v47, v85, v87
	v_and_b32_e32 v85, 0xfffff, v86
                                        ; implicit-def: $vgpr86
	s_delay_alu instid0(VALU_DEP_1) | instskip(SKIP_1) | instid1(VALU_DEP_2)
	v_dual_add_nc_u32 v46, 6, v87 :: v_dual_add_nc_u32 v84, v85, v84
	v_mov_b32_e32 v85, v33
	v_cmpx_ne_u32_e32 0, v46
	s_xor_b32 s10, exec_lo, s10
; %bb.3172:                             ;   in Loop: Header=BB2_2648 Depth=2
	s_delay_alu instid0(VALU_DEP_2) | instskip(SKIP_2) | instid1(VALU_DEP_2)
	v_cmp_lt_u64_e32 vcc_lo, 0xffffff, v[84:85]
	v_add_nc_u32_e32 v86, 7, v87
	v_cndmask_b32_e64 v87, 0, 1, vcc_lo
	v_cndmask_b32_e32 v86, v46, v86, vcc_lo
	s_delay_alu instid0(VALU_DEP_2)
	v_lshrrev_b64 v[84:85], v87, v[84:85]
; %bb.3173:                             ;   in Loop: Header=BB2_2648 Depth=2
	s_and_not1_saveexec_b32 s10, s10
; %bb.3174:                             ;   in Loop: Header=BB2_2648 Depth=2
	s_delay_alu instid0(VALU_DEP_1)
	v_bfe_u32 v86, v84, 23, 1
; %bb.3175:                             ;   in Loop: Header=BB2_2648 Depth=2
	s_or_b32 exec_lo, exec_lo, s10
	s_delay_alu instid0(VALU_DEP_2) | instskip(NEXT) | instid1(VALU_DEP_2)
	v_lshrrev_b64 v[84:85], 20, v[84:85]
	v_cmp_gt_i32_e32 vcc_lo, 16, v86
	v_min_i32_e32 v87, 15, v86
	v_cmp_eq_u32_e64 s10, 0, v86
	s_delay_alu instid0(VALU_DEP_2) | instskip(SKIP_1) | instid1(VALU_DEP_2)
	v_dual_cndmask_b32 v85, 0, v85, vcc_lo :: v_dual_lshlrev_b32 v87, 3, v87
	v_cndmask_b32_e32 v84, 7, v84, vcc_lo
	v_and_b32_e32 v87, 0xf8, v87
	s_delay_alu instid0(VALU_DEP_2) | instskip(NEXT) | instid1(VALU_DEP_2)
	v_cmp_eq_u64_e32 vcc_lo, 0, v[84:85]
	v_and_or_b32 v84, v84, 7, v87
	s_and_b32 s10, s10, vcc_lo
	s_delay_alu instid0(VALU_DEP_1) | instid1(SALU_CYCLE_1)
	v_cndmask_b32_e64 v84, v84, 0, s10
	s_delay_alu instid0(VALU_DEP_1)
	v_or_b32_e32 v86, v84, v83
.LBB2_3176:                             ;   in Loop: Header=BB2_2648 Depth=2
	s_or_b32 exec_lo, exec_lo, s42
                                        ; implicit-def: $vgpr83
.LBB2_3177:                             ;   in Loop: Header=BB2_2648 Depth=2
	s_and_not1_saveexec_b32 s10, s41
; %bb.3178:                             ;   in Loop: Header=BB2_2648 Depth=2
	v_or_b32_e32 v86, 0x7e, v83
; %bb.3179:                             ;   in Loop: Header=BB2_2648 Depth=2
	s_or_b32 exec_lo, exec_lo, s10
                                        ; implicit-def: $vgpr83
.LBB2_3180:                             ;   in Loop: Header=BB2_2648 Depth=2
	s_and_not1_saveexec_b32 s10, s11
; %bb.3181:                             ;   in Loop: Header=BB2_2648 Depth=2
	v_or_b32_e32 v86, 0x7f, v83
; %bb.3182:                             ;   in Loop: Header=BB2_2648 Depth=2
	s_or_b32 exec_lo, exec_lo, s10
	v_lshrrev_b16 v84, 8, v30
	v_mov_b32_e32 v83, 0
	s_mov_b32 s10, exec_lo
	s_delay_alu instid0(VALU_DEP_2)
	v_cmpx_ne_u16_e32 0, v84
	s_cbranch_execz .LBB2_3190
; %bb.3183:                             ;   in Loop: Header=BB2_2648 Depth=2
	v_bfrev_b32_e32 v83, 1
	s_mov_b32 s11, exec_lo
	v_cmpx_ne_u16_e32 0x80, v84
	s_cbranch_execz .LBB2_3189
; %bb.3184:                             ;   in Loop: Header=BB2_2648 Depth=2
	v_and_b32_e32 v84, 0xffff, v84
	v_mov_b32_e32 v83, 0x7f800001
	s_mov_b32 s41, exec_lo
	s_delay_alu instid0(VALU_DEP_2) | instskip(NEXT) | instid1(VALU_DEP_1)
	v_and_b32_e32 v87, 0x7f, v84
	v_cmpx_ne_u32_e32 0x7f, v87
	s_cbranch_execz .LBB2_3188
; %bb.3185:                             ;   in Loop: Header=BB2_2648 Depth=2
	v_dual_mov_b32 v85, v33 :: v_dual_bitop2_b32 v84, 7, v84 bitop3:0x40
	v_lshrrev_b32_e32 v83, 3, v87
	s_mov_b32 s42, exec_lo
	v_cmpx_gt_u32_e32 8, v87
; %bb.3186:                             ;   in Loop: Header=BB2_2648 Depth=2
	s_delay_alu instid0(VALU_DEP_3) | instskip(NEXT) | instid1(VALU_DEP_1)
	v_clz_i32_u32_e32 v83, v84
	v_min_u32_e32 v83, 32, v83
	s_delay_alu instid0(VALU_DEP_1) | instskip(NEXT) | instid1(VALU_DEP_1)
	v_subrev_nc_u32_e32 v87, 28, v83
	v_lshlrev_b64_e32 v[84:85], v87, v[84:85]
	s_delay_alu instid0(VALU_DEP_1)
	v_dual_sub_nc_u32 v83, 29, v83 :: v_dual_bitop2_b32 v84, 7, v84 bitop3:0x40
; %bb.3187:                             ;   in Loop: Header=BB2_2648 Depth=2
	s_or_b32 exec_lo, exec_lo, s42
	s_delay_alu instid0(VALU_DEP_1) | instskip(NEXT) | instid1(VALU_DEP_2)
	v_dual_lshlrev_b32 v30, 16, v30 :: v_dual_lshlrev_b32 v84, 20, v84
	v_lshl_add_u32 v83, v83, 23, 0x3c000000
	s_delay_alu instid0(VALU_DEP_2) | instskip(NEXT) | instid1(VALU_DEP_1)
	v_and_b32_e32 v30, 0x80000000, v30
	v_or3_b32 v83, v84, v30, v83
.LBB2_3188:                             ;   in Loop: Header=BB2_2648 Depth=2
	s_or_b32 exec_lo, exec_lo, s41
.LBB2_3189:                             ;   in Loop: Header=BB2_2648 Depth=2
	s_delay_alu instid0(SALU_CYCLE_1)
	s_or_b32 exec_lo, exec_lo, s11
.LBB2_3190:                             ;   in Loop: Header=BB2_2648 Depth=2
	s_delay_alu instid0(SALU_CYCLE_1) | instskip(SKIP_3) | instid1(VALU_DEP_1)
	s_or_b32 exec_lo, exec_lo, s10
	v_lshrrev_b16 v82, 8, v82
	s_mov_b32 s11, 0
	s_mov_b32 s10, exec_lo
	v_cmpx_lt_i16_e32 0x7f, v82
	s_xor_b32 s10, exec_lo, s10
	s_cbranch_execnz .LBB2_3197
; %bb.3191:                             ;   in Loop: Header=BB2_2648 Depth=2
	s_or_saveexec_b32 s10, s10
	v_bfrev_b32_e32 v84, 1
	s_xor_b32 exec_lo, exec_lo, s10
	s_cbranch_execnz .LBB2_3200
.LBB2_3192:                             ;   in Loop: Header=BB2_2648 Depth=2
	s_or_b32 exec_lo, exec_lo, s10
	s_and_saveexec_b32 s10, s11
	s_cbranch_execnz .LBB2_3201
	s_branch .LBB2_3204
.LBB2_3193:                             ;   in Loop: Header=BB2_2648 Depth=2
	s_mov_b32 s10, -1
	s_mov_b32 s41, exec_lo
	v_cmpx_eq_u16_e32 0x80, v83
; %bb.3194:                             ;   in Loop: Header=BB2_2648 Depth=2
	s_xor_b32 s10, exec_lo, -1
; %bb.3195:                             ;   in Loop: Header=BB2_2648 Depth=2
	s_or_b32 exec_lo, exec_lo, s41
	s_delay_alu instid0(SALU_CYCLE_1)
	s_and_b32 s10, s10, exec_lo
                                        ; implicit-def: $vgpr83
	s_or_saveexec_b32 s11, s11
	v_bfrev_b32_e32 v85, 1
	s_xor_b32 exec_lo, exec_lo, s11
	s_cbranch_execz .LBB2_3164
.LBB2_3196:                             ;   in Loop: Header=BB2_2648 Depth=2
	v_cmp_ne_u16_e32 vcc_lo, 0, v83
	v_mov_b32_e32 v85, 0
	s_and_not1_b32 s10, s10, exec_lo
	s_and_b32 s41, vcc_lo, exec_lo
	s_delay_alu instid0(SALU_CYCLE_1)
	s_or_b32 s10, s10, s41
	s_or_b32 exec_lo, exec_lo, s11
	v_mov_b32_e32 v83, v33
	s_and_saveexec_b32 s11, s10
	s_cbranch_execnz .LBB2_3165
	s_branch .LBB2_3166
.LBB2_3197:                             ;   in Loop: Header=BB2_2648 Depth=2
	s_mov_b32 s11, -1
	s_mov_b32 s41, exec_lo
	v_cmpx_eq_u16_e32 0x80, v82
; %bb.3198:                             ;   in Loop: Header=BB2_2648 Depth=2
	s_xor_b32 s11, exec_lo, -1
; %bb.3199:                             ;   in Loop: Header=BB2_2648 Depth=2
	s_or_b32 exec_lo, exec_lo, s41
	s_delay_alu instid0(SALU_CYCLE_1)
	s_and_b32 s11, s11, exec_lo
	s_or_saveexec_b32 s10, s10
	v_bfrev_b32_e32 v84, 1
	s_xor_b32 exec_lo, exec_lo, s10
	s_cbranch_execz .LBB2_3192
.LBB2_3200:                             ;   in Loop: Header=BB2_2648 Depth=2
	v_cmp_ne_u16_e32 vcc_lo, 0, v82
	v_mov_b32_e32 v84, 0
	s_and_not1_b32 s11, s11, exec_lo
	s_and_b32 s41, vcc_lo, exec_lo
	s_delay_alu instid0(SALU_CYCLE_1)
	s_or_b32 s11, s11, s41
	s_or_b32 exec_lo, exec_lo, s10
	s_and_saveexec_b32 s10, s11
	s_cbranch_execz .LBB2_3204
.LBB2_3201:                             ;   in Loop: Header=BB2_2648 Depth=2
	v_and_b32_e32 v30, 0xffff, v82
	v_mov_b32_e32 v84, 0x7f800001
	s_mov_b32 s11, exec_lo
	s_delay_alu instid0(VALU_DEP_2) | instskip(NEXT) | instid1(VALU_DEP_1)
	v_and_b32_e32 v85, 0x7f, v30
	v_cmpx_ne_u32_e32 0x7f, v85
	s_cbranch_execz .LBB2_3203
; %bb.3202:                             ;   in Loop: Header=BB2_2648 Depth=2
	v_and_b32_e32 v84, 7, v30
	v_cmp_gt_u32_e32 vcc_lo, 8, v85
	s_delay_alu instid0(VALU_DEP_2) | instskip(NEXT) | instid1(VALU_DEP_1)
	v_clz_i32_u32_e32 v87, v84
	v_min_u32_e32 v87, 32, v87
	s_delay_alu instid0(VALU_DEP_1) | instskip(NEXT) | instid1(VALU_DEP_1)
	v_subrev_nc_u32_e32 v46, 28, v87
	v_lshlrev_b64_e32 v[46:47], v46, v[30:31]
	v_dual_lshrrev_b32 v30, 3, v85 :: v_dual_sub_nc_u32 v87, 29, v87
	s_delay_alu instid0(VALU_DEP_2) | instskip(NEXT) | instid1(VALU_DEP_2)
	v_and_b32_e32 v85, 7, v46
	v_dual_lshlrev_b32 v82, 24, v82 :: v_dual_cndmask_b32 v30, v30, v87, vcc_lo
	s_delay_alu instid0(VALU_DEP_2) | instskip(NEXT) | instid1(VALU_DEP_2)
	v_cndmask_b32_e32 v84, v84, v85, vcc_lo
	v_and_b32_e32 v82, 0x80000000, v82
	s_delay_alu instid0(VALU_DEP_3) | instskip(NEXT) | instid1(VALU_DEP_3)
	v_lshl_add_u32 v30, v30, 23, 0x3c000000
	v_lshlrev_b32_e32 v84, 20, v84
	s_delay_alu instid0(VALU_DEP_1)
	v_or3_b32 v84, v84, v82, v30
.LBB2_3203:                             ;   in Loop: Header=BB2_2648 Depth=2
	s_or_b32 exec_lo, exec_lo, s11
.LBB2_3204:                             ;   in Loop: Header=BB2_2648 Depth=2
	s_delay_alu instid0(SALU_CYCLE_1) | instskip(NEXT) | instid1(VALU_DEP_1)
	s_or_b32 exec_lo, exec_lo, s10
	v_dual_add_f32 v82, v83, v84 :: v_dual_mov_b32 v85, v33
                                        ; implicit-def: $vgpr87
	s_mov_b32 s10, exec_lo
	s_delay_alu instid0(VALU_DEP_1) | instskip(SKIP_1) | instid1(VALU_DEP_2)
	v_and_b32_e32 v84, 0x7f800000, v82
	v_lshrrev_b32_e32 v30, 24, v82
	v_cmpx_ne_u64_e32 0x7f800000, v[84:85]
	s_xor_b32 s11, exec_lo, s10
	s_cbranch_execz .LBB2_3218
; %bb.3205:                             ;   in Loop: Header=BB2_2648 Depth=2
	v_and_b32_e32 v84, 0x7fffffff, v82
	v_mov_b32_e32 v85, v33
	v_and_b32_e32 v30, 0x80, v30
                                        ; implicit-def: $vgpr87
	s_mov_b32 s10, exec_lo
	s_delay_alu instid0(VALU_DEP_2)
	v_cmpx_gt_u64_e32 0x43e00001, v[84:85]
	s_xor_b32 s41, exec_lo, s10
	s_cbranch_execz .LBB2_3215
; %bb.3206:                             ;   in Loop: Header=BB2_2648 Depth=2
	v_mov_b32_e32 v87, 0
	s_mov_b32 s42, exec_lo
	v_cmpx_ne_u32_e32 0, v82
	s_cbranch_execz .LBB2_3214
; %bb.3207:                             ;   in Loop: Header=BB2_2648 Depth=2
	v_bfe_u32 v87, v82, 23, 8
	v_and_b32_e32 v84, 0x7fffff, v82
	s_mov_b32 s43, exec_lo
	s_delay_alu instid0(VALU_DEP_2) | instskip(NEXT) | instid1(VALU_DEP_2)
	v_cmp_gt_u32_e32 vcc_lo, 0x7a, v87
	v_or_b32_e32 v85, 0x800000, v84
	v_sub_nc_u32_e32 v83, 0x79, v87
	s_delay_alu instid0(VALU_DEP_1) | instskip(SKIP_1) | instid1(VALU_DEP_2)
	v_cndmask_b32_e32 v83, 0, v83, vcc_lo
	v_cmp_eq_u32_e32 vcc_lo, 0, v87
	v_cndmask_b32_e64 v46, v83, 0x78, vcc_lo
	v_cndmask_b32_e32 v84, v85, v84, vcc_lo
	s_delay_alu instid0(VALU_DEP_2) | instskip(SKIP_1) | instid1(VALU_DEP_2)
	v_dual_mov_b32 v85, v33 :: v_dual_add_nc_u32 v47, 19, v46
	v_add_nc_u32_e32 v82, 20, v46
	v_lshlrev_b64_e64 v[56:57], v47, 1
	s_delay_alu instid0(VALU_DEP_2) | instskip(NEXT) | instid1(VALU_DEP_1)
	v_lshlrev_b64_e64 v[82:83], v82, -1
	v_bfi_b32 v59, v83, 0, 0
	s_delay_alu instid0(VALU_DEP_2) | instskip(SKIP_1) | instid1(VALU_DEP_1)
	v_bfi_b32 v58, v82, 0, v84
	v_lshrrev_b64 v[82:83], v46, v[84:85]
	v_mov_b64_e32 v[84:85], v[82:83]
	s_delay_alu instid0(VALU_DEP_3)
	v_cmpx_eq_u64_e64 v[58:59], v[56:57]
; %bb.3208:                             ;   in Loop: Header=BB2_2648 Depth=2
	v_bfe_u32 v84, v82, 20, 1
	v_mov_b32_e32 v85, v33
	s_delay_alu instid0(VALU_DEP_1) | instskip(NEXT) | instid1(VALU_DEP_1)
	v_add_nc_u64_e32 v[84:85], v[82:83], v[84:85]
	v_add_nc_u64_e32 v[84:85], -1, v[84:85]
; %bb.3209:                             ;   in Loop: Header=BB2_2648 Depth=2
	s_or_b32 exec_lo, exec_lo, s43
	v_add_nc_u32_e32 v83, 0xffffff81, v87
	v_lshrrev_b32_e32 v85, 23, v82
	s_mov_b32 s10, exec_lo
	s_delay_alu instid0(VALU_DEP_2) | instskip(NEXT) | instid1(VALU_DEP_1)
	v_cndmask_b32_e64 v83, v83, 0xffffff82, vcc_lo
	v_add3_u32 v85, v46, v83, v85
	v_and_b32_e32 v83, 0xfffff, v84
                                        ; implicit-def: $vgpr84
	s_delay_alu instid0(VALU_DEP_1) | instskip(SKIP_1) | instid1(VALU_DEP_2)
	v_dual_add_nc_u32 v87, 6, v85 :: v_dual_add_nc_u32 v82, v83, v82
	v_mov_b32_e32 v83, v33
	v_cmpx_ne_u32_e32 0, v87
	s_xor_b32 s10, exec_lo, s10
; %bb.3210:                             ;   in Loop: Header=BB2_2648 Depth=2
	s_delay_alu instid0(VALU_DEP_2) | instskip(SKIP_2) | instid1(VALU_DEP_2)
	v_cmp_lt_u64_e32 vcc_lo, 0xffffff, v[82:83]
	v_add_nc_u32_e32 v84, 7, v85
	v_cndmask_b32_e64 v85, 0, 1, vcc_lo
	v_cndmask_b32_e32 v84, v87, v84, vcc_lo
	s_delay_alu instid0(VALU_DEP_2)
	v_lshrrev_b64 v[82:83], v85, v[82:83]
; %bb.3211:                             ;   in Loop: Header=BB2_2648 Depth=2
	s_and_not1_saveexec_b32 s10, s10
; %bb.3212:                             ;   in Loop: Header=BB2_2648 Depth=2
	s_delay_alu instid0(VALU_DEP_1)
	v_bfe_u32 v84, v82, 23, 1
; %bb.3213:                             ;   in Loop: Header=BB2_2648 Depth=2
	s_or_b32 exec_lo, exec_lo, s10
	s_delay_alu instid0(VALU_DEP_2) | instskip(NEXT) | instid1(VALU_DEP_2)
	v_lshrrev_b64 v[82:83], 20, v[82:83]
	v_cmp_gt_i32_e32 vcc_lo, 16, v84
	v_min_i32_e32 v85, 15, v84
	v_cmp_eq_u32_e64 s10, 0, v84
	s_delay_alu instid0(VALU_DEP_2) | instskip(SKIP_1) | instid1(VALU_DEP_2)
	v_dual_cndmask_b32 v83, 0, v83, vcc_lo :: v_dual_lshlrev_b32 v85, 3, v85
	v_cndmask_b32_e32 v82, 7, v82, vcc_lo
	v_and_b32_e32 v85, 0xf8, v85
	s_delay_alu instid0(VALU_DEP_2) | instskip(NEXT) | instid1(VALU_DEP_2)
	v_cmp_eq_u64_e32 vcc_lo, 0, v[82:83]
	v_and_or_b32 v82, v82, 7, v85
	s_and_b32 s10, s10, vcc_lo
	s_delay_alu instid0(VALU_DEP_1) | instid1(SALU_CYCLE_1)
	v_cndmask_b32_e64 v82, v82, 0, s10
	s_delay_alu instid0(VALU_DEP_1)
	v_or_b32_e32 v87, v82, v30
.LBB2_3214:                             ;   in Loop: Header=BB2_2648 Depth=2
	s_or_b32 exec_lo, exec_lo, s42
                                        ; implicit-def: $vgpr30
.LBB2_3215:                             ;   in Loop: Header=BB2_2648 Depth=2
	s_and_not1_saveexec_b32 s10, s41
; %bb.3216:                             ;   in Loop: Header=BB2_2648 Depth=2
	v_or_b32_e32 v87, 0x7e, v30
; %bb.3217:                             ;   in Loop: Header=BB2_2648 Depth=2
	s_or_b32 exec_lo, exec_lo, s10
                                        ; implicit-def: $vgpr30
.LBB2_3218:                             ;   in Loop: Header=BB2_2648 Depth=2
	s_and_not1_saveexec_b32 s10, s11
; %bb.3219:                             ;   in Loop: Header=BB2_2648 Depth=2
	v_or_b32_e32 v87, 0x7f, v30
; %bb.3220:                             ;   in Loop: Header=BB2_2648 Depth=2
	s_or_b32 exec_lo, exec_lo, s10
	v_dual_lshrrev_b32 v30, 16, v32 :: v_dual_mov_b32 v82, 0
	s_mov_b32 s10, exec_lo
	s_delay_alu instid0(VALU_DEP_1) | instskip(NEXT) | instid1(VALU_DEP_1)
	v_and_b32_e32 v83, 0xff, v30
	v_cmpx_ne_u16_e32 0, v83
	s_cbranch_execz .LBB2_3228
; %bb.3221:                             ;   in Loop: Header=BB2_2648 Depth=2
	v_bfrev_b32_e32 v82, 1
	s_mov_b32 s11, exec_lo
	v_cmpx_ne_u16_e32 0x80, v83
	s_cbranch_execz .LBB2_3227
; %bb.3222:                             ;   in Loop: Header=BB2_2648 Depth=2
	v_bfe_u32 v85, v32, 16, 7
	v_mov_b32_e32 v82, 0x7f800001
	s_mov_b32 s41, exec_lo
	s_delay_alu instid0(VALU_DEP_2)
	v_cmpx_ne_u32_e32 0x7f, v85
	s_cbranch_execz .LBB2_3226
; %bb.3223:                             ;   in Loop: Header=BB2_2648 Depth=2
	v_dual_mov_b32 v83, v33 :: v_dual_bitop2_b32 v82, 7, v30 bitop3:0x40
	v_lshrrev_b32_e32 v84, 3, v85
	s_mov_b32 s42, exec_lo
	v_cmpx_gt_u32_e32 8, v85
; %bb.3224:                             ;   in Loop: Header=BB2_2648 Depth=2
	s_delay_alu instid0(VALU_DEP_3) | instskip(NEXT) | instid1(VALU_DEP_1)
	v_clz_i32_u32_e32 v84, v82
	v_min_u32_e32 v84, 32, v84
	s_delay_alu instid0(VALU_DEP_1) | instskip(NEXT) | instid1(VALU_DEP_1)
	v_subrev_nc_u32_e32 v85, 28, v84
	v_lshlrev_b64_e32 v[82:83], v85, v[82:83]
	s_delay_alu instid0(VALU_DEP_1)
	v_dual_sub_nc_u32 v84, 29, v84 :: v_dual_bitop2_b32 v82, 7, v82 bitop3:0x40
; %bb.3225:                             ;   in Loop: Header=BB2_2648 Depth=2
	s_or_b32 exec_lo, exec_lo, s42
	v_lshlrev_b32_e32 v30, 24, v30
	s_delay_alu instid0(VALU_DEP_2) | instskip(NEXT) | instid1(VALU_DEP_3)
	v_lshlrev_b32_e32 v82, 20, v82
	v_lshl_add_u32 v83, v84, 23, 0x3c000000
	s_delay_alu instid0(VALU_DEP_3) | instskip(NEXT) | instid1(VALU_DEP_1)
	v_and_b32_e32 v30, 0x80000000, v30
	v_or3_b32 v82, v82, v30, v83
.LBB2_3226:                             ;   in Loop: Header=BB2_2648 Depth=2
	s_or_b32 exec_lo, exec_lo, s41
.LBB2_3227:                             ;   in Loop: Header=BB2_2648 Depth=2
	s_delay_alu instid0(SALU_CYCLE_1)
	s_or_b32 exec_lo, exec_lo, s11
.LBB2_3228:                             ;   in Loop: Header=BB2_2648 Depth=2
	s_delay_alu instid0(SALU_CYCLE_1) | instskip(SKIP_3) | instid1(VALU_DEP_1)
	s_or_b32 exec_lo, exec_lo, s10
	v_lshrrev_b32_e32 v30, 16, v11
	s_mov_b32 s11, 0
	s_mov_b32 s10, exec_lo
	v_and_b32_e32 v84, 0xff, v30
	s_delay_alu instid0(VALU_DEP_1)
	v_cmpx_lt_i16_e32 0x7f, v84
	s_xor_b32 s10, exec_lo, s10
	s_cbranch_execnz .LBB2_3231
; %bb.3229:                             ;   in Loop: Header=BB2_2648 Depth=2
	s_or_saveexec_b32 s10, s10
	v_bfrev_b32_e32 v83, 1
	s_xor_b32 exec_lo, exec_lo, s10
	s_cbranch_execnz .LBB2_3234
.LBB2_3230:                             ;   in Loop: Header=BB2_2648 Depth=2
	s_or_b32 exec_lo, exec_lo, s10
	s_and_saveexec_b32 s10, s11
	s_cbranch_execnz .LBB2_3235
	s_branch .LBB2_3238
.LBB2_3231:                             ;   in Loop: Header=BB2_2648 Depth=2
	s_mov_b32 s11, -1
	s_mov_b32 s41, exec_lo
	v_cmpx_eq_u16_e32 0x80, v84
; %bb.3232:                             ;   in Loop: Header=BB2_2648 Depth=2
	s_xor_b32 s11, exec_lo, -1
; %bb.3233:                             ;   in Loop: Header=BB2_2648 Depth=2
	s_or_b32 exec_lo, exec_lo, s41
	s_delay_alu instid0(SALU_CYCLE_1)
	s_and_b32 s11, s11, exec_lo
                                        ; implicit-def: $vgpr84
	s_or_saveexec_b32 s10, s10
	v_bfrev_b32_e32 v83, 1
	s_xor_b32 exec_lo, exec_lo, s10
	s_cbranch_execz .LBB2_3230
.LBB2_3234:                             ;   in Loop: Header=BB2_2648 Depth=2
	v_cmp_ne_u16_e32 vcc_lo, 0, v84
	v_mov_b32_e32 v83, 0
	s_and_not1_b32 s11, s11, exec_lo
	s_and_b32 s41, vcc_lo, exec_lo
	s_delay_alu instid0(SALU_CYCLE_1)
	s_or_b32 s11, s11, s41
	s_or_b32 exec_lo, exec_lo, s10
	s_and_saveexec_b32 s10, s11
	s_cbranch_execz .LBB2_3238
.LBB2_3235:                             ;   in Loop: Header=BB2_2648 Depth=2
	v_and_b32_e32 v84, 0x7f, v30
	v_mov_b32_e32 v83, 0x7f800001
	s_mov_b32 s11, exec_lo
	s_delay_alu instid0(VALU_DEP_2)
	v_cmpx_ne_u32_e32 0x7f, v84
	s_cbranch_execz .LBB2_3237
; %bb.3236:                             ;   in Loop: Header=BB2_2648 Depth=2
	v_and_b32_e32 v83, 7, v30
	v_cmp_gt_u32_e32 vcc_lo, 8, v84
	s_delay_alu instid0(VALU_DEP_2) | instskip(NEXT) | instid1(VALU_DEP_1)
	v_clz_i32_u32_e32 v85, v83
	v_min_u32_e32 v85, 32, v85
	s_delay_alu instid0(VALU_DEP_1) | instskip(NEXT) | instid1(VALU_DEP_1)
	v_subrev_nc_u32_e32 v46, 28, v85
	v_lshlrev_b64_e32 v[46:47], v46, v[30:31]
	v_dual_lshrrev_b32 v47, 3, v84 :: v_dual_sub_nc_u32 v85, 29, v85
	s_delay_alu instid0(VALU_DEP_2) | instskip(NEXT) | instid1(VALU_DEP_2)
	v_and_b32_e32 v84, 7, v46
	v_dual_cndmask_b32 v85, v47, v85 :: v_dual_lshlrev_b32 v30, 24, v30
	s_delay_alu instid0(VALU_DEP_2) | instskip(NEXT) | instid1(VALU_DEP_2)
	v_cndmask_b32_e32 v83, v83, v84, vcc_lo
	v_and_b32_e32 v30, 0x80000000, v30
	s_delay_alu instid0(VALU_DEP_3) | instskip(NEXT) | instid1(VALU_DEP_3)
	v_lshl_add_u32 v84, v85, 23, 0x3c000000
	v_lshlrev_b32_e32 v83, 20, v83
	s_delay_alu instid0(VALU_DEP_1)
	v_or3_b32 v83, v83, v30, v84
.LBB2_3237:                             ;   in Loop: Header=BB2_2648 Depth=2
	s_or_b32 exec_lo, exec_lo, s11
.LBB2_3238:                             ;   in Loop: Header=BB2_2648 Depth=2
	s_delay_alu instid0(SALU_CYCLE_1) | instskip(NEXT) | instid1(VALU_DEP_1)
	s_or_b32 exec_lo, exec_lo, s10
	v_dual_add_f32 v82, v82, v83 :: v_dual_mov_b32 v85, v33
                                        ; implicit-def: $vgpr46
	s_mov_b32 s10, exec_lo
	s_delay_alu instid0(VALU_DEP_1) | instskip(SKIP_1) | instid1(VALU_DEP_2)
	v_and_b32_e32 v84, 0x7f800000, v82
	v_lshrrev_b32_e32 v30, 24, v82
	v_cmpx_ne_u64_e32 0x7f800000, v[84:85]
	s_xor_b32 s11, exec_lo, s10
	s_cbranch_execz .LBB2_3252
; %bb.3239:                             ;   in Loop: Header=BB2_2648 Depth=2
	v_and_b32_e32 v84, 0x7fffffff, v82
	v_mov_b32_e32 v85, v33
	v_and_b32_e32 v30, 0x80, v30
                                        ; implicit-def: $vgpr46
	s_mov_b32 s10, exec_lo
	s_delay_alu instid0(VALU_DEP_2)
	v_cmpx_gt_u64_e32 0x43e00001, v[84:85]
	s_xor_b32 s41, exec_lo, s10
	s_cbranch_execz .LBB2_3249
; %bb.3240:                             ;   in Loop: Header=BB2_2648 Depth=2
	v_mov_b32_e32 v46, 0
	s_mov_b32 s42, exec_lo
	v_cmpx_ne_u32_e32 0, v82
	s_cbranch_execz .LBB2_3248
; %bb.3241:                             ;   in Loop: Header=BB2_2648 Depth=2
	v_bfe_u32 v46, v82, 23, 8
	v_and_b32_e32 v84, 0x7fffff, v82
	s_mov_b32 s43, exec_lo
	s_delay_alu instid0(VALU_DEP_2) | instskip(NEXT) | instid1(VALU_DEP_2)
	v_cmp_gt_u32_e32 vcc_lo, 0x7a, v46
	v_or_b32_e32 v85, 0x800000, v84
	v_sub_nc_u32_e32 v83, 0x79, v46
	s_delay_alu instid0(VALU_DEP_1) | instskip(SKIP_1) | instid1(VALU_DEP_4)
	v_cndmask_b32_e32 v83, 0, v83, vcc_lo
	v_cmp_eq_u32_e32 vcc_lo, 0, v46
	v_cndmask_b32_e32 v84, v85, v84, vcc_lo
	v_mov_b32_e32 v85, v33
	s_delay_alu instid0(VALU_DEP_4) | instskip(NEXT) | instid1(VALU_DEP_1)
	v_cndmask_b32_e64 v47, v83, 0x78, vcc_lo
	v_dual_add_nc_u32 v82, 20, v47 :: v_dual_add_nc_u32 v56, 19, v47
	s_delay_alu instid0(VALU_DEP_1) | instskip(NEXT) | instid1(VALU_DEP_2)
	v_lshlrev_b64_e64 v[82:83], v82, -1
	v_lshlrev_b64_e64 v[56:57], v56, 1
	s_delay_alu instid0(VALU_DEP_2) | instskip(NEXT) | instid1(VALU_DEP_3)
	v_bfi_b32 v59, v83, 0, 0
	v_bfi_b32 v58, v82, 0, v84
	v_lshrrev_b64 v[82:83], v47, v[84:85]
	s_delay_alu instid0(VALU_DEP_1) | instskip(NEXT) | instid1(VALU_DEP_3)
	v_mov_b64_e32 v[84:85], v[82:83]
	v_cmpx_eq_u64_e64 v[58:59], v[56:57]
; %bb.3242:                             ;   in Loop: Header=BB2_2648 Depth=2
	v_bfe_u32 v84, v82, 20, 1
	v_mov_b32_e32 v85, v33
	s_delay_alu instid0(VALU_DEP_1) | instskip(NEXT) | instid1(VALU_DEP_1)
	v_add_nc_u64_e32 v[84:85], v[82:83], v[84:85]
	v_add_nc_u64_e32 v[84:85], -1, v[84:85]
; %bb.3243:                             ;   in Loop: Header=BB2_2648 Depth=2
	s_or_b32 exec_lo, exec_lo, s43
	v_add_nc_u32_e32 v83, 0xffffff81, v46
	v_lshrrev_b32_e32 v85, 23, v82
	s_mov_b32 s10, exec_lo
	s_delay_alu instid0(VALU_DEP_2) | instskip(NEXT) | instid1(VALU_DEP_1)
	v_cndmask_b32_e64 v83, v83, 0xffffff82, vcc_lo
	v_add3_u32 v85, v47, v83, v85
	v_and_b32_e32 v83, 0xfffff, v84
                                        ; implicit-def: $vgpr84
	s_delay_alu instid0(VALU_DEP_1) | instskip(SKIP_1) | instid1(VALU_DEP_2)
	v_dual_add_nc_u32 v46, 6, v85 :: v_dual_add_nc_u32 v82, v83, v82
	v_mov_b32_e32 v83, v33
	v_cmpx_ne_u32_e32 0, v46
	s_xor_b32 s10, exec_lo, s10
; %bb.3244:                             ;   in Loop: Header=BB2_2648 Depth=2
	s_delay_alu instid0(VALU_DEP_2) | instskip(SKIP_2) | instid1(VALU_DEP_2)
	v_cmp_lt_u64_e32 vcc_lo, 0xffffff, v[82:83]
	v_add_nc_u32_e32 v84, 7, v85
	v_cndmask_b32_e64 v85, 0, 1, vcc_lo
	v_cndmask_b32_e32 v84, v46, v84, vcc_lo
	s_delay_alu instid0(VALU_DEP_2)
	v_lshrrev_b64 v[82:83], v85, v[82:83]
; %bb.3245:                             ;   in Loop: Header=BB2_2648 Depth=2
	s_and_not1_saveexec_b32 s10, s10
; %bb.3246:                             ;   in Loop: Header=BB2_2648 Depth=2
	s_delay_alu instid0(VALU_DEP_1)
	v_bfe_u32 v84, v82, 23, 1
; %bb.3247:                             ;   in Loop: Header=BB2_2648 Depth=2
	s_or_b32 exec_lo, exec_lo, s10
	s_delay_alu instid0(VALU_DEP_2) | instskip(NEXT) | instid1(VALU_DEP_2)
	v_lshrrev_b64 v[82:83], 20, v[82:83]
	v_cmp_gt_i32_e32 vcc_lo, 16, v84
	v_min_i32_e32 v85, 15, v84
	v_cmp_eq_u32_e64 s10, 0, v84
	s_delay_alu instid0(VALU_DEP_2) | instskip(SKIP_1) | instid1(VALU_DEP_2)
	v_dual_cndmask_b32 v83, 0, v83, vcc_lo :: v_dual_lshlrev_b32 v85, 3, v85
	v_cndmask_b32_e32 v82, 7, v82, vcc_lo
	v_and_b32_e32 v85, 0xf8, v85
	s_delay_alu instid0(VALU_DEP_2) | instskip(NEXT) | instid1(VALU_DEP_2)
	v_cmp_eq_u64_e32 vcc_lo, 0, v[82:83]
	v_and_or_b32 v82, v82, 7, v85
	s_and_b32 s10, s10, vcc_lo
	s_delay_alu instid0(VALU_DEP_1) | instid1(SALU_CYCLE_1)
	v_cndmask_b32_e64 v82, v82, 0, s10
	s_delay_alu instid0(VALU_DEP_1)
	v_or_b32_e32 v46, v82, v30
.LBB2_3248:                             ;   in Loop: Header=BB2_2648 Depth=2
	s_or_b32 exec_lo, exec_lo, s42
                                        ; implicit-def: $vgpr30
.LBB2_3249:                             ;   in Loop: Header=BB2_2648 Depth=2
	s_and_not1_saveexec_b32 s10, s41
; %bb.3250:                             ;   in Loop: Header=BB2_2648 Depth=2
	v_or_b32_e32 v46, 0x7e, v30
; %bb.3251:                             ;   in Loop: Header=BB2_2648 Depth=2
	s_or_b32 exec_lo, exec_lo, s10
                                        ; implicit-def: $vgpr30
.LBB2_3252:                             ;   in Loop: Header=BB2_2648 Depth=2
	s_and_not1_saveexec_b32 s10, s11
; %bb.3253:                             ;   in Loop: Header=BB2_2648 Depth=2
	v_or_b32_e32 v46, 0x7f, v30
; %bb.3254:                             ;   in Loop: Header=BB2_2648 Depth=2
	s_or_b32 exec_lo, exec_lo, s10
	v_mov_b32_e32 v82, 0
	s_mov_b32 s10, exec_lo
	v_cmpx_lt_u32_e32 0xffffff, v32
	s_cbranch_execz .LBB2_3262
; %bb.3255:                             ;   in Loop: Header=BB2_2648 Depth=2
	v_lshrrev_b32_e32 v30, 24, v32
	v_bfrev_b32_e32 v82, 1
	s_mov_b32 s11, exec_lo
	s_delay_alu instid0(VALU_DEP_2)
	v_cmpx_ne_u32_e32 0x80, v30
	s_cbranch_execz .LBB2_3261
; %bb.3256:                             ;   in Loop: Header=BB2_2648 Depth=2
	v_bfe_u32 v83, v32, 24, 7
	v_mov_b32_e32 v82, 0x7f800001
	s_mov_b32 s41, exec_lo
	s_delay_alu instid0(VALU_DEP_2)
	v_cmpx_ne_u32_e32 0x7f, v83
	s_cbranch_execz .LBB2_3260
; %bb.3257:                             ;   in Loop: Header=BB2_2648 Depth=2
	v_dual_lshrrev_b32 v82, 3, v83 :: v_dual_bitop2_b32 v32, 7, v30 bitop3:0x40
	s_mov_b32 s42, exec_lo
	v_cmpx_gt_u32_e32 8, v83
; %bb.3258:                             ;   in Loop: Header=BB2_2648 Depth=2
	s_delay_alu instid0(VALU_DEP_2) | instskip(NEXT) | instid1(VALU_DEP_1)
	v_clz_i32_u32_e32 v82, v32
	v_min_u32_e32 v82, 32, v82
	s_delay_alu instid0(VALU_DEP_1) | instskip(NEXT) | instid1(VALU_DEP_1)
	v_subrev_nc_u32_e32 v83, 28, v82
	v_lshlrev_b64_e32 v[84:85], v83, v[32:33]
	s_delay_alu instid0(VALU_DEP_1)
	v_dual_sub_nc_u32 v82, 29, v82 :: v_dual_bitop2_b32 v32, 7, v84 bitop3:0x40
; %bb.3259:                             ;   in Loop: Header=BB2_2648 Depth=2
	s_or_b32 exec_lo, exec_lo, s42
	s_delay_alu instid0(VALU_DEP_1) | instskip(NEXT) | instid1(VALU_DEP_2)
	v_dual_lshlrev_b32 v30, 24, v30 :: v_dual_lshlrev_b32 v32, 20, v32
	v_lshl_add_u32 v82, v82, 23, 0x3c000000
	s_delay_alu instid0(VALU_DEP_2) | instskip(NEXT) | instid1(VALU_DEP_1)
	v_and_b32_e32 v30, 0x80000000, v30
	v_or3_b32 v82, v32, v30, v82
.LBB2_3260:                             ;   in Loop: Header=BB2_2648 Depth=2
	s_or_b32 exec_lo, exec_lo, s41
.LBB2_3261:                             ;   in Loop: Header=BB2_2648 Depth=2
	s_delay_alu instid0(SALU_CYCLE_1)
	s_or_b32 exec_lo, exec_lo, s11
.LBB2_3262:                             ;   in Loop: Header=BB2_2648 Depth=2
	s_delay_alu instid0(SALU_CYCLE_1) | instskip(SKIP_3) | instid1(VALU_DEP_3)
	s_or_b32 exec_lo, exec_lo, s10
	v_lshrrev_b32_e32 v30, 24, v11
	v_bfe_u32 v32, v11, 24, 7
	v_cmp_gt_u64_e64 s11, s[14:15], v[10:11]
	v_cmp_eq_u32_e64 s10, 0x80, v30
	s_delay_alu instid0(VALU_DEP_3) | instskip(NEXT) | instid1(VALU_DEP_2)
	v_cmp_eq_u32_e32 vcc_lo, 0x7f, v32
	v_cndmask_b32_e64 v83, 0x7f800001, v99, s10
	s_or_b32 s10, s10, vcc_lo
	s_delay_alu instid0(VALU_DEP_1) | instskip(SKIP_1) | instid1(SALU_CYCLE_1)
	v_cndmask_b32_e64 v10, v83, 0, s11
	s_nor_b32 s11, s11, s10
	s_and_saveexec_b32 s10, s11
	s_cbranch_execz .LBB2_3264
; %bb.3263:                             ;   in Loop: Header=BB2_2648 Depth=2
	v_and_b32_e32 v83, 7, v30
	v_cmp_gt_u32_e32 vcc_lo, 8, v32
	s_delay_alu instid0(VALU_DEP_2) | instskip(NEXT) | instid1(VALU_DEP_1)
	v_clz_i32_u32_e32 v10, v83
	v_min_u32_e32 v84, 32, v10
	s_delay_alu instid0(VALU_DEP_1) | instskip(NEXT) | instid1(VALU_DEP_1)
	v_subrev_nc_u32_e32 v10, 28, v84
	v_lshlrev_b64_e32 v[10:11], v10, v[30:31]
	v_lshrrev_b32_e32 v11, 3, v32
	s_delay_alu instid0(VALU_DEP_2) | instskip(NEXT) | instid1(VALU_DEP_1)
	v_dual_sub_nc_u32 v84, 29, v84 :: v_dual_bitop2_b32 v10, 7, v10 bitop3:0x40
	v_dual_cndmask_b32 v11, v11, v84 :: v_dual_lshlrev_b32 v30, 24, v30
	s_delay_alu instid0(VALU_DEP_2) | instskip(NEXT) | instid1(VALU_DEP_2)
	v_cndmask_b32_e32 v10, v83, v10, vcc_lo
	v_and_b32_e32 v30, 0x80000000, v30
	s_delay_alu instid0(VALU_DEP_3) | instskip(NEXT) | instid1(VALU_DEP_3)
	v_lshl_add_u32 v11, v11, 23, 0x3c000000
	v_lshlrev_b32_e32 v10, 20, v10
	s_delay_alu instid0(VALU_DEP_1)
	v_or3_b32 v10, v10, v30, v11
.LBB2_3264:                             ;   in Loop: Header=BB2_2648 Depth=2
	s_or_b32 exec_lo, exec_lo, s10
	s_delay_alu instid0(VALU_DEP_1) | instskip(SKIP_1) | instid1(VALU_DEP_1)
	v_add_f32_e32 v10, v82, v10
                                        ; implicit-def: $vgpr30
	s_mov_b32 s10, exec_lo
	v_and_b32_e32 v32, 0x7f800000, v10
	v_lshrrev_b32_e32 v11, 24, v10
	s_delay_alu instid0(VALU_DEP_2)
	v_cmpx_ne_u64_e32 0x7f800000, v[32:33]
	s_xor_b32 s11, exec_lo, s10
	s_cbranch_execz .LBB2_3278
; %bb.3265:                             ;   in Loop: Header=BB2_2648 Depth=2
	v_and_b32_e32 v32, 0x7fffffff, v10
	v_and_b32_e32 v84, 0x80, v11
                                        ; implicit-def: $vgpr30
	s_mov_b32 s10, exec_lo
	s_delay_alu instid0(VALU_DEP_2)
	v_cmpx_gt_u64_e32 0x43e00001, v[32:33]
	s_xor_b32 s41, exec_lo, s10
	s_cbranch_execz .LBB2_3275
; %bb.3266:                             ;   in Loop: Header=BB2_2648 Depth=2
	v_mov_b32_e32 v30, 0
	s_mov_b32 s42, exec_lo
	v_cmpx_ne_u32_e32 0, v10
	s_cbranch_execz .LBB2_3274
; %bb.3267:                             ;   in Loop: Header=BB2_2648 Depth=2
	v_bfe_u32 v30, v10, 23, 8
	v_and_b32_e32 v32, 0x7fffff, v10
	s_delay_alu instid0(VALU_DEP_2) | instskip(NEXT) | instid1(VALU_DEP_2)
	v_cmp_gt_u32_e32 vcc_lo, 0x7a, v30
	v_or_b32_e32 v82, 0x800000, v32
	v_sub_nc_u32_e32 v11, 0x79, v30
	s_delay_alu instid0(VALU_DEP_1) | instskip(SKIP_1) | instid1(VALU_DEP_2)
	v_cndmask_b32_e32 v11, 0, v11, vcc_lo
	v_cmp_eq_u32_e32 vcc_lo, 0, v30
	v_cndmask_b32_e64 v85, v11, 0x78, vcc_lo
	s_delay_alu instid0(VALU_DEP_1) | instskip(SKIP_1) | instid1(VALU_DEP_2)
	v_dual_cndmask_b32 v32, v82, v32, vcc_lo :: v_dual_add_nc_u32 v10, 20, v85
	v_add_nc_u32_e32 v83, 19, v85
	v_lshlrev_b64_e64 v[10:11], v10, -1
	s_delay_alu instid0(VALU_DEP_2) | instskip(NEXT) | instid1(VALU_DEP_2)
	v_lshlrev_b64_e64 v[82:83], v83, 1
	v_bfi_b32 v57, v11, 0, 0
	s_delay_alu instid0(VALU_DEP_3) | instskip(SKIP_1) | instid1(VALU_DEP_2)
	v_bfi_b32 v56, v10, 0, v32
	v_lshrrev_b64 v[10:11], v85, v[32:33]
	v_cmp_eq_u64_e64 s10, v[56:57], v[82:83]
	s_delay_alu instid0(VALU_DEP_2)
	v_mov_b64_e32 v[82:83], v[10:11]
	s_and_saveexec_b32 s43, s10
; %bb.3268:                             ;   in Loop: Header=BB2_2648 Depth=2
	v_bfe_u32 v32, v10, 20, 1
	s_delay_alu instid0(VALU_DEP_1) | instskip(NEXT) | instid1(VALU_DEP_1)
	v_add_nc_u64_e32 v[82:83], v[10:11], v[32:33]
	v_add_nc_u64_e32 v[82:83], -1, v[82:83]
; %bb.3269:                             ;   in Loop: Header=BB2_2648 Depth=2
	s_or_b32 exec_lo, exec_lo, s43
	v_add_nc_u32_e32 v11, 0xffffff81, v30
	v_lshrrev_b32_e32 v30, 23, v10
	s_mov_b32 s10, exec_lo
	s_delay_alu instid0(VALU_DEP_2) | instskip(NEXT) | instid1(VALU_DEP_1)
	v_cndmask_b32_e64 v11, v11, 0xffffff82, vcc_lo
	v_add3_u32 v83, v85, v11, v30
	v_and_b32_e32 v11, 0xfffff, v82
                                        ; implicit-def: $vgpr30
	s_delay_alu instid0(VALU_DEP_1) | instskip(NEXT) | instid1(VALU_DEP_1)
	v_dual_add_nc_u32 v82, 6, v83 :: v_dual_add_nc_u32 v32, v11, v10
                                        ; implicit-def: $vgpr10_vgpr11
	v_cmpx_ne_u32_e32 0, v82
	s_xor_b32 s10, exec_lo, s10
; %bb.3270:                             ;   in Loop: Header=BB2_2648 Depth=2
	s_delay_alu instid0(VALU_DEP_2) | instskip(SKIP_1) | instid1(VALU_DEP_1)
	v_cmp_lt_u64_e32 vcc_lo, 0xffffff, v[32:33]
	v_add_nc_u32_e32 v10, 7, v83
	v_cndmask_b32_e32 v30, v82, v10, vcc_lo
	v_cndmask_b32_e64 v10, 0, 1, vcc_lo
	s_delay_alu instid0(VALU_DEP_1)
	v_lshrrev_b64 v[10:11], v10, v[32:33]
; %bb.3271:                             ;   in Loop: Header=BB2_2648 Depth=2
	s_and_not1_saveexec_b32 s10, s10
; %bb.3272:                             ;   in Loop: Header=BB2_2648 Depth=2
	v_mov_b64_e32 v[10:11], v[32:33]
	v_bfe_u32 v30, v32, 23, 1
; %bb.3273:                             ;   in Loop: Header=BB2_2648 Depth=2
	s_or_b32 exec_lo, exec_lo, s10
	s_delay_alu instid0(VALU_DEP_2) | instskip(NEXT) | instid1(VALU_DEP_2)
	v_lshrrev_b64 v[10:11], 20, v[10:11]
	v_cmp_gt_i32_e32 vcc_lo, 16, v30
	v_min_i32_e32 v32, 15, v30
	v_cmp_eq_u32_e64 s10, 0, v30
	s_delay_alu instid0(VALU_DEP_2) | instskip(SKIP_1) | instid1(VALU_DEP_2)
	v_dual_cndmask_b32 v11, 0, v11 :: v_dual_lshlrev_b32 v32, 3, v32
	v_cndmask_b32_e32 v10, 7, v10, vcc_lo
	v_and_b32_e32 v32, 0xf8, v32
	s_delay_alu instid0(VALU_DEP_2) | instskip(NEXT) | instid1(VALU_DEP_2)
	v_cmp_eq_u64_e32 vcc_lo, 0, v[10:11]
	v_and_or_b32 v10, v10, 7, v32
	s_and_b32 s10, s10, vcc_lo
	s_delay_alu instid0(VALU_DEP_1) | instid1(SALU_CYCLE_1)
	v_cndmask_b32_e64 v10, v10, 0, s10
	s_delay_alu instid0(VALU_DEP_1)
	v_or_b32_e32 v30, v10, v84
.LBB2_3274:                             ;   in Loop: Header=BB2_2648 Depth=2
	s_or_b32 exec_lo, exec_lo, s42
                                        ; implicit-def: $vgpr84
.LBB2_3275:                             ;   in Loop: Header=BB2_2648 Depth=2
	s_and_not1_saveexec_b32 s10, s41
; %bb.3276:                             ;   in Loop: Header=BB2_2648 Depth=2
	v_or_b32_e32 v30, 0x7e, v84
; %bb.3277:                             ;   in Loop: Header=BB2_2648 Depth=2
	s_or_b32 exec_lo, exec_lo, s10
                                        ; implicit-def: $vgpr11
.LBB2_3278:                             ;   in Loop: Header=BB2_2648 Depth=2
	s_and_not1_saveexec_b32 s10, s11
; %bb.3279:                             ;   in Loop: Header=BB2_2648 Depth=2
	v_or_b32_e32 v30, 0x7f, v11
; %bb.3280:                             ;   in Loop: Header=BB2_2648 Depth=2
	s_or_b32 exec_lo, exec_lo, s10
	v_lshl_or_b32 v84, v41, 8, v118
	v_dual_lshlrev_b32 v10, 16, v44 :: v_dual_lshlrev_b32 v11, 24, v45
	s_mov_b32 s10, exec_lo
	s_delay_alu instid0(VALU_DEP_1)
	v_or3_b32 v32, v10, v11, v84
	v_mov_b32_e32 v10, 0
	v_cmpx_ne_u32_e32 0, v118
	s_cbranch_execz .LBB2_3286
; %bb.3281:                             ;   in Loop: Header=BB2_2648 Depth=2
	v_bfrev_b32_e32 v10, 1
	s_mov_b32 s11, exec_lo
	v_cmpx_ne_u32_e32 0x80, v118
	s_cbranch_execz .LBB2_3285
; %bb.3282:                             ;   in Loop: Header=BB2_2648 Depth=2
	v_and_b32_e32 v11, 0x7f, v118
	v_mov_b32_e32 v10, 0x7f800001
	s_mov_b32 s41, exec_lo
	s_delay_alu instid0(VALU_DEP_2)
	v_cmpx_ne_u32_e32 0x7f, v11
	s_cbranch_execz .LBB2_3284
; %bb.3283:                             ;   in Loop: Header=BB2_2648 Depth=2
	v_dual_lshrrev_b32 v82, 3, v11 :: v_dual_bitop2_b32 v10, 7, v118 bitop3:0x40
	v_cmp_gt_u32_e32 vcc_lo, 8, v11
	s_delay_alu instid0(VALU_DEP_2) | instskip(NEXT) | instid1(VALU_DEP_1)
	v_clz_i32_u32_e32 v10, v10
	v_min_u32_e32 v10, 32, v10
	s_delay_alu instid0(VALU_DEP_1) | instskip(SKIP_1) | instid1(VALU_DEP_1)
	v_subrev_nc_u32_e32 v83, 28, v10
	v_sub_nc_u32_e32 v10, 29, v10
	v_dual_cndmask_b32 v82, v82, v10, vcc_lo :: v_dual_cndmask_b32 v10, 0, v83, vcc_lo
	s_delay_alu instid0(VALU_DEP_1) | instskip(NEXT) | instid1(VALU_DEP_2)
	v_lshl_add_u32 v82, v82, 23, 0x3c000000
	v_lshlrev_b64_e32 v[10:11], v10, v[32:33]
	v_lshlrev_b32_e32 v11, 24, v32
	s_delay_alu instid0(VALU_DEP_1) | instskip(NEXT) | instid1(VALU_DEP_3)
	v_and_b32_e32 v11, 0x80000000, v11
	v_lshlrev_b32_e32 v10, 20, v10
	s_delay_alu instid0(VALU_DEP_1) | instskip(NEXT) | instid1(VALU_DEP_1)
	v_and_b32_e32 v10, 0x700000, v10
	v_or3_b32 v10, v10, v11, v82
.LBB2_3284:                             ;   in Loop: Header=BB2_2648 Depth=2
	s_or_b32 exec_lo, exec_lo, s41
.LBB2_3285:                             ;   in Loop: Header=BB2_2648 Depth=2
	s_delay_alu instid0(SALU_CYCLE_1)
	s_or_b32 exec_lo, exec_lo, s11
.LBB2_3286:                             ;   in Loop: Header=BB2_2648 Depth=2
	s_delay_alu instid0(SALU_CYCLE_1) | instskip(SKIP_3) | instid1(VALU_DEP_1)
	s_or_b32 exec_lo, exec_lo, s10
	v_and_b32_e32 v82, 0xff, v12
	s_mov_b32 s10, 0
	s_mov_b32 s11, exec_lo
	v_cmpx_lt_i16_e32 0x7f, v82
	s_xor_b32 s11, exec_lo, s11
	s_cbranch_execnz .LBB2_3317
; %bb.3287:                             ;   in Loop: Header=BB2_2648 Depth=2
	s_or_saveexec_b32 s11, s11
	v_bfrev_b32_e32 v11, 1
	s_xor_b32 exec_lo, exec_lo, s11
	s_cbranch_execnz .LBB2_3320
.LBB2_3288:                             ;   in Loop: Header=BB2_2648 Depth=2
	s_or_b32 exec_lo, exec_lo, s11
	s_and_saveexec_b32 s11, s10
	s_cbranch_execz .LBB2_3290
.LBB2_3289:                             ;   in Loop: Header=BB2_2648 Depth=2
	v_and_b32_e32 v85, 0x7f, v12
	v_bfe_u32 v82, v12, 3, 4
	s_delay_alu instid0(VALU_DEP_2) | instskip(SKIP_1) | instid1(VALU_DEP_1)
	v_cmp_gt_u32_e32 vcc_lo, 8, v85
	v_and_b32_e32 v11, 7, v12
	v_clz_i32_u32_e32 v11, v11
	s_delay_alu instid0(VALU_DEP_1) | instskip(NEXT) | instid1(VALU_DEP_1)
	v_min_u32_e32 v11, 32, v11
	v_subrev_nc_u32_e32 v83, 28, v11
	v_sub_nc_u32_e32 v11, 29, v11
	s_delay_alu instid0(VALU_DEP_1) | instskip(NEXT) | instid1(VALU_DEP_3)
	v_cndmask_b32_e32 v11, v82, v11, vcc_lo
	v_cndmask_b32_e32 v82, 0, v83, vcc_lo
	v_cmp_ne_u32_e32 vcc_lo, 0x7f, v85
	s_delay_alu instid0(VALU_DEP_2) | instskip(SKIP_1) | instid1(VALU_DEP_1)
	v_lshlrev_b64_e32 v[82:83], v82, v[12:13]
	v_lshlrev_b32_e32 v83, 24, v12
	v_and_b32_e32 v83, 0x80000000, v83
	s_delay_alu instid0(VALU_DEP_3) | instskip(SKIP_1) | instid1(VALU_DEP_2)
	v_lshlrev_b32_e32 v82, 20, v82
	v_lshl_add_u32 v11, v11, 23, 0x3c000000
	v_and_b32_e32 v82, 0x700000, v82
	s_delay_alu instid0(VALU_DEP_1) | instskip(NEXT) | instid1(VALU_DEP_1)
	v_or3_b32 v11, v82, v83, v11
	v_cndmask_b32_e32 v11, 0x7f800001, v11, vcc_lo
.LBB2_3290:                             ;   in Loop: Header=BB2_2648 Depth=2
	s_or_b32 exec_lo, exec_lo, s11
	s_delay_alu instid0(VALU_DEP_1) | instskip(SKIP_1) | instid1(VALU_DEP_1)
	v_dual_add_f32 v10, v10, v11 :: v_dual_mov_b32 v83, v33
                                        ; implicit-def: $vgpr118
	s_mov_b32 s10, exec_lo
	v_and_b32_e32 v82, 0x7f800000, v10
	v_lshrrev_b32_e32 v11, 24, v10
	s_delay_alu instid0(VALU_DEP_2)
	v_cmpx_ne_u64_e32 0x7f800000, v[82:83]
	s_xor_b32 s11, exec_lo, s10
	s_cbranch_execz .LBB2_3304
; %bb.3291:                             ;   in Loop: Header=BB2_2648 Depth=2
	v_and_b32_e32 v82, 0x7fffffff, v10
	v_mov_b32_e32 v83, v33
	v_and_b32_e32 v85, 0x80, v11
                                        ; implicit-def: $vgpr118
	s_mov_b32 s10, exec_lo
	s_delay_alu instid0(VALU_DEP_2)
	v_cmpx_gt_u64_e32 0x43e00001, v[82:83]
	s_xor_b32 s41, exec_lo, s10
	s_cbranch_execz .LBB2_3301
; %bb.3292:                             ;   in Loop: Header=BB2_2648 Depth=2
	v_mov_b32_e32 v118, 0
	s_mov_b32 s42, exec_lo
	v_cmpx_ne_u32_e32 0, v10
	s_cbranch_execz .LBB2_3300
; %bb.3293:                             ;   in Loop: Header=BB2_2648 Depth=2
	v_bfe_u32 v118, v10, 23, 8
	v_and_b32_e32 v82, 0x7fffff, v10
	s_mov_b32 s43, exec_lo
	s_delay_alu instid0(VALU_DEP_2) | instskip(SKIP_1) | instid1(VALU_DEP_3)
	v_sub_nc_u32_e32 v11, 0x79, v118
	v_cmp_gt_u32_e32 vcc_lo, 0x7a, v118
	v_or_b32_e32 v83, 0x800000, v82
	s_delay_alu instid0(VALU_DEP_3) | instskip(SKIP_1) | instid1(VALU_DEP_2)
	v_cndmask_b32_e32 v11, 0, v11, vcc_lo
	v_cmp_eq_u32_e32 vcc_lo, 0, v118
	v_cndmask_b32_e64 v41, v11, 0x78, vcc_lo
	s_delay_alu instid0(VALU_DEP_4) | instskip(NEXT) | instid1(VALU_DEP_2)
	v_dual_cndmask_b32 v82, v83, v82 :: v_dual_mov_b32 v83, v33
	v_dual_add_nc_u32 v10, 20, v41 :: v_dual_add_nc_u32 v44, 19, v41
	s_delay_alu instid0(VALU_DEP_1) | instskip(NEXT) | instid1(VALU_DEP_2)
	v_lshlrev_b64_e64 v[10:11], v10, -1
	v_lshlrev_b64_e64 v[44:45], v44, 1
	s_delay_alu instid0(VALU_DEP_2) | instskip(NEXT) | instid1(VALU_DEP_3)
	v_bfi_b32 v57, v11, 0, 0
	v_bfi_b32 v56, v10, 0, v82
	v_lshrrev_b64 v[10:11], v41, v[82:83]
	s_delay_alu instid0(VALU_DEP_1) | instskip(NEXT) | instid1(VALU_DEP_3)
	v_mov_b64_e32 v[82:83], v[10:11]
	v_cmpx_eq_u64_e64 v[56:57], v[44:45]
; %bb.3294:                             ;   in Loop: Header=BB2_2648 Depth=2
	v_bfe_u32 v82, v10, 20, 1
	v_mov_b32_e32 v83, v33
	s_delay_alu instid0(VALU_DEP_1) | instskip(NEXT) | instid1(VALU_DEP_1)
	v_add_nc_u64_e32 v[82:83], v[10:11], v[82:83]
	v_add_nc_u64_e32 v[82:83], -1, v[82:83]
; %bb.3295:                             ;   in Loop: Header=BB2_2648 Depth=2
	s_or_b32 exec_lo, exec_lo, s43
	v_add_nc_u32_e32 v11, 0xffffff81, v118
	v_lshrrev_b32_e32 v83, 23, v10
	s_mov_b32 s10, exec_lo
	s_delay_alu instid0(VALU_DEP_2) | instskip(NEXT) | instid1(VALU_DEP_1)
	v_cndmask_b32_e64 v11, v11, 0xffffff82, vcc_lo
	v_add3_u32 v83, v41, v11, v83
	v_and_b32_e32 v11, 0xfffff, v82
                                        ; implicit-def: $vgpr82
	s_delay_alu instid0(VALU_DEP_1) | instskip(SKIP_1) | instid1(VALU_DEP_2)
	v_dual_add_nc_u32 v118, 6, v83 :: v_dual_add_nc_u32 v10, v11, v10
	v_mov_b32_e32 v11, v33
	v_cmpx_ne_u32_e32 0, v118
	s_xor_b32 s10, exec_lo, s10
; %bb.3296:                             ;   in Loop: Header=BB2_2648 Depth=2
	s_delay_alu instid0(VALU_DEP_2) | instskip(SKIP_2) | instid1(VALU_DEP_2)
	v_cmp_lt_u64_e32 vcc_lo, 0xffffff, v[10:11]
	v_add_nc_u32_e32 v82, 7, v83
	v_cndmask_b32_e64 v83, 0, 1, vcc_lo
	v_cndmask_b32_e32 v82, v118, v82, vcc_lo
	s_delay_alu instid0(VALU_DEP_2)
	v_lshrrev_b64 v[10:11], v83, v[10:11]
; %bb.3297:                             ;   in Loop: Header=BB2_2648 Depth=2
	s_and_not1_saveexec_b32 s10, s10
; %bb.3298:                             ;   in Loop: Header=BB2_2648 Depth=2
	s_delay_alu instid0(VALU_DEP_1)
	v_bfe_u32 v82, v10, 23, 1
; %bb.3299:                             ;   in Loop: Header=BB2_2648 Depth=2
	s_or_b32 exec_lo, exec_lo, s10
	s_delay_alu instid0(VALU_DEP_2) | instskip(NEXT) | instid1(VALU_DEP_2)
	v_lshrrev_b64 v[10:11], 20, v[10:11]
	v_cmp_gt_i32_e32 vcc_lo, 16, v82
	v_min_i32_e32 v83, 15, v82
	v_cmp_eq_u32_e64 s10, 0, v82
	s_delay_alu instid0(VALU_DEP_4) | instskip(NEXT) | instid1(VALU_DEP_3)
	v_cndmask_b32_e32 v11, 0, v11, vcc_lo
	v_dual_cndmask_b32 v10, 7, v10 :: v_dual_lshlrev_b32 v83, 3, v83
	s_delay_alu instid0(VALU_DEP_1) | instskip(NEXT) | instid1(VALU_DEP_2)
	v_and_b32_e32 v83, 0xf8, v83
	v_cmp_eq_u64_e32 vcc_lo, 0, v[10:11]
	s_delay_alu instid0(VALU_DEP_2)
	v_and_or_b32 v10, v10, 7, v83
	s_and_b32 s10, s10, vcc_lo
	s_delay_alu instid0(VALU_DEP_1) | instid1(SALU_CYCLE_1)
	v_cndmask_b32_e64 v10, v10, 0, s10
	s_delay_alu instid0(VALU_DEP_1)
	v_or_b32_e32 v118, v10, v85
.LBB2_3300:                             ;   in Loop: Header=BB2_2648 Depth=2
	s_or_b32 exec_lo, exec_lo, s42
                                        ; implicit-def: $vgpr85
.LBB2_3301:                             ;   in Loop: Header=BB2_2648 Depth=2
	s_and_not1_saveexec_b32 s10, s41
; %bb.3302:                             ;   in Loop: Header=BB2_2648 Depth=2
	v_or_b32_e32 v118, 0x7e, v85
; %bb.3303:                             ;   in Loop: Header=BB2_2648 Depth=2
	s_or_b32 exec_lo, exec_lo, s10
                                        ; implicit-def: $vgpr11
.LBB2_3304:                             ;   in Loop: Header=BB2_2648 Depth=2
	s_and_not1_saveexec_b32 s10, s11
; %bb.3305:                             ;   in Loop: Header=BB2_2648 Depth=2
	v_or_b32_e32 v118, 0x7f, v11
; %bb.3306:                             ;   in Loop: Header=BB2_2648 Depth=2
	s_or_b32 exec_lo, exec_lo, s10
	v_lshrrev_b16 v10, 8, v84
	v_mov_b32_e32 v11, 0
	s_mov_b32 s10, exec_lo
	s_delay_alu instid0(VALU_DEP_2)
	v_cmpx_ne_u16_e32 0, v10
	s_cbranch_execz .LBB2_3314
; %bb.3307:                             ;   in Loop: Header=BB2_2648 Depth=2
	v_bfrev_b32_e32 v11, 1
	s_mov_b32 s11, exec_lo
	v_cmpx_ne_u16_e32 0x80, v10
	s_cbranch_execz .LBB2_3313
; %bb.3308:                             ;   in Loop: Header=BB2_2648 Depth=2
	v_and_b32_e32 v10, 0xffff, v10
	v_mov_b32_e32 v11, 0x7f800001
	s_mov_b32 s41, exec_lo
	s_delay_alu instid0(VALU_DEP_2) | instskip(NEXT) | instid1(VALU_DEP_1)
	v_and_b32_e32 v83, 0x7f, v10
	v_cmpx_ne_u32_e32 0x7f, v83
	s_cbranch_execz .LBB2_3312
; %bb.3309:                             ;   in Loop: Header=BB2_2648 Depth=2
	v_dual_mov_b32 v11, v33 :: v_dual_bitop2_b32 v10, 7, v10 bitop3:0x40
	v_lshrrev_b32_e32 v82, 3, v83
	s_mov_b32 s42, exec_lo
	v_cmpx_gt_u32_e32 8, v83
; %bb.3310:                             ;   in Loop: Header=BB2_2648 Depth=2
	s_delay_alu instid0(VALU_DEP_3) | instskip(NEXT) | instid1(VALU_DEP_1)
	v_clz_i32_u32_e32 v82, v10
	v_min_u32_e32 v82, 32, v82
	s_delay_alu instid0(VALU_DEP_1) | instskip(SKIP_1) | instid1(VALU_DEP_2)
	v_subrev_nc_u32_e32 v83, 28, v82
	v_sub_nc_u32_e32 v82, 29, v82
	v_lshlrev_b64_e32 v[10:11], v83, v[10:11]
	s_delay_alu instid0(VALU_DEP_1)
	v_and_b32_e32 v10, 7, v10
; %bb.3311:                             ;   in Loop: Header=BB2_2648 Depth=2
	s_or_b32 exec_lo, exec_lo, s42
	s_delay_alu instid0(VALU_DEP_1) | instskip(SKIP_1) | instid1(VALU_DEP_2)
	v_dual_lshlrev_b32 v11, 16, v84 :: v_dual_lshlrev_b32 v10, 20, v10
	v_lshl_add_u32 v82, v82, 23, 0x3c000000
	v_and_b32_e32 v11, 0x80000000, v11
	s_delay_alu instid0(VALU_DEP_1)
	v_or3_b32 v11, v10, v11, v82
.LBB2_3312:                             ;   in Loop: Header=BB2_2648 Depth=2
	s_or_b32 exec_lo, exec_lo, s41
.LBB2_3313:                             ;   in Loop: Header=BB2_2648 Depth=2
	s_delay_alu instid0(SALU_CYCLE_1)
	s_or_b32 exec_lo, exec_lo, s11
.LBB2_3314:                             ;   in Loop: Header=BB2_2648 Depth=2
	s_delay_alu instid0(SALU_CYCLE_1) | instskip(SKIP_3) | instid1(VALU_DEP_1)
	s_or_b32 exec_lo, exec_lo, s10
	v_lshrrev_b16 v82, 8, v12
	s_mov_b32 s11, 0
	s_mov_b32 s10, exec_lo
	v_cmpx_lt_i16_e32 0x7f, v82
	s_xor_b32 s10, exec_lo, s10
	s_cbranch_execnz .LBB2_3321
; %bb.3315:                             ;   in Loop: Header=BB2_2648 Depth=2
	s_or_saveexec_b32 s10, s10
	v_bfrev_b32_e32 v83, 1
	s_xor_b32 exec_lo, exec_lo, s10
	s_cbranch_execnz .LBB2_3324
.LBB2_3316:                             ;   in Loop: Header=BB2_2648 Depth=2
	s_or_b32 exec_lo, exec_lo, s10
	s_and_saveexec_b32 s10, s11
	s_cbranch_execnz .LBB2_3325
	s_branch .LBB2_3328
.LBB2_3317:                             ;   in Loop: Header=BB2_2648 Depth=2
	s_mov_b32 s10, -1
	s_mov_b32 s41, exec_lo
	v_cmpx_eq_u16_e32 0x80, v82
; %bb.3318:                             ;   in Loop: Header=BB2_2648 Depth=2
	s_xor_b32 s10, exec_lo, -1
; %bb.3319:                             ;   in Loop: Header=BB2_2648 Depth=2
	s_or_b32 exec_lo, exec_lo, s41
	s_delay_alu instid0(SALU_CYCLE_1)
	s_and_b32 s10, s10, exec_lo
                                        ; implicit-def: $vgpr82
	s_or_saveexec_b32 s11, s11
	v_bfrev_b32_e32 v11, 1
	s_xor_b32 exec_lo, exec_lo, s11
	s_cbranch_execz .LBB2_3288
.LBB2_3320:                             ;   in Loop: Header=BB2_2648 Depth=2
	v_cmp_ne_u16_e32 vcc_lo, 0, v82
	v_mov_b32_e32 v11, 0
	s_and_not1_b32 s10, s10, exec_lo
	s_and_b32 s41, vcc_lo, exec_lo
	s_delay_alu instid0(SALU_CYCLE_1)
	s_or_b32 s10, s10, s41
	s_or_b32 exec_lo, exec_lo, s11
	s_and_saveexec_b32 s11, s10
	s_cbranch_execnz .LBB2_3289
	s_branch .LBB2_3290
.LBB2_3321:                             ;   in Loop: Header=BB2_2648 Depth=2
	s_mov_b32 s11, -1
	s_mov_b32 s41, exec_lo
	v_cmpx_eq_u16_e32 0x80, v82
; %bb.3322:                             ;   in Loop: Header=BB2_2648 Depth=2
	s_xor_b32 s11, exec_lo, -1
; %bb.3323:                             ;   in Loop: Header=BB2_2648 Depth=2
	s_or_b32 exec_lo, exec_lo, s41
	s_delay_alu instid0(SALU_CYCLE_1)
	s_and_b32 s11, s11, exec_lo
	s_or_saveexec_b32 s10, s10
	v_bfrev_b32_e32 v83, 1
	s_xor_b32 exec_lo, exec_lo, s10
	s_cbranch_execz .LBB2_3316
.LBB2_3324:                             ;   in Loop: Header=BB2_2648 Depth=2
	v_cmp_ne_u16_e32 vcc_lo, 0, v82
	v_mov_b32_e32 v83, 0
	s_and_not1_b32 s11, s11, exec_lo
	s_and_b32 s41, vcc_lo, exec_lo
	s_delay_alu instid0(SALU_CYCLE_1)
	s_or_b32 s11, s11, s41
	s_or_b32 exec_lo, exec_lo, s10
	s_and_saveexec_b32 s10, s11
	s_cbranch_execz .LBB2_3328
.LBB2_3325:                             ;   in Loop: Header=BB2_2648 Depth=2
	v_and_b32_e32 v10, 0xffff, v82
	v_mov_b32_e32 v83, 0x7f800001
	s_mov_b32 s11, exec_lo
	s_delay_alu instid0(VALU_DEP_2) | instskip(NEXT) | instid1(VALU_DEP_1)
	v_and_b32_e32 v84, 0x7f, v10
	v_cmpx_ne_u32_e32 0x7f, v84
	s_cbranch_execz .LBB2_3327
; %bb.3326:                             ;   in Loop: Header=BB2_2648 Depth=2
	v_and_b32_e32 v83, 7, v10
	v_cmp_gt_u32_e32 vcc_lo, 8, v84
	s_delay_alu instid0(VALU_DEP_2) | instskip(NEXT) | instid1(VALU_DEP_1)
	v_clz_i32_u32_e32 v85, v83
	v_min_u32_e32 v85, 32, v85
	s_delay_alu instid0(VALU_DEP_1) | instskip(NEXT) | instid1(VALU_DEP_1)
	v_subrev_nc_u32_e32 v41, 28, v85
	v_lshlrev_b64_e32 v[44:45], v41, v[10:11]
	v_dual_lshrrev_b32 v10, 3, v84 :: v_dual_sub_nc_u32 v85, 29, v85
	s_delay_alu instid0(VALU_DEP_2) | instskip(NEXT) | instid1(VALU_DEP_1)
	v_dual_lshlrev_b32 v82, 24, v82 :: v_dual_bitop2_b32 v84, 7, v44 bitop3:0x40
	v_dual_cndmask_b32 v10, v10, v85 :: v_dual_cndmask_b32 v83, v83, v84
	s_delay_alu instid0(VALU_DEP_2) | instskip(NEXT) | instid1(VALU_DEP_2)
	v_and_b32_e32 v82, 0x80000000, v82
	v_lshl_add_u32 v10, v10, 23, 0x3c000000
	s_delay_alu instid0(VALU_DEP_3) | instskip(NEXT) | instid1(VALU_DEP_1)
	v_lshlrev_b32_e32 v83, 20, v83
	v_or3_b32 v83, v83, v82, v10
.LBB2_3327:                             ;   in Loop: Header=BB2_2648 Depth=2
	s_or_b32 exec_lo, exec_lo, s11
.LBB2_3328:                             ;   in Loop: Header=BB2_2648 Depth=2
	s_delay_alu instid0(SALU_CYCLE_1) | instskip(NEXT) | instid1(VALU_DEP_1)
	s_or_b32 exec_lo, exec_lo, s10
	v_dual_add_f32 v10, v11, v83 :: v_dual_mov_b32 v83, v33
                                        ; implicit-def: $vgpr41
	s_mov_b32 s10, exec_lo
	s_delay_alu instid0(VALU_DEP_1) | instskip(SKIP_1) | instid1(VALU_DEP_2)
	v_and_b32_e32 v82, 0x7f800000, v10
	v_lshrrev_b32_e32 v11, 24, v10
	v_cmpx_ne_u64_e32 0x7f800000, v[82:83]
	s_xor_b32 s11, exec_lo, s10
	s_cbranch_execz .LBB2_3342
; %bb.3329:                             ;   in Loop: Header=BB2_2648 Depth=2
	v_and_b32_e32 v82, 0x7fffffff, v10
	v_mov_b32_e32 v83, v33
	v_and_b32_e32 v84, 0x80, v11
                                        ; implicit-def: $vgpr41
	s_mov_b32 s10, exec_lo
	s_delay_alu instid0(VALU_DEP_2)
	v_cmpx_gt_u64_e32 0x43e00001, v[82:83]
	s_xor_b32 s41, exec_lo, s10
	s_cbranch_execz .LBB2_3339
; %bb.3330:                             ;   in Loop: Header=BB2_2648 Depth=2
	v_mov_b32_e32 v41, 0
	s_mov_b32 s42, exec_lo
	v_cmpx_ne_u32_e32 0, v10
	s_cbranch_execz .LBB2_3338
; %bb.3331:                             ;   in Loop: Header=BB2_2648 Depth=2
	v_bfe_u32 v85, v10, 23, 8
	v_and_b32_e32 v82, 0x7fffff, v10
	s_mov_b32 s43, exec_lo
	s_delay_alu instid0(VALU_DEP_2) | instskip(NEXT) | instid1(VALU_DEP_2)
	v_cmp_gt_u32_e32 vcc_lo, 0x7a, v85
	v_or_b32_e32 v83, 0x800000, v82
	v_sub_nc_u32_e32 v11, 0x79, v85
	s_delay_alu instid0(VALU_DEP_1) | instskip(SKIP_1) | instid1(VALU_DEP_2)
	v_cndmask_b32_e32 v11, 0, v11, vcc_lo
	v_cmp_eq_u32_e32 vcc_lo, 0, v85
	v_cndmask_b32_e64 v41, v11, 0x78, vcc_lo
	v_dual_cndmask_b32 v82, v83, v82 :: v_dual_mov_b32 v83, v33
	s_delay_alu instid0(VALU_DEP_2) | instskip(NEXT) | instid1(VALU_DEP_1)
	v_dual_add_nc_u32 v44, 19, v41 :: v_dual_add_nc_u32 v10, 20, v41
	v_lshlrev_b64_e64 v[44:45], v44, 1
	s_delay_alu instid0(VALU_DEP_2) | instskip(NEXT) | instid1(VALU_DEP_1)
	v_lshlrev_b64_e64 v[10:11], v10, -1
	v_bfi_b32 v57, v11, 0, 0
	s_delay_alu instid0(VALU_DEP_2) | instskip(SKIP_1) | instid1(VALU_DEP_1)
	v_bfi_b32 v56, v10, 0, v82
	v_lshrrev_b64 v[10:11], v41, v[82:83]
	v_mov_b64_e32 v[82:83], v[10:11]
	s_delay_alu instid0(VALU_DEP_3)
	v_cmpx_eq_u64_e64 v[56:57], v[44:45]
; %bb.3332:                             ;   in Loop: Header=BB2_2648 Depth=2
	v_bfe_u32 v82, v10, 20, 1
	v_mov_b32_e32 v83, v33
	s_delay_alu instid0(VALU_DEP_1) | instskip(NEXT) | instid1(VALU_DEP_1)
	v_add_nc_u64_e32 v[82:83], v[10:11], v[82:83]
	v_add_nc_u64_e32 v[82:83], -1, v[82:83]
; %bb.3333:                             ;   in Loop: Header=BB2_2648 Depth=2
	s_or_b32 exec_lo, exec_lo, s43
	v_add_nc_u32_e32 v11, 0xffffff81, v85
	v_lshrrev_b32_e32 v83, 23, v10
	s_mov_b32 s10, exec_lo
	s_delay_alu instid0(VALU_DEP_2) | instskip(NEXT) | instid1(VALU_DEP_1)
	v_cndmask_b32_e64 v11, v11, 0xffffff82, vcc_lo
	v_add3_u32 v83, v41, v11, v83
	v_and_b32_e32 v11, 0xfffff, v82
                                        ; implicit-def: $vgpr82
	s_delay_alu instid0(VALU_DEP_1) | instskip(SKIP_1) | instid1(VALU_DEP_2)
	v_dual_add_nc_u32 v85, 6, v83 :: v_dual_add_nc_u32 v10, v11, v10
	v_mov_b32_e32 v11, v33
	v_cmpx_ne_u32_e32 0, v85
	s_xor_b32 s10, exec_lo, s10
; %bb.3334:                             ;   in Loop: Header=BB2_2648 Depth=2
	s_delay_alu instid0(VALU_DEP_2) | instskip(SKIP_2) | instid1(VALU_DEP_2)
	v_cmp_lt_u64_e32 vcc_lo, 0xffffff, v[10:11]
	v_add_nc_u32_e32 v82, 7, v83
	v_cndmask_b32_e64 v83, 0, 1, vcc_lo
	v_cndmask_b32_e32 v82, v85, v82, vcc_lo
	s_delay_alu instid0(VALU_DEP_2)
	v_lshrrev_b64 v[10:11], v83, v[10:11]
; %bb.3335:                             ;   in Loop: Header=BB2_2648 Depth=2
	s_and_not1_saveexec_b32 s10, s10
; %bb.3336:                             ;   in Loop: Header=BB2_2648 Depth=2
	s_delay_alu instid0(VALU_DEP_1)
	v_bfe_u32 v82, v10, 23, 1
; %bb.3337:                             ;   in Loop: Header=BB2_2648 Depth=2
	s_or_b32 exec_lo, exec_lo, s10
	s_delay_alu instid0(VALU_DEP_2) | instskip(NEXT) | instid1(VALU_DEP_2)
	v_lshrrev_b64 v[10:11], 20, v[10:11]
	v_cmp_gt_i32_e32 vcc_lo, 16, v82
	v_min_i32_e32 v83, 15, v82
	v_cmp_eq_u32_e64 s10, 0, v82
	s_delay_alu instid0(VALU_DEP_4) | instskip(NEXT) | instid1(VALU_DEP_3)
	v_cndmask_b32_e32 v11, 0, v11, vcc_lo
	v_dual_cndmask_b32 v10, 7, v10 :: v_dual_lshlrev_b32 v83, 3, v83
	s_delay_alu instid0(VALU_DEP_1) | instskip(NEXT) | instid1(VALU_DEP_2)
	v_and_b32_e32 v83, 0xf8, v83
	v_cmp_eq_u64_e32 vcc_lo, 0, v[10:11]
	s_delay_alu instid0(VALU_DEP_2)
	v_and_or_b32 v10, v10, 7, v83
	s_and_b32 s10, s10, vcc_lo
	s_delay_alu instid0(VALU_DEP_1) | instid1(SALU_CYCLE_1)
	v_cndmask_b32_e64 v10, v10, 0, s10
	s_delay_alu instid0(VALU_DEP_1)
	v_or_b32_e32 v41, v10, v84
.LBB2_3338:                             ;   in Loop: Header=BB2_2648 Depth=2
	s_or_b32 exec_lo, exec_lo, s42
                                        ; implicit-def: $vgpr84
.LBB2_3339:                             ;   in Loop: Header=BB2_2648 Depth=2
	s_and_not1_saveexec_b32 s10, s41
; %bb.3340:                             ;   in Loop: Header=BB2_2648 Depth=2
	v_or_b32_e32 v41, 0x7e, v84
; %bb.3341:                             ;   in Loop: Header=BB2_2648 Depth=2
	s_or_b32 exec_lo, exec_lo, s10
                                        ; implicit-def: $vgpr11
.LBB2_3342:                             ;   in Loop: Header=BB2_2648 Depth=2
	s_and_not1_saveexec_b32 s10, s11
; %bb.3343:                             ;   in Loop: Header=BB2_2648 Depth=2
	v_or_b32_e32 v41, 0x7f, v11
; %bb.3344:                             ;   in Loop: Header=BB2_2648 Depth=2
	s_or_b32 exec_lo, exec_lo, s10
	v_dual_mov_b32 v11, 0 :: v_dual_lshrrev_b32 v82, 16, v32
	s_mov_b32 s10, exec_lo
	s_delay_alu instid0(VALU_DEP_1) | instskip(NEXT) | instid1(VALU_DEP_1)
	v_and_b32_e32 v10, 0xff, v82
	v_cmpx_ne_u16_e32 0, v10
	s_cbranch_execz .LBB2_3352
; %bb.3345:                             ;   in Loop: Header=BB2_2648 Depth=2
	v_bfrev_b32_e32 v11, 1
	s_mov_b32 s11, exec_lo
	v_cmpx_ne_u16_e32 0x80, v10
	s_cbranch_execz .LBB2_3351
; %bb.3346:                             ;   in Loop: Header=BB2_2648 Depth=2
	v_bfe_u32 v84, v32, 16, 7
	v_mov_b32_e32 v11, 0x7f800001
	s_mov_b32 s41, exec_lo
	s_delay_alu instid0(VALU_DEP_2)
	v_cmpx_ne_u32_e32 0x7f, v84
	s_cbranch_execz .LBB2_3350
; %bb.3347:                             ;   in Loop: Header=BB2_2648 Depth=2
	v_dual_mov_b32 v11, v33 :: v_dual_bitop2_b32 v10, 7, v82 bitop3:0x40
	v_lshrrev_b32_e32 v83, 3, v84
	s_mov_b32 s42, exec_lo
	v_cmpx_gt_u32_e32 8, v84
; %bb.3348:                             ;   in Loop: Header=BB2_2648 Depth=2
	s_delay_alu instid0(VALU_DEP_3) | instskip(NEXT) | instid1(VALU_DEP_1)
	v_clz_i32_u32_e32 v83, v10
	v_min_u32_e32 v83, 32, v83
	s_delay_alu instid0(VALU_DEP_1) | instskip(NEXT) | instid1(VALU_DEP_1)
	v_subrev_nc_u32_e32 v84, 28, v83
	v_lshlrev_b64_e32 v[10:11], v84, v[10:11]
	s_delay_alu instid0(VALU_DEP_1)
	v_dual_sub_nc_u32 v83, 29, v83 :: v_dual_bitop2_b32 v10, 7, v10 bitop3:0x40
; %bb.3349:                             ;   in Loop: Header=BB2_2648 Depth=2
	s_or_b32 exec_lo, exec_lo, s42
	v_lshlrev_b32_e32 v11, 24, v82
	s_delay_alu instid0(VALU_DEP_2) | instskip(NEXT) | instid1(VALU_DEP_3)
	v_lshlrev_b32_e32 v10, 20, v10
	v_lshl_add_u32 v82, v83, 23, 0x3c000000
	s_delay_alu instid0(VALU_DEP_3) | instskip(NEXT) | instid1(VALU_DEP_1)
	v_and_b32_e32 v11, 0x80000000, v11
	v_or3_b32 v11, v10, v11, v82
.LBB2_3350:                             ;   in Loop: Header=BB2_2648 Depth=2
	s_or_b32 exec_lo, exec_lo, s41
.LBB2_3351:                             ;   in Loop: Header=BB2_2648 Depth=2
	s_delay_alu instid0(SALU_CYCLE_1)
	s_or_b32 exec_lo, exec_lo, s11
.LBB2_3352:                             ;   in Loop: Header=BB2_2648 Depth=2
	s_delay_alu instid0(SALU_CYCLE_1) | instskip(SKIP_3) | instid1(VALU_DEP_1)
	s_or_b32 exec_lo, exec_lo, s10
	v_lshrrev_b32_e32 v10, 16, v12
	s_mov_b32 s11, 0
	s_mov_b32 s10, exec_lo
	v_and_b32_e32 v83, 0xff, v10
	s_delay_alu instid0(VALU_DEP_1)
	v_cmpx_lt_i16_e32 0x7f, v83
	s_xor_b32 s10, exec_lo, s10
	s_cbranch_execnz .LBB2_3355
; %bb.3353:                             ;   in Loop: Header=BB2_2648 Depth=2
	s_or_saveexec_b32 s10, s10
	v_bfrev_b32_e32 v82, 1
	s_xor_b32 exec_lo, exec_lo, s10
	s_cbranch_execnz .LBB2_3358
.LBB2_3354:                             ;   in Loop: Header=BB2_2648 Depth=2
	s_or_b32 exec_lo, exec_lo, s10
	s_and_saveexec_b32 s10, s11
	s_cbranch_execnz .LBB2_3359
	s_branch .LBB2_3362
.LBB2_3355:                             ;   in Loop: Header=BB2_2648 Depth=2
	s_mov_b32 s11, -1
	s_mov_b32 s41, exec_lo
	v_cmpx_eq_u16_e32 0x80, v83
; %bb.3356:                             ;   in Loop: Header=BB2_2648 Depth=2
	s_xor_b32 s11, exec_lo, -1
; %bb.3357:                             ;   in Loop: Header=BB2_2648 Depth=2
	s_or_b32 exec_lo, exec_lo, s41
	s_delay_alu instid0(SALU_CYCLE_1)
	s_and_b32 s11, s11, exec_lo
                                        ; implicit-def: $vgpr83
	s_or_saveexec_b32 s10, s10
	v_bfrev_b32_e32 v82, 1
	s_xor_b32 exec_lo, exec_lo, s10
	s_cbranch_execz .LBB2_3354
.LBB2_3358:                             ;   in Loop: Header=BB2_2648 Depth=2
	v_cmp_ne_u16_e32 vcc_lo, 0, v83
	v_mov_b32_e32 v82, 0
	s_and_not1_b32 s11, s11, exec_lo
	s_and_b32 s41, vcc_lo, exec_lo
	s_delay_alu instid0(SALU_CYCLE_1)
	s_or_b32 s11, s11, s41
	s_or_b32 exec_lo, exec_lo, s10
	s_and_saveexec_b32 s10, s11
	s_cbranch_execz .LBB2_3362
.LBB2_3359:                             ;   in Loop: Header=BB2_2648 Depth=2
	v_and_b32_e32 v83, 0x7f, v10
	v_mov_b32_e32 v82, 0x7f800001
	s_mov_b32 s11, exec_lo
	s_delay_alu instid0(VALU_DEP_2)
	v_cmpx_ne_u32_e32 0x7f, v83
	s_cbranch_execz .LBB2_3361
; %bb.3360:                             ;   in Loop: Header=BB2_2648 Depth=2
	v_and_b32_e32 v82, 7, v10
	v_cmp_gt_u32_e32 vcc_lo, 8, v83
	s_delay_alu instid0(VALU_DEP_2) | instskip(NEXT) | instid1(VALU_DEP_1)
	v_clz_i32_u32_e32 v84, v82
	v_min_u32_e32 v44, 32, v84
	s_delay_alu instid0(VALU_DEP_1) | instskip(SKIP_1) | instid1(VALU_DEP_2)
	v_subrev_nc_u32_e32 v84, 28, v44
	v_sub_nc_u32_e32 v44, 29, v44
	v_lshlrev_b64_e32 v[84:85], v84, v[10:11]
	v_dual_lshrrev_b32 v85, 3, v83 :: v_dual_lshlrev_b32 v10, 24, v10
	s_delay_alu instid0(VALU_DEP_1) | instskip(NEXT) | instid1(VALU_DEP_3)
	v_and_b32_e32 v10, 0x80000000, v10
	v_and_b32_e32 v83, 7, v84
	s_delay_alu instid0(VALU_DEP_1) | instskip(NEXT) | instid1(VALU_DEP_1)
	v_dual_cndmask_b32 v84, v85, v44, vcc_lo :: v_dual_cndmask_b32 v82, v82, v83, vcc_lo
	v_lshl_add_u32 v83, v84, 23, 0x3c000000
	s_delay_alu instid0(VALU_DEP_2) | instskip(NEXT) | instid1(VALU_DEP_1)
	v_lshlrev_b32_e32 v82, 20, v82
	v_or3_b32 v82, v82, v10, v83
.LBB2_3361:                             ;   in Loop: Header=BB2_2648 Depth=2
	s_or_b32 exec_lo, exec_lo, s11
.LBB2_3362:                             ;   in Loop: Header=BB2_2648 Depth=2
	s_delay_alu instid0(SALU_CYCLE_1) | instskip(NEXT) | instid1(VALU_DEP_1)
	s_or_b32 exec_lo, exec_lo, s10
	v_dual_add_f32 v10, v11, v82 :: v_dual_mov_b32 v83, v33
                                        ; implicit-def: $vgpr44
	s_mov_b32 s10, exec_lo
	s_delay_alu instid0(VALU_DEP_1) | instskip(SKIP_1) | instid1(VALU_DEP_2)
	v_and_b32_e32 v82, 0x7f800000, v10
	v_lshrrev_b32_e32 v11, 24, v10
	v_cmpx_ne_u64_e32 0x7f800000, v[82:83]
	s_xor_b32 s11, exec_lo, s10
	s_cbranch_execz .LBB2_3376
; %bb.3363:                             ;   in Loop: Header=BB2_2648 Depth=2
	v_and_b32_e32 v82, 0x7fffffff, v10
	v_mov_b32_e32 v83, v33
	v_and_b32_e32 v84, 0x80, v11
                                        ; implicit-def: $vgpr44
	s_mov_b32 s10, exec_lo
	s_delay_alu instid0(VALU_DEP_2)
	v_cmpx_gt_u64_e32 0x43e00001, v[82:83]
	s_xor_b32 s41, exec_lo, s10
	s_cbranch_execz .LBB2_3373
; %bb.3364:                             ;   in Loop: Header=BB2_2648 Depth=2
	v_mov_b32_e32 v44, 0
	s_mov_b32 s42, exec_lo
	v_cmpx_ne_u32_e32 0, v10
	s_cbranch_execz .LBB2_3372
; %bb.3365:                             ;   in Loop: Header=BB2_2648 Depth=2
	v_bfe_u32 v85, v10, 23, 8
	v_and_b32_e32 v82, 0x7fffff, v10
	s_mov_b32 s43, exec_lo
	s_delay_alu instid0(VALU_DEP_2) | instskip(NEXT) | instid1(VALU_DEP_2)
	v_cmp_gt_u32_e32 vcc_lo, 0x7a, v85
	v_or_b32_e32 v83, 0x800000, v82
	v_sub_nc_u32_e32 v11, 0x79, v85
	s_delay_alu instid0(VALU_DEP_1) | instskip(SKIP_1) | instid1(VALU_DEP_2)
	v_cndmask_b32_e32 v11, 0, v11, vcc_lo
	v_cmp_eq_u32_e32 vcc_lo, 0, v85
	v_cndmask_b32_e64 v44, v11, 0x78, vcc_lo
	v_dual_cndmask_b32 v82, v83, v82 :: v_dual_mov_b32 v83, v33
	s_delay_alu instid0(VALU_DEP_2) | instskip(NEXT) | instid1(VALU_DEP_1)
	v_dual_add_nc_u32 v45, 19, v44 :: v_dual_add_nc_u32 v10, 20, v44
	v_lshlrev_b64_e64 v[56:57], v45, 1
	s_delay_alu instid0(VALU_DEP_2) | instskip(NEXT) | instid1(VALU_DEP_1)
	v_lshlrev_b64_e64 v[10:11], v10, -1
	v_bfi_b32 v59, v11, 0, 0
	s_delay_alu instid0(VALU_DEP_2) | instskip(SKIP_1) | instid1(VALU_DEP_1)
	v_bfi_b32 v58, v10, 0, v82
	v_lshrrev_b64 v[10:11], v44, v[82:83]
	v_mov_b64_e32 v[82:83], v[10:11]
	s_delay_alu instid0(VALU_DEP_3)
	v_cmpx_eq_u64_e64 v[58:59], v[56:57]
; %bb.3366:                             ;   in Loop: Header=BB2_2648 Depth=2
	v_bfe_u32 v82, v10, 20, 1
	v_mov_b32_e32 v83, v33
	s_delay_alu instid0(VALU_DEP_1) | instskip(NEXT) | instid1(VALU_DEP_1)
	v_add_nc_u64_e32 v[82:83], v[10:11], v[82:83]
	v_add_nc_u64_e32 v[82:83], -1, v[82:83]
; %bb.3367:                             ;   in Loop: Header=BB2_2648 Depth=2
	s_or_b32 exec_lo, exec_lo, s43
	v_add_nc_u32_e32 v11, 0xffffff81, v85
	v_lshrrev_b32_e32 v83, 23, v10
	s_mov_b32 s10, exec_lo
	s_delay_alu instid0(VALU_DEP_2) | instskip(NEXT) | instid1(VALU_DEP_1)
	v_cndmask_b32_e64 v11, v11, 0xffffff82, vcc_lo
	v_add3_u32 v83, v44, v11, v83
	v_and_b32_e32 v11, 0xfffff, v82
                                        ; implicit-def: $vgpr82
	s_delay_alu instid0(VALU_DEP_1) | instskip(SKIP_1) | instid1(VALU_DEP_2)
	v_dual_add_nc_u32 v85, 6, v83 :: v_dual_add_nc_u32 v10, v11, v10
	v_mov_b32_e32 v11, v33
	v_cmpx_ne_u32_e32 0, v85
	s_xor_b32 s10, exec_lo, s10
; %bb.3368:                             ;   in Loop: Header=BB2_2648 Depth=2
	s_delay_alu instid0(VALU_DEP_2) | instskip(SKIP_2) | instid1(VALU_DEP_2)
	v_cmp_lt_u64_e32 vcc_lo, 0xffffff, v[10:11]
	v_add_nc_u32_e32 v82, 7, v83
	v_cndmask_b32_e64 v83, 0, 1, vcc_lo
	v_cndmask_b32_e32 v82, v85, v82, vcc_lo
	s_delay_alu instid0(VALU_DEP_2)
	v_lshrrev_b64 v[10:11], v83, v[10:11]
; %bb.3369:                             ;   in Loop: Header=BB2_2648 Depth=2
	s_and_not1_saveexec_b32 s10, s10
; %bb.3370:                             ;   in Loop: Header=BB2_2648 Depth=2
	s_delay_alu instid0(VALU_DEP_1)
	v_bfe_u32 v82, v10, 23, 1
; %bb.3371:                             ;   in Loop: Header=BB2_2648 Depth=2
	s_or_b32 exec_lo, exec_lo, s10
	s_delay_alu instid0(VALU_DEP_2) | instskip(NEXT) | instid1(VALU_DEP_2)
	v_lshrrev_b64 v[10:11], 20, v[10:11]
	v_cmp_gt_i32_e32 vcc_lo, 16, v82
	v_min_i32_e32 v83, 15, v82
	v_cmp_eq_u32_e64 s10, 0, v82
	s_delay_alu instid0(VALU_DEP_4) | instskip(NEXT) | instid1(VALU_DEP_3)
	v_cndmask_b32_e32 v11, 0, v11, vcc_lo
	v_dual_cndmask_b32 v10, 7, v10 :: v_dual_lshlrev_b32 v83, 3, v83
	s_delay_alu instid0(VALU_DEP_1) | instskip(NEXT) | instid1(VALU_DEP_2)
	v_and_b32_e32 v83, 0xf8, v83
	v_cmp_eq_u64_e32 vcc_lo, 0, v[10:11]
	s_delay_alu instid0(VALU_DEP_2)
	v_and_or_b32 v10, v10, 7, v83
	s_and_b32 s10, s10, vcc_lo
	s_delay_alu instid0(VALU_DEP_1) | instid1(SALU_CYCLE_1)
	v_cndmask_b32_e64 v10, v10, 0, s10
	s_delay_alu instid0(VALU_DEP_1)
	v_or_b32_e32 v44, v10, v84
.LBB2_3372:                             ;   in Loop: Header=BB2_2648 Depth=2
	s_or_b32 exec_lo, exec_lo, s42
                                        ; implicit-def: $vgpr84
.LBB2_3373:                             ;   in Loop: Header=BB2_2648 Depth=2
	s_and_not1_saveexec_b32 s10, s41
; %bb.3374:                             ;   in Loop: Header=BB2_2648 Depth=2
	v_or_b32_e32 v44, 0x7e, v84
; %bb.3375:                             ;   in Loop: Header=BB2_2648 Depth=2
	s_or_b32 exec_lo, exec_lo, s10
                                        ; implicit-def: $vgpr11
.LBB2_3376:                             ;   in Loop: Header=BB2_2648 Depth=2
	s_and_not1_saveexec_b32 s10, s11
; %bb.3377:                             ;   in Loop: Header=BB2_2648 Depth=2
	v_or_b32_e32 v44, 0x7f, v11
; %bb.3378:                             ;   in Loop: Header=BB2_2648 Depth=2
	s_or_b32 exec_lo, exec_lo, s10
	v_mov_b32_e32 v11, 0
	s_mov_b32 s10, exec_lo
	v_cmpx_lt_u32_e32 0xffffff, v32
	s_cbranch_execz .LBB2_3386
; %bb.3379:                             ;   in Loop: Header=BB2_2648 Depth=2
	v_lshrrev_b32_e32 v10, 24, v32
	v_bfrev_b32_e32 v11, 1
	s_mov_b32 s11, exec_lo
	s_delay_alu instid0(VALU_DEP_2)
	v_cmpx_ne_u32_e32 0x80, v10
	s_cbranch_execz .LBB2_3385
; %bb.3380:                             ;   in Loop: Header=BB2_2648 Depth=2
	v_bfe_u32 v82, v32, 24, 7
	v_mov_b32_e32 v11, 0x7f800001
	s_mov_b32 s41, exec_lo
	s_delay_alu instid0(VALU_DEP_2)
	v_cmpx_ne_u32_e32 0x7f, v82
	s_cbranch_execz .LBB2_3384
; %bb.3381:                             ;   in Loop: Header=BB2_2648 Depth=2
	v_and_b32_e32 v32, 7, v10
	v_lshrrev_b32_e32 v11, 3, v82
	s_mov_b32 s42, exec_lo
	v_cmpx_gt_u32_e32 8, v82
; %bb.3382:                             ;   in Loop: Header=BB2_2648 Depth=2
	s_delay_alu instid0(VALU_DEP_3) | instskip(NEXT) | instid1(VALU_DEP_1)
	v_clz_i32_u32_e32 v11, v32
	v_min_u32_e32 v11, 32, v11
	s_delay_alu instid0(VALU_DEP_1) | instskip(NEXT) | instid1(VALU_DEP_1)
	v_subrev_nc_u32_e32 v82, 28, v11
	v_lshlrev_b64_e32 v[82:83], v82, v[32:33]
	s_delay_alu instid0(VALU_DEP_1)
	v_dual_sub_nc_u32 v11, 29, v11 :: v_dual_bitop2_b32 v32, 7, v82 bitop3:0x40
; %bb.3383:                             ;   in Loop: Header=BB2_2648 Depth=2
	s_or_b32 exec_lo, exec_lo, s42
	s_delay_alu instid0(VALU_DEP_1) | instskip(NEXT) | instid1(VALU_DEP_2)
	v_dual_lshlrev_b32 v10, 24, v10 :: v_dual_lshlrev_b32 v32, 20, v32
	v_lshl_add_u32 v11, v11, 23, 0x3c000000
	s_delay_alu instid0(VALU_DEP_2) | instskip(NEXT) | instid1(VALU_DEP_1)
	v_and_b32_e32 v10, 0x80000000, v10
	v_or3_b32 v11, v32, v10, v11
.LBB2_3384:                             ;   in Loop: Header=BB2_2648 Depth=2
	s_or_b32 exec_lo, exec_lo, s41
.LBB2_3385:                             ;   in Loop: Header=BB2_2648 Depth=2
	s_delay_alu instid0(SALU_CYCLE_1)
	s_or_b32 exec_lo, exec_lo, s11
.LBB2_3386:                             ;   in Loop: Header=BB2_2648 Depth=2
	s_delay_alu instid0(SALU_CYCLE_1) | instskip(SKIP_3) | instid1(VALU_DEP_3)
	s_or_b32 exec_lo, exec_lo, s10
	v_lshrrev_b32_e32 v10, 24, v12
	v_bfe_u32 v32, v12, 24, 7
	v_cmp_gt_u32_e64 s11, 0x1000000, v12
	v_cmp_eq_u32_e32 vcc_lo, 0x80, v10
	s_delay_alu instid0(VALU_DEP_3) | instskip(SKIP_2) | instid1(VALU_DEP_1)
	v_cmp_eq_u32_e64 s10, 0x7f, v32
	v_cndmask_b32_e32 v82, 0x7f800001, v99, vcc_lo
	s_or_b32 s10, vcc_lo, s10
	v_cndmask_b32_e64 v82, v82, 0, s11
	s_nor_b32 s11, s11, s10
	s_delay_alu instid0(SALU_CYCLE_1)
	s_and_saveexec_b32 s10, s11
	s_cbranch_execz .LBB2_3388
; %bb.3387:                             ;   in Loop: Header=BB2_2648 Depth=2
	v_and_b32_e32 v84, 7, v10
	v_cmp_gt_u32_e32 vcc_lo, 8, v32
	s_delay_alu instid0(VALU_DEP_2) | instskip(NEXT) | instid1(VALU_DEP_1)
	v_clz_i32_u32_e32 v82, v84
	v_min_u32_e32 v85, 32, v82
	s_delay_alu instid0(VALU_DEP_1) | instskip(NEXT) | instid1(VALU_DEP_1)
	v_subrev_nc_u32_e32 v82, 28, v85
	v_lshlrev_b64_e32 v[82:83], v82, v[10:11]
	v_dual_lshrrev_b32 v83, 3, v32 :: v_dual_sub_nc_u32 v85, 29, v85
	v_lshlrev_b32_e32 v10, 24, v10
	s_delay_alu instid0(VALU_DEP_2) | instskip(NEXT) | instid1(VALU_DEP_2)
	v_dual_cndmask_b32 v82, v83, v85, vcc_lo :: v_dual_bitop2_b32 v32, 7, v82 bitop3:0x40
	v_and_b32_e32 v10, 0x80000000, v10
	s_delay_alu instid0(VALU_DEP_2) | instskip(NEXT) | instid1(VALU_DEP_3)
	v_cndmask_b32_e32 v32, v84, v32, vcc_lo
	v_lshl_add_u32 v82, v82, 23, 0x3c000000
	s_delay_alu instid0(VALU_DEP_2) | instskip(NEXT) | instid1(VALU_DEP_1)
	v_lshlrev_b32_e32 v32, 20, v32
	v_or3_b32 v82, v32, v10, v82
.LBB2_3388:                             ;   in Loop: Header=BB2_2648 Depth=2
	s_or_b32 exec_lo, exec_lo, s10
	s_delay_alu instid0(VALU_DEP_1) | instskip(SKIP_1) | instid1(VALU_DEP_1)
	v_add_f32_e32 v10, v11, v82
                                        ; implicit-def: $vgpr45
	s_mov_b32 s10, exec_lo
	v_and_b32_e32 v32, 0x7f800000, v10
	v_lshrrev_b32_e32 v11, 24, v10
	s_delay_alu instid0(VALU_DEP_2)
	v_cmpx_ne_u64_e32 0x7f800000, v[32:33]
	s_xor_b32 s11, exec_lo, s10
	s_cbranch_execz .LBB2_3402
; %bb.3389:                             ;   in Loop: Header=BB2_2648 Depth=2
	v_and_b32_e32 v32, 0x7fffffff, v10
	v_and_b32_e32 v84, 0x80, v11
                                        ; implicit-def: $vgpr45
	s_mov_b32 s10, exec_lo
	s_delay_alu instid0(VALU_DEP_2)
	v_cmpx_gt_u64_e32 0x43e00001, v[32:33]
	s_xor_b32 s41, exec_lo, s10
	s_cbranch_execz .LBB2_3399
; %bb.3390:                             ;   in Loop: Header=BB2_2648 Depth=2
	v_mov_b32_e32 v45, 0
	s_mov_b32 s42, exec_lo
	v_cmpx_ne_u32_e32 0, v10
	s_cbranch_execz .LBB2_3398
; %bb.3391:                             ;   in Loop: Header=BB2_2648 Depth=2
	v_bfe_u32 v85, v10, 23, 8
	v_and_b32_e32 v32, 0x7fffff, v10
	s_delay_alu instid0(VALU_DEP_2) | instskip(NEXT) | instid1(VALU_DEP_2)
	v_cmp_gt_u32_e32 vcc_lo, 0x7a, v85
	v_or_b32_e32 v82, 0x800000, v32
	v_sub_nc_u32_e32 v11, 0x79, v85
	s_delay_alu instid0(VALU_DEP_1) | instskip(SKIP_1) | instid1(VALU_DEP_2)
	v_cndmask_b32_e32 v11, 0, v11, vcc_lo
	v_cmp_eq_u32_e32 vcc_lo, 0, v85
	v_cndmask_b32_e64 v45, v11, 0x78, vcc_lo
	s_delay_alu instid0(VALU_DEP_1) | instskip(SKIP_1) | instid1(VALU_DEP_2)
	v_dual_cndmask_b32 v32, v82, v32, vcc_lo :: v_dual_add_nc_u32 v10, 20, v45
	v_add_nc_u32_e32 v83, 19, v45
	v_lshlrev_b64_e64 v[10:11], v10, -1
	s_delay_alu instid0(VALU_DEP_2) | instskip(NEXT) | instid1(VALU_DEP_2)
	v_lshlrev_b64_e64 v[82:83], v83, 1
	v_bfi_b32 v57, v11, 0, 0
	s_delay_alu instid0(VALU_DEP_3) | instskip(SKIP_1) | instid1(VALU_DEP_2)
	v_bfi_b32 v56, v10, 0, v32
	v_lshrrev_b64 v[10:11], v45, v[32:33]
	v_cmp_eq_u64_e64 s10, v[56:57], v[82:83]
	s_delay_alu instid0(VALU_DEP_2)
	v_mov_b64_e32 v[82:83], v[10:11]
	s_and_saveexec_b32 s43, s10
; %bb.3392:                             ;   in Loop: Header=BB2_2648 Depth=2
	v_bfe_u32 v32, v10, 20, 1
	s_delay_alu instid0(VALU_DEP_1) | instskip(NEXT) | instid1(VALU_DEP_1)
	v_add_nc_u64_e32 v[82:83], v[10:11], v[32:33]
	v_add_nc_u64_e32 v[82:83], -1, v[82:83]
; %bb.3393:                             ;   in Loop: Header=BB2_2648 Depth=2
	s_or_b32 exec_lo, exec_lo, s43
	v_add_nc_u32_e32 v11, 0xffffff81, v85
	v_lshrrev_b32_e32 v32, 23, v10
	s_mov_b32 s10, exec_lo
	s_delay_alu instid0(VALU_DEP_2) | instskip(NEXT) | instid1(VALU_DEP_1)
	v_cndmask_b32_e64 v11, v11, 0xffffff82, vcc_lo
	v_add3_u32 v83, v45, v11, v32
	v_and_b32_e32 v11, 0xfffff, v82
                                        ; implicit-def: $vgpr82
	s_delay_alu instid0(VALU_DEP_1) | instskip(NEXT) | instid1(VALU_DEP_1)
	v_dual_add_nc_u32 v85, 6, v83 :: v_dual_add_nc_u32 v32, v11, v10
                                        ; implicit-def: $vgpr10_vgpr11
	v_cmpx_ne_u32_e32 0, v85
	s_xor_b32 s10, exec_lo, s10
; %bb.3394:                             ;   in Loop: Header=BB2_2648 Depth=2
	s_delay_alu instid0(VALU_DEP_2) | instskip(SKIP_1) | instid1(VALU_DEP_1)
	v_cmp_lt_u64_e32 vcc_lo, 0xffffff, v[32:33]
	v_add_nc_u32_e32 v10, 7, v83
	v_cndmask_b32_e32 v82, v85, v10, vcc_lo
	v_cndmask_b32_e64 v10, 0, 1, vcc_lo
	s_delay_alu instid0(VALU_DEP_1)
	v_lshrrev_b64 v[10:11], v10, v[32:33]
; %bb.3395:                             ;   in Loop: Header=BB2_2648 Depth=2
	s_and_not1_saveexec_b32 s10, s10
; %bb.3396:                             ;   in Loop: Header=BB2_2648 Depth=2
	v_mov_b64_e32 v[10:11], v[32:33]
	v_bfe_u32 v82, v32, 23, 1
; %bb.3397:                             ;   in Loop: Header=BB2_2648 Depth=2
	s_or_b32 exec_lo, exec_lo, s10
	s_delay_alu instid0(VALU_DEP_2) | instskip(NEXT) | instid1(VALU_DEP_2)
	v_lshrrev_b64 v[10:11], 20, v[10:11]
	v_cmp_gt_i32_e32 vcc_lo, 16, v82
	v_min_i32_e32 v32, 15, v82
	v_cmp_eq_u32_e64 s10, 0, v82
	s_delay_alu instid0(VALU_DEP_2) | instskip(SKIP_1) | instid1(VALU_DEP_2)
	v_dual_cndmask_b32 v11, 0, v11 :: v_dual_lshlrev_b32 v32, 3, v32
	v_cndmask_b32_e32 v10, 7, v10, vcc_lo
	v_and_b32_e32 v32, 0xf8, v32
	s_delay_alu instid0(VALU_DEP_2) | instskip(NEXT) | instid1(VALU_DEP_2)
	v_cmp_eq_u64_e32 vcc_lo, 0, v[10:11]
	v_and_or_b32 v10, v10, 7, v32
	s_and_b32 s10, s10, vcc_lo
	s_delay_alu instid0(VALU_DEP_1) | instid1(SALU_CYCLE_1)
	v_cndmask_b32_e64 v10, v10, 0, s10
	s_delay_alu instid0(VALU_DEP_1)
	v_or_b32_e32 v45, v10, v84
.LBB2_3398:                             ;   in Loop: Header=BB2_2648 Depth=2
	s_or_b32 exec_lo, exec_lo, s42
                                        ; implicit-def: $vgpr84
.LBB2_3399:                             ;   in Loop: Header=BB2_2648 Depth=2
	s_and_not1_saveexec_b32 s10, s41
; %bb.3400:                             ;   in Loop: Header=BB2_2648 Depth=2
	v_or_b32_e32 v45, 0x7e, v84
; %bb.3401:                             ;   in Loop: Header=BB2_2648 Depth=2
	s_or_b32 exec_lo, exec_lo, s10
                                        ; implicit-def: $vgpr11
.LBB2_3402:                             ;   in Loop: Header=BB2_2648 Depth=2
	s_and_not1_saveexec_b32 s10, s11
; %bb.3403:                             ;   in Loop: Header=BB2_2648 Depth=2
	v_or_b32_e32 v45, 0x7f, v11
; %bb.3404:                             ;   in Loop: Header=BB2_2648 Depth=2
	s_or_b32 exec_lo, exec_lo, s10
	v_dual_lshlrev_b32 v10, 24, v43 :: v_dual_lshlrev_b32 v11, 16, v40
	v_lshl_or_b32 v117, v117, 8, v115
	v_mov_b32_e32 v82, 0
	s_mov_b32 s10, exec_lo
	s_delay_alu instid0(VALU_DEP_2)
	v_or3_b32 v32, v11, v10, v117
	v_cmpx_ne_u32_e32 0, v115
	s_cbranch_execz .LBB2_3410
; %bb.3405:                             ;   in Loop: Header=BB2_2648 Depth=2
	v_bfrev_b32_e32 v82, 1
	s_mov_b32 s11, exec_lo
	v_cmpx_ne_u32_e32 0x80, v115
	s_cbranch_execz .LBB2_3409
; %bb.3406:                             ;   in Loop: Header=BB2_2648 Depth=2
	v_and_b32_e32 v10, 0x7f, v115
	v_mov_b32_e32 v82, 0x7f800001
	s_mov_b32 s41, exec_lo
	s_delay_alu instid0(VALU_DEP_2)
	v_cmpx_ne_u32_e32 0x7f, v10
	s_cbranch_execz .LBB2_3408
; %bb.3407:                             ;   in Loop: Header=BB2_2648 Depth=2
	v_dual_lshrrev_b32 v82, 3, v10 :: v_dual_bitop2_b32 v11, 7, v115 bitop3:0x40
	v_cmp_gt_u32_e32 vcc_lo, 8, v10
	s_delay_alu instid0(VALU_DEP_2) | instskip(NEXT) | instid1(VALU_DEP_1)
	v_clz_i32_u32_e32 v11, v11
	v_min_u32_e32 v11, 32, v11
	s_delay_alu instid0(VALU_DEP_1) | instskip(SKIP_1) | instid1(VALU_DEP_2)
	v_subrev_nc_u32_e32 v83, 28, v11
	v_sub_nc_u32_e32 v11, 29, v11
	v_cndmask_b32_e32 v10, 0, v83, vcc_lo
	s_delay_alu instid0(VALU_DEP_2) | instskip(NEXT) | instid1(VALU_DEP_2)
	v_cndmask_b32_e32 v82, v82, v11, vcc_lo
	v_lshlrev_b64_e32 v[10:11], v10, v[32:33]
	v_lshlrev_b32_e32 v11, 24, v32
	s_delay_alu instid0(VALU_DEP_3) | instskip(NEXT) | instid1(VALU_DEP_2)
	v_lshl_add_u32 v82, v82, 23, 0x3c000000
	v_and_b32_e32 v11, 0x80000000, v11
	s_delay_alu instid0(VALU_DEP_4) | instskip(NEXT) | instid1(VALU_DEP_1)
	v_lshlrev_b32_e32 v10, 20, v10
	v_and_b32_e32 v10, 0x700000, v10
	s_delay_alu instid0(VALU_DEP_1)
	v_or3_b32 v82, v10, v11, v82
.LBB2_3408:                             ;   in Loop: Header=BB2_2648 Depth=2
	s_or_b32 exec_lo, exec_lo, s41
.LBB2_3409:                             ;   in Loop: Header=BB2_2648 Depth=2
	s_delay_alu instid0(SALU_CYCLE_1)
	s_or_b32 exec_lo, exec_lo, s11
.LBB2_3410:                             ;   in Loop: Header=BB2_2648 Depth=2
	s_delay_alu instid0(SALU_CYCLE_1) | instskip(SKIP_4) | instid1(VALU_DEP_2)
	s_or_b32 exec_lo, exec_lo, s10
	v_and_b32_e32 v11, 0xff, v13
	v_mov_b32_e32 v10, v13
	s_mov_b32 s10, 0
	s_mov_b32 s11, exec_lo
	v_cmpx_lt_i16_e32 0x7f, v11
	s_xor_b32 s11, exec_lo, s11
	s_cbranch_execnz .LBB2_3441
; %bb.3411:                             ;   in Loop: Header=BB2_2648 Depth=2
	s_or_saveexec_b32 s11, s11
	v_bfrev_b32_e32 v83, 1
	s_xor_b32 exec_lo, exec_lo, s11
	s_cbranch_execnz .LBB2_3444
.LBB2_3412:                             ;   in Loop: Header=BB2_2648 Depth=2
	s_or_b32 exec_lo, exec_lo, s11
	v_mov_b32_e32 v11, v33
	s_and_saveexec_b32 s11, s10
	s_cbranch_execz .LBB2_3414
.LBB2_3413:                             ;   in Loop: Header=BB2_2648 Depth=2
	v_and_b32_e32 v83, 7, v13
	v_and_b32_e32 v115, 0x7f, v13
	v_bfe_u32 v84, v13, 3, 4
	s_delay_alu instid0(VALU_DEP_3) | instskip(NEXT) | instid1(VALU_DEP_3)
	v_clz_i32_u32_e32 v83, v83
	v_cmp_gt_u32_e32 vcc_lo, 8, v115
	s_delay_alu instid0(VALU_DEP_2) | instskip(NEXT) | instid1(VALU_DEP_1)
	v_min_u32_e32 v83, 32, v83
	v_subrev_nc_u32_e32 v85, 28, v83
	v_sub_nc_u32_e32 v83, 29, v83
	s_delay_alu instid0(VALU_DEP_1) | instskip(SKIP_1) | instid1(VALU_DEP_2)
	v_dual_cndmask_b32 v83, v84, v83 :: v_dual_cndmask_b32 v84, 0, v85
	v_cmp_ne_u32_e32 vcc_lo, 0x7f, v115
	v_lshlrev_b64_e32 v[84:85], v84, v[10:11]
	v_lshlrev_b32_e32 v11, 24, v10
	s_delay_alu instid0(VALU_DEP_1) | instskip(NEXT) | instid1(VALU_DEP_3)
	v_and_b32_e32 v11, 0x80000000, v11
	v_lshlrev_b32_e32 v84, 20, v84
	v_lshl_add_u32 v83, v83, 23, 0x3c000000
	s_delay_alu instid0(VALU_DEP_2) | instskip(NEXT) | instid1(VALU_DEP_1)
	v_and_b32_e32 v84, 0x700000, v84
	v_or3_b32 v11, v84, v11, v83
	s_delay_alu instid0(VALU_DEP_1)
	v_cndmask_b32_e32 v83, 0x7f800001, v11, vcc_lo
.LBB2_3414:                             ;   in Loop: Header=BB2_2648 Depth=2
	s_or_b32 exec_lo, exec_lo, s11
	s_delay_alu instid0(VALU_DEP_1) | instskip(NEXT) | instid1(VALU_DEP_1)
	v_dual_add_f32 v82, v82, v83 :: v_dual_mov_b32 v85, v33
	v_and_b32_e32 v84, 0x7f800000, v82
	v_lshrrev_b32_e32 v11, 24, v82
	s_delay_alu instid0(VALU_DEP_2) | instskip(SKIP_1) | instid1(SALU_CYCLE_1)
	v_cmp_ne_u64_e32 vcc_lo, 0x7f800000, v[84:85]
                                        ; implicit-def: $vgpr84
	s_and_saveexec_b32 s10, vcc_lo
	s_xor_b32 s11, exec_lo, s10
	s_cbranch_execz .LBB2_3428
; %bb.3415:                             ;   in Loop: Header=BB2_2648 Depth=2
	v_and_b32_e32 v84, 0x7fffffff, v82
	v_mov_b32_e32 v85, v33
	v_and_b32_e32 v11, 0x80, v11
	s_delay_alu instid0(VALU_DEP_2) | instskip(SKIP_1) | instid1(SALU_CYCLE_1)
	v_cmp_gt_u64_e32 vcc_lo, 0x43e00001, v[84:85]
                                        ; implicit-def: $vgpr84
	s_and_saveexec_b32 s10, vcc_lo
	s_xor_b32 s41, exec_lo, s10
	s_cbranch_execz .LBB2_3425
; %bb.3416:                             ;   in Loop: Header=BB2_2648 Depth=2
	v_mov_b32_e32 v84, 0
	s_mov_b32 s42, exec_lo
	v_cmpx_ne_u32_e32 0, v82
	s_cbranch_execz .LBB2_3424
; %bb.3417:                             ;   in Loop: Header=BB2_2648 Depth=2
	v_bfe_u32 v115, v82, 23, 8
	v_and_b32_e32 v84, 0x7fffff, v82
	s_mov_b32 s43, exec_lo
	s_delay_alu instid0(VALU_DEP_2) | instskip(NEXT) | instid1(VALU_DEP_2)
	v_cmp_gt_u32_e32 vcc_lo, 0x7a, v115
	v_or_b32_e32 v85, 0x800000, v84
	v_sub_nc_u32_e32 v83, 0x79, v115
	s_delay_alu instid0(VALU_DEP_1) | instskip(SKIP_1) | instid1(VALU_DEP_2)
	v_cndmask_b32_e32 v83, 0, v83, vcc_lo
	v_cmp_eq_u32_e32 vcc_lo, 0, v115
	v_cndmask_b32_e64 v40, v83, 0x78, vcc_lo
	v_cndmask_b32_e32 v84, v85, v84, vcc_lo
	s_delay_alu instid0(VALU_DEP_2) | instskip(SKIP_1) | instid1(VALU_DEP_2)
	v_dual_mov_b32 v85, v33 :: v_dual_add_nc_u32 v43, 19, v40
	v_add_nc_u32_e32 v82, 20, v40
	v_lshlrev_b64_e64 v[56:57], v43, 1
	s_delay_alu instid0(VALU_DEP_2) | instskip(NEXT) | instid1(VALU_DEP_1)
	v_lshlrev_b64_e64 v[82:83], v82, -1
	v_bfi_b32 v59, v83, 0, 0
	s_delay_alu instid0(VALU_DEP_2) | instskip(SKIP_1) | instid1(VALU_DEP_1)
	v_bfi_b32 v58, v82, 0, v84
	v_lshrrev_b64 v[82:83], v40, v[84:85]
	v_mov_b64_e32 v[84:85], v[82:83]
	s_delay_alu instid0(VALU_DEP_3)
	v_cmpx_eq_u64_e64 v[58:59], v[56:57]
; %bb.3418:                             ;   in Loop: Header=BB2_2648 Depth=2
	v_bfe_u32 v84, v82, 20, 1
	v_mov_b32_e32 v85, v33
	s_delay_alu instid0(VALU_DEP_1) | instskip(NEXT) | instid1(VALU_DEP_1)
	v_add_nc_u64_e32 v[84:85], v[82:83], v[84:85]
	v_add_nc_u64_e32 v[84:85], -1, v[84:85]
; %bb.3419:                             ;   in Loop: Header=BB2_2648 Depth=2
	s_or_b32 exec_lo, exec_lo, s43
	v_add_nc_u32_e32 v83, 0xffffff81, v115
	v_lshrrev_b32_e32 v85, 23, v82
	s_mov_b32 s10, exec_lo
	s_delay_alu instid0(VALU_DEP_2) | instskip(NEXT) | instid1(VALU_DEP_1)
	v_cndmask_b32_e64 v83, v83, 0xffffff82, vcc_lo
	v_add3_u32 v85, v40, v83, v85
	v_and_b32_e32 v83, 0xfffff, v84
                                        ; implicit-def: $vgpr84
	s_delay_alu instid0(VALU_DEP_1) | instskip(SKIP_1) | instid1(VALU_DEP_2)
	v_dual_add_nc_u32 v115, 6, v85 :: v_dual_add_nc_u32 v82, v83, v82
	v_mov_b32_e32 v83, v33
	v_cmpx_ne_u32_e32 0, v115
	s_xor_b32 s10, exec_lo, s10
; %bb.3420:                             ;   in Loop: Header=BB2_2648 Depth=2
	s_delay_alu instid0(VALU_DEP_2) | instskip(SKIP_2) | instid1(VALU_DEP_2)
	v_cmp_lt_u64_e32 vcc_lo, 0xffffff, v[82:83]
	v_add_nc_u32_e32 v84, 7, v85
	v_cndmask_b32_e64 v85, 0, 1, vcc_lo
	v_cndmask_b32_e32 v84, v115, v84, vcc_lo
	s_delay_alu instid0(VALU_DEP_2)
	v_lshrrev_b64 v[82:83], v85, v[82:83]
; %bb.3421:                             ;   in Loop: Header=BB2_2648 Depth=2
	s_and_not1_saveexec_b32 s10, s10
; %bb.3422:                             ;   in Loop: Header=BB2_2648 Depth=2
	s_delay_alu instid0(VALU_DEP_1)
	v_bfe_u32 v84, v82, 23, 1
; %bb.3423:                             ;   in Loop: Header=BB2_2648 Depth=2
	s_or_b32 exec_lo, exec_lo, s10
	s_delay_alu instid0(VALU_DEP_2) | instskip(NEXT) | instid1(VALU_DEP_2)
	v_lshrrev_b64 v[82:83], 20, v[82:83]
	v_cmp_gt_i32_e32 vcc_lo, 16, v84
	v_min_i32_e32 v85, 15, v84
	v_cmp_eq_u32_e64 s10, 0, v84
	s_delay_alu instid0(VALU_DEP_2) | instskip(SKIP_1) | instid1(VALU_DEP_2)
	v_dual_cndmask_b32 v83, 0, v83, vcc_lo :: v_dual_lshlrev_b32 v85, 3, v85
	v_cndmask_b32_e32 v82, 7, v82, vcc_lo
	v_and_b32_e32 v85, 0xf8, v85
	s_delay_alu instid0(VALU_DEP_2) | instskip(NEXT) | instid1(VALU_DEP_2)
	v_cmp_eq_u64_e32 vcc_lo, 0, v[82:83]
	v_and_or_b32 v82, v82, 7, v85
	s_and_b32 s10, s10, vcc_lo
	s_delay_alu instid0(VALU_DEP_1) | instid1(SALU_CYCLE_1)
	v_cndmask_b32_e64 v82, v82, 0, s10
	s_delay_alu instid0(VALU_DEP_1)
	v_or_b32_e32 v84, v82, v11
.LBB2_3424:                             ;   in Loop: Header=BB2_2648 Depth=2
	s_or_b32 exec_lo, exec_lo, s42
                                        ; implicit-def: $vgpr11
.LBB2_3425:                             ;   in Loop: Header=BB2_2648 Depth=2
	s_and_not1_saveexec_b32 s10, s41
; %bb.3426:                             ;   in Loop: Header=BB2_2648 Depth=2
	v_or_b32_e32 v84, 0x7e, v11
; %bb.3427:                             ;   in Loop: Header=BB2_2648 Depth=2
	s_or_b32 exec_lo, exec_lo, s10
                                        ; implicit-def: $vgpr11
.LBB2_3428:                             ;   in Loop: Header=BB2_2648 Depth=2
	s_and_not1_saveexec_b32 s10, s11
; %bb.3429:                             ;   in Loop: Header=BB2_2648 Depth=2
	v_or_b32_e32 v84, 0x7f, v11
; %bb.3430:                             ;   in Loop: Header=BB2_2648 Depth=2
	s_or_b32 exec_lo, exec_lo, s10
	v_lshrrev_b16 v82, 8, v117
	v_mov_b32_e32 v11, 0
	s_mov_b32 s10, exec_lo
	s_delay_alu instid0(VALU_DEP_2)
	v_cmpx_ne_u16_e32 0, v82
	s_cbranch_execz .LBB2_3438
; %bb.3431:                             ;   in Loop: Header=BB2_2648 Depth=2
	v_bfrev_b32_e32 v11, 1
	s_mov_b32 s11, exec_lo
	v_cmpx_ne_u16_e32 0x80, v82
	s_cbranch_execz .LBB2_3437
; %bb.3432:                             ;   in Loop: Header=BB2_2648 Depth=2
	v_and_b32_e32 v82, 0xffff, v82
	v_mov_b32_e32 v11, 0x7f800001
	s_mov_b32 s41, exec_lo
	s_delay_alu instid0(VALU_DEP_2) | instskip(NEXT) | instid1(VALU_DEP_1)
	v_and_b32_e32 v85, 0x7f, v82
	v_cmpx_ne_u32_e32 0x7f, v85
	s_cbranch_execz .LBB2_3436
; %bb.3433:                             ;   in Loop: Header=BB2_2648 Depth=2
	v_dual_mov_b32 v83, v33 :: v_dual_bitop2_b32 v82, 7, v82 bitop3:0x40
	v_lshrrev_b32_e32 v11, 3, v85
	s_mov_b32 s42, exec_lo
	v_cmpx_gt_u32_e32 8, v85
; %bb.3434:                             ;   in Loop: Header=BB2_2648 Depth=2
	s_delay_alu instid0(VALU_DEP_3) | instskip(NEXT) | instid1(VALU_DEP_1)
	v_clz_i32_u32_e32 v11, v82
	v_min_u32_e32 v11, 32, v11
	s_delay_alu instid0(VALU_DEP_1) | instskip(NEXT) | instid1(VALU_DEP_1)
	v_subrev_nc_u32_e32 v85, 28, v11
	v_lshlrev_b64_e32 v[82:83], v85, v[82:83]
	s_delay_alu instid0(VALU_DEP_1)
	v_dual_sub_nc_u32 v11, 29, v11 :: v_dual_bitop2_b32 v82, 7, v82 bitop3:0x40
; %bb.3435:                             ;   in Loop: Header=BB2_2648 Depth=2
	s_or_b32 exec_lo, exec_lo, s42
	s_delay_alu instid0(VALU_DEP_1) | instskip(NEXT) | instid1(VALU_DEP_2)
	v_dual_lshlrev_b32 v83, 16, v117 :: v_dual_lshlrev_b32 v82, 20, v82
	v_lshl_add_u32 v11, v11, 23, 0x3c000000
	s_delay_alu instid0(VALU_DEP_2) | instskip(NEXT) | instid1(VALU_DEP_1)
	v_and_b32_e32 v83, 0x80000000, v83
	v_or3_b32 v11, v82, v83, v11
.LBB2_3436:                             ;   in Loop: Header=BB2_2648 Depth=2
	s_or_b32 exec_lo, exec_lo, s41
.LBB2_3437:                             ;   in Loop: Header=BB2_2648 Depth=2
	s_delay_alu instid0(SALU_CYCLE_1)
	s_or_b32 exec_lo, exec_lo, s11
.LBB2_3438:                             ;   in Loop: Header=BB2_2648 Depth=2
	s_delay_alu instid0(SALU_CYCLE_1) | instskip(SKIP_3) | instid1(VALU_DEP_1)
	s_or_b32 exec_lo, exec_lo, s10
	v_lshrrev_b16 v82, 8, v10
	s_mov_b32 s11, 0
	s_mov_b32 s10, exec_lo
	v_cmpx_lt_i16_e32 0x7f, v82
	s_xor_b32 s10, exec_lo, s10
	s_cbranch_execnz .LBB2_3445
; %bb.3439:                             ;   in Loop: Header=BB2_2648 Depth=2
	s_or_saveexec_b32 s10, s10
	v_bfrev_b32_e32 v83, 1
	s_xor_b32 exec_lo, exec_lo, s10
	s_cbranch_execnz .LBB2_3448
.LBB2_3440:                             ;   in Loop: Header=BB2_2648 Depth=2
	s_or_b32 exec_lo, exec_lo, s10
	s_and_saveexec_b32 s10, s11
	s_cbranch_execnz .LBB2_3449
	s_branch .LBB2_3452
.LBB2_3441:                             ;   in Loop: Header=BB2_2648 Depth=2
	s_mov_b32 s10, -1
	s_mov_b32 s41, exec_lo
	v_cmpx_eq_u16_e32 0x80, v11
; %bb.3442:                             ;   in Loop: Header=BB2_2648 Depth=2
	s_xor_b32 s10, exec_lo, -1
; %bb.3443:                             ;   in Loop: Header=BB2_2648 Depth=2
	s_or_b32 exec_lo, exec_lo, s41
	s_delay_alu instid0(SALU_CYCLE_1)
	s_and_b32 s10, s10, exec_lo
                                        ; implicit-def: $vgpr11
	s_or_saveexec_b32 s11, s11
	v_bfrev_b32_e32 v83, 1
	s_xor_b32 exec_lo, exec_lo, s11
	s_cbranch_execz .LBB2_3412
.LBB2_3444:                             ;   in Loop: Header=BB2_2648 Depth=2
	v_cmp_ne_u16_e32 vcc_lo, 0, v11
	v_mov_b32_e32 v83, 0
	s_and_not1_b32 s10, s10, exec_lo
	s_and_b32 s41, vcc_lo, exec_lo
	s_delay_alu instid0(SALU_CYCLE_1)
	s_or_b32 s10, s10, s41
	s_or_b32 exec_lo, exec_lo, s11
	v_mov_b32_e32 v11, v33
	s_and_saveexec_b32 s11, s10
	s_cbranch_execnz .LBB2_3413
	s_branch .LBB2_3414
.LBB2_3445:                             ;   in Loop: Header=BB2_2648 Depth=2
	s_mov_b32 s11, -1
	s_mov_b32 s41, exec_lo
	v_cmpx_eq_u16_e32 0x80, v82
; %bb.3446:                             ;   in Loop: Header=BB2_2648 Depth=2
	s_xor_b32 s11, exec_lo, -1
; %bb.3447:                             ;   in Loop: Header=BB2_2648 Depth=2
	s_or_b32 exec_lo, exec_lo, s41
	s_delay_alu instid0(SALU_CYCLE_1)
	s_and_b32 s11, s11, exec_lo
	s_or_saveexec_b32 s10, s10
	v_bfrev_b32_e32 v83, 1
	s_xor_b32 exec_lo, exec_lo, s10
	s_cbranch_execz .LBB2_3440
.LBB2_3448:                             ;   in Loop: Header=BB2_2648 Depth=2
	v_cmp_ne_u16_e32 vcc_lo, 0, v82
	v_mov_b32_e32 v83, 0
	s_and_not1_b32 s11, s11, exec_lo
	s_and_b32 s41, vcc_lo, exec_lo
	s_delay_alu instid0(SALU_CYCLE_1)
	s_or_b32 s11, s11, s41
	s_or_b32 exec_lo, exec_lo, s10
	s_and_saveexec_b32 s10, s11
	s_cbranch_execz .LBB2_3452
.LBB2_3449:                             ;   in Loop: Header=BB2_2648 Depth=2
	v_and_b32_e32 v10, 0xffff, v82
	v_mov_b32_e32 v83, 0x7f800001
	s_mov_b32 s11, exec_lo
	s_delay_alu instid0(VALU_DEP_2) | instskip(NEXT) | instid1(VALU_DEP_1)
	v_and_b32_e32 v85, 0x7f, v10
	v_cmpx_ne_u32_e32 0x7f, v85
	s_cbranch_execz .LBB2_3451
; %bb.3450:                             ;   in Loop: Header=BB2_2648 Depth=2
	v_and_b32_e32 v83, 7, v10
	v_cmp_gt_u32_e32 vcc_lo, 8, v85
	s_delay_alu instid0(VALU_DEP_2) | instskip(NEXT) | instid1(VALU_DEP_1)
	v_clz_i32_u32_e32 v115, v83
	v_min_u32_e32 v115, 32, v115
	s_delay_alu instid0(VALU_DEP_1) | instskip(NEXT) | instid1(VALU_DEP_1)
	v_subrev_nc_u32_e32 v117, 28, v115
	v_lshlrev_b64_e32 v[56:57], v117, v[10:11]
	v_dual_lshrrev_b32 v10, 3, v85 :: v_dual_sub_nc_u32 v115, 29, v115
	s_delay_alu instid0(VALU_DEP_2) | instskip(NEXT) | instid1(VALU_DEP_1)
	v_dual_lshlrev_b32 v82, 24, v82 :: v_dual_bitop2_b32 v85, 7, v56 bitop3:0x40
	v_dual_cndmask_b32 v10, v10, v115 :: v_dual_cndmask_b32 v83, v83, v85
	s_delay_alu instid0(VALU_DEP_2) | instskip(NEXT) | instid1(VALU_DEP_2)
	v_and_b32_e32 v82, 0x80000000, v82
	v_lshl_add_u32 v10, v10, 23, 0x3c000000
	s_delay_alu instid0(VALU_DEP_3) | instskip(NEXT) | instid1(VALU_DEP_1)
	v_lshlrev_b32_e32 v83, 20, v83
	v_or3_b32 v83, v83, v82, v10
.LBB2_3451:                             ;   in Loop: Header=BB2_2648 Depth=2
	s_or_b32 exec_lo, exec_lo, s11
.LBB2_3452:                             ;   in Loop: Header=BB2_2648 Depth=2
	s_delay_alu instid0(SALU_CYCLE_1) | instskip(NEXT) | instid1(VALU_DEP_1)
	s_or_b32 exec_lo, exec_lo, s10
	v_dual_add_f32 v10, v11, v83 :: v_dual_mov_b32 v83, v33
                                        ; implicit-def: $vgpr85
	s_mov_b32 s10, exec_lo
	s_delay_alu instid0(VALU_DEP_1) | instskip(SKIP_1) | instid1(VALU_DEP_2)
	v_and_b32_e32 v82, 0x7f800000, v10
	v_lshrrev_b32_e32 v11, 24, v10
	v_cmpx_ne_u64_e32 0x7f800000, v[82:83]
	s_xor_b32 s11, exec_lo, s10
	s_cbranch_execz .LBB2_3466
; %bb.3453:                             ;   in Loop: Header=BB2_2648 Depth=2
	v_and_b32_e32 v82, 0x7fffffff, v10
	v_mov_b32_e32 v83, v33
	v_and_b32_e32 v115, 0x80, v11
                                        ; implicit-def: $vgpr85
	s_mov_b32 s10, exec_lo
	s_delay_alu instid0(VALU_DEP_2)
	v_cmpx_gt_u64_e32 0x43e00001, v[82:83]
	s_xor_b32 s41, exec_lo, s10
	s_cbranch_execz .LBB2_3463
; %bb.3454:                             ;   in Loop: Header=BB2_2648 Depth=2
	v_mov_b32_e32 v85, 0
	s_mov_b32 s42, exec_lo
	v_cmpx_ne_u32_e32 0, v10
	s_cbranch_execz .LBB2_3462
; %bb.3455:                             ;   in Loop: Header=BB2_2648 Depth=2
	v_bfe_u32 v85, v10, 23, 8
	v_and_b32_e32 v82, 0x7fffff, v10
	s_mov_b32 s43, exec_lo
	s_delay_alu instid0(VALU_DEP_2) | instskip(NEXT) | instid1(VALU_DEP_2)
	v_cmp_gt_u32_e32 vcc_lo, 0x7a, v85
	v_or_b32_e32 v83, 0x800000, v82
	v_sub_nc_u32_e32 v11, 0x79, v85
	s_delay_alu instid0(VALU_DEP_1) | instskip(SKIP_1) | instid1(VALU_DEP_2)
	v_cndmask_b32_e32 v11, 0, v11, vcc_lo
	v_cmp_eq_u32_e32 vcc_lo, 0, v85
	v_cndmask_b32_e64 v117, v11, 0x78, vcc_lo
	v_dual_cndmask_b32 v82, v83, v82 :: v_dual_mov_b32 v83, v33
	s_delay_alu instid0(VALU_DEP_2) | instskip(NEXT) | instid1(VALU_DEP_1)
	v_dual_add_nc_u32 v40, 19, v117 :: v_dual_add_nc_u32 v10, 20, v117
	v_lshlrev_b64_e64 v[56:57], v40, 1
	s_delay_alu instid0(VALU_DEP_2) | instskip(NEXT) | instid1(VALU_DEP_1)
	v_lshlrev_b64_e64 v[10:11], v10, -1
	v_bfi_b32 v59, v11, 0, 0
	s_delay_alu instid0(VALU_DEP_2) | instskip(SKIP_1) | instid1(VALU_DEP_1)
	v_bfi_b32 v58, v10, 0, v82
	v_lshrrev_b64 v[10:11], v117, v[82:83]
	v_mov_b64_e32 v[82:83], v[10:11]
	s_delay_alu instid0(VALU_DEP_3)
	v_cmpx_eq_u64_e64 v[58:59], v[56:57]
; %bb.3456:                             ;   in Loop: Header=BB2_2648 Depth=2
	v_bfe_u32 v82, v10, 20, 1
	v_mov_b32_e32 v83, v33
	s_delay_alu instid0(VALU_DEP_1) | instskip(NEXT) | instid1(VALU_DEP_1)
	v_add_nc_u64_e32 v[82:83], v[10:11], v[82:83]
	v_add_nc_u64_e32 v[82:83], -1, v[82:83]
; %bb.3457:                             ;   in Loop: Header=BB2_2648 Depth=2
	s_or_b32 exec_lo, exec_lo, s43
	v_add_nc_u32_e32 v11, 0xffffff81, v85
	v_lshrrev_b32_e32 v83, 23, v10
	s_mov_b32 s10, exec_lo
	s_delay_alu instid0(VALU_DEP_2) | instskip(NEXT) | instid1(VALU_DEP_1)
	v_cndmask_b32_e64 v11, v11, 0xffffff82, vcc_lo
	v_add3_u32 v83, v117, v11, v83
	v_and_b32_e32 v11, 0xfffff, v82
                                        ; implicit-def: $vgpr82
	s_delay_alu instid0(VALU_DEP_1) | instskip(SKIP_1) | instid1(VALU_DEP_2)
	v_dual_add_nc_u32 v85, 6, v83 :: v_dual_add_nc_u32 v10, v11, v10
	v_mov_b32_e32 v11, v33
	v_cmpx_ne_u32_e32 0, v85
	s_xor_b32 s10, exec_lo, s10
; %bb.3458:                             ;   in Loop: Header=BB2_2648 Depth=2
	s_delay_alu instid0(VALU_DEP_2) | instskip(SKIP_2) | instid1(VALU_DEP_2)
	v_cmp_lt_u64_e32 vcc_lo, 0xffffff, v[10:11]
	v_add_nc_u32_e32 v82, 7, v83
	v_cndmask_b32_e64 v83, 0, 1, vcc_lo
	v_cndmask_b32_e32 v82, v85, v82, vcc_lo
	s_delay_alu instid0(VALU_DEP_2)
	v_lshrrev_b64 v[10:11], v83, v[10:11]
; %bb.3459:                             ;   in Loop: Header=BB2_2648 Depth=2
	s_and_not1_saveexec_b32 s10, s10
; %bb.3460:                             ;   in Loop: Header=BB2_2648 Depth=2
	s_delay_alu instid0(VALU_DEP_1)
	v_bfe_u32 v82, v10, 23, 1
; %bb.3461:                             ;   in Loop: Header=BB2_2648 Depth=2
	s_or_b32 exec_lo, exec_lo, s10
	s_delay_alu instid0(VALU_DEP_2) | instskip(NEXT) | instid1(VALU_DEP_2)
	v_lshrrev_b64 v[10:11], 20, v[10:11]
	v_cmp_gt_i32_e32 vcc_lo, 16, v82
	v_min_i32_e32 v83, 15, v82
	v_cmp_eq_u32_e64 s10, 0, v82
	s_delay_alu instid0(VALU_DEP_4) | instskip(NEXT) | instid1(VALU_DEP_3)
	v_cndmask_b32_e32 v11, 0, v11, vcc_lo
	v_dual_cndmask_b32 v10, 7, v10 :: v_dual_lshlrev_b32 v83, 3, v83
	s_delay_alu instid0(VALU_DEP_1) | instskip(NEXT) | instid1(VALU_DEP_2)
	v_and_b32_e32 v83, 0xf8, v83
	v_cmp_eq_u64_e32 vcc_lo, 0, v[10:11]
	s_delay_alu instid0(VALU_DEP_2)
	v_and_or_b32 v10, v10, 7, v83
	s_and_b32 s10, s10, vcc_lo
	s_delay_alu instid0(VALU_DEP_1) | instid1(SALU_CYCLE_1)
	v_cndmask_b32_e64 v10, v10, 0, s10
	s_delay_alu instid0(VALU_DEP_1)
	v_or_b32_e32 v85, v10, v115
.LBB2_3462:                             ;   in Loop: Header=BB2_2648 Depth=2
	s_or_b32 exec_lo, exec_lo, s42
                                        ; implicit-def: $vgpr115
.LBB2_3463:                             ;   in Loop: Header=BB2_2648 Depth=2
	s_and_not1_saveexec_b32 s10, s41
; %bb.3464:                             ;   in Loop: Header=BB2_2648 Depth=2
	v_or_b32_e32 v85, 0x7e, v115
; %bb.3465:                             ;   in Loop: Header=BB2_2648 Depth=2
	s_or_b32 exec_lo, exec_lo, s10
                                        ; implicit-def: $vgpr11
.LBB2_3466:                             ;   in Loop: Header=BB2_2648 Depth=2
	s_and_not1_saveexec_b32 s10, s11
; %bb.3467:                             ;   in Loop: Header=BB2_2648 Depth=2
	v_or_b32_e32 v85, 0x7f, v11
; %bb.3468:                             ;   in Loop: Header=BB2_2648 Depth=2
	s_or_b32 exec_lo, exec_lo, s10
	v_dual_mov_b32 v11, 0 :: v_dual_lshrrev_b32 v82, 16, v32
	s_mov_b32 s10, exec_lo
	s_delay_alu instid0(VALU_DEP_1) | instskip(NEXT) | instid1(VALU_DEP_1)
	v_and_b32_e32 v10, 0xff, v82
	v_cmpx_ne_u16_e32 0, v10
	s_cbranch_execz .LBB2_3476
; %bb.3469:                             ;   in Loop: Header=BB2_2648 Depth=2
	v_bfrev_b32_e32 v11, 1
	s_mov_b32 s11, exec_lo
	v_cmpx_ne_u16_e32 0x80, v10
	s_cbranch_execz .LBB2_3475
; %bb.3470:                             ;   in Loop: Header=BB2_2648 Depth=2
	v_bfe_u32 v115, v32, 16, 7
	v_mov_b32_e32 v11, 0x7f800001
	s_mov_b32 s41, exec_lo
	s_delay_alu instid0(VALU_DEP_2)
	v_cmpx_ne_u32_e32 0x7f, v115
	s_cbranch_execz .LBB2_3474
; %bb.3471:                             ;   in Loop: Header=BB2_2648 Depth=2
	v_dual_mov_b32 v11, v33 :: v_dual_bitop2_b32 v10, 7, v82 bitop3:0x40
	v_lshrrev_b32_e32 v83, 3, v115
	s_mov_b32 s42, exec_lo
	v_cmpx_gt_u32_e32 8, v115
; %bb.3472:                             ;   in Loop: Header=BB2_2648 Depth=2
	s_delay_alu instid0(VALU_DEP_3) | instskip(NEXT) | instid1(VALU_DEP_1)
	v_clz_i32_u32_e32 v83, v10
	v_min_u32_e32 v83, 32, v83
	s_delay_alu instid0(VALU_DEP_1) | instskip(NEXT) | instid1(VALU_DEP_1)
	v_subrev_nc_u32_e32 v115, 28, v83
	v_lshlrev_b64_e32 v[10:11], v115, v[10:11]
	s_delay_alu instid0(VALU_DEP_1)
	v_dual_sub_nc_u32 v83, 29, v83 :: v_dual_bitop2_b32 v10, 7, v10 bitop3:0x40
; %bb.3473:                             ;   in Loop: Header=BB2_2648 Depth=2
	s_or_b32 exec_lo, exec_lo, s42
	v_lshlrev_b32_e32 v11, 24, v82
	s_delay_alu instid0(VALU_DEP_2) | instskip(NEXT) | instid1(VALU_DEP_3)
	v_lshlrev_b32_e32 v10, 20, v10
	v_lshl_add_u32 v82, v83, 23, 0x3c000000
	s_delay_alu instid0(VALU_DEP_3) | instskip(NEXT) | instid1(VALU_DEP_1)
	v_and_b32_e32 v11, 0x80000000, v11
	v_or3_b32 v11, v10, v11, v82
.LBB2_3474:                             ;   in Loop: Header=BB2_2648 Depth=2
	s_or_b32 exec_lo, exec_lo, s41
.LBB2_3475:                             ;   in Loop: Header=BB2_2648 Depth=2
	s_delay_alu instid0(SALU_CYCLE_1)
	s_or_b32 exec_lo, exec_lo, s11
.LBB2_3476:                             ;   in Loop: Header=BB2_2648 Depth=2
	s_delay_alu instid0(SALU_CYCLE_1) | instskip(SKIP_3) | instid1(VALU_DEP_1)
	s_or_b32 exec_lo, exec_lo, s10
	v_lshrrev_b32_e32 v10, 16, v13
	s_mov_b32 s11, 0
	s_mov_b32 s10, exec_lo
	v_and_b32_e32 v83, 0xff, v10
	s_delay_alu instid0(VALU_DEP_1)
	v_cmpx_lt_i16_e32 0x7f, v83
	s_xor_b32 s10, exec_lo, s10
	s_cbranch_execnz .LBB2_3479
; %bb.3477:                             ;   in Loop: Header=BB2_2648 Depth=2
	s_or_saveexec_b32 s10, s10
	v_bfrev_b32_e32 v82, 1
	s_xor_b32 exec_lo, exec_lo, s10
	s_cbranch_execnz .LBB2_3482
.LBB2_3478:                             ;   in Loop: Header=BB2_2648 Depth=2
	s_or_b32 exec_lo, exec_lo, s10
	s_and_saveexec_b32 s10, s11
	s_cbranch_execnz .LBB2_3483
	s_branch .LBB2_3486
.LBB2_3479:                             ;   in Loop: Header=BB2_2648 Depth=2
	s_mov_b32 s11, -1
	s_mov_b32 s41, exec_lo
	v_cmpx_eq_u16_e32 0x80, v83
; %bb.3480:                             ;   in Loop: Header=BB2_2648 Depth=2
	s_xor_b32 s11, exec_lo, -1
; %bb.3481:                             ;   in Loop: Header=BB2_2648 Depth=2
	s_or_b32 exec_lo, exec_lo, s41
	s_delay_alu instid0(SALU_CYCLE_1)
	s_and_b32 s11, s11, exec_lo
                                        ; implicit-def: $vgpr83
	s_or_saveexec_b32 s10, s10
	v_bfrev_b32_e32 v82, 1
	s_xor_b32 exec_lo, exec_lo, s10
	s_cbranch_execz .LBB2_3478
.LBB2_3482:                             ;   in Loop: Header=BB2_2648 Depth=2
	v_cmp_ne_u16_e32 vcc_lo, 0, v83
	v_mov_b32_e32 v82, 0
	s_and_not1_b32 s11, s11, exec_lo
	s_and_b32 s41, vcc_lo, exec_lo
	s_delay_alu instid0(SALU_CYCLE_1)
	s_or_b32 s11, s11, s41
	s_or_b32 exec_lo, exec_lo, s10
	s_and_saveexec_b32 s10, s11
	s_cbranch_execz .LBB2_3486
.LBB2_3483:                             ;   in Loop: Header=BB2_2648 Depth=2
	v_and_b32_e32 v83, 0x7f, v10
	v_mov_b32_e32 v82, 0x7f800001
	s_mov_b32 s11, exec_lo
	s_delay_alu instid0(VALU_DEP_2)
	v_cmpx_ne_u32_e32 0x7f, v83
	s_cbranch_execz .LBB2_3485
; %bb.3484:                             ;   in Loop: Header=BB2_2648 Depth=2
	v_and_b32_e32 v82, 7, v10
	v_cmp_gt_u32_e32 vcc_lo, 8, v83
	s_delay_alu instid0(VALU_DEP_2) | instskip(NEXT) | instid1(VALU_DEP_1)
	v_clz_i32_u32_e32 v115, v82
	v_min_u32_e32 v115, 32, v115
	s_delay_alu instid0(VALU_DEP_1) | instskip(NEXT) | instid1(VALU_DEP_1)
	v_subrev_nc_u32_e32 v117, 28, v115
	v_lshlrev_b64_e32 v[56:57], v117, v[10:11]
	v_lshrrev_b32_e32 v117, 3, v83
	s_delay_alu instid0(VALU_DEP_2) | instskip(NEXT) | instid1(VALU_DEP_1)
	v_dual_sub_nc_u32 v115, 29, v115 :: v_dual_bitop2_b32 v83, 7, v56 bitop3:0x40
	v_dual_cndmask_b32 v115, v117, v115 :: v_dual_lshlrev_b32 v10, 24, v10
	s_delay_alu instid0(VALU_DEP_2) | instskip(NEXT) | instid1(VALU_DEP_2)
	v_cndmask_b32_e32 v82, v82, v83, vcc_lo
	v_and_b32_e32 v10, 0x80000000, v10
	s_delay_alu instid0(VALU_DEP_3) | instskip(NEXT) | instid1(VALU_DEP_3)
	v_lshl_add_u32 v83, v115, 23, 0x3c000000
	v_lshlrev_b32_e32 v82, 20, v82
	s_delay_alu instid0(VALU_DEP_1)
	v_or3_b32 v82, v82, v10, v83
.LBB2_3485:                             ;   in Loop: Header=BB2_2648 Depth=2
	s_or_b32 exec_lo, exec_lo, s11
.LBB2_3486:                             ;   in Loop: Header=BB2_2648 Depth=2
	s_delay_alu instid0(SALU_CYCLE_1) | instskip(NEXT) | instid1(VALU_DEP_1)
	s_or_b32 exec_lo, exec_lo, s10
	v_dual_add_f32 v10, v11, v82 :: v_dual_mov_b32 v83, v33
	s_delay_alu instid0(VALU_DEP_1) | instskip(SKIP_1) | instid1(VALU_DEP_2)
	v_and_b32_e32 v82, 0x7f800000, v10
	v_lshrrev_b32_e32 v11, 24, v10
	v_cmp_ne_u64_e32 vcc_lo, 0x7f800000, v[82:83]
                                        ; implicit-def: $vgpr82
	s_and_saveexec_b32 s10, vcc_lo
	s_delay_alu instid0(SALU_CYCLE_1)
	s_xor_b32 s11, exec_lo, s10
	s_cbranch_execz .LBB2_3500
; %bb.3487:                             ;   in Loop: Header=BB2_2648 Depth=2
	v_and_b32_e32 v82, 0x7fffffff, v10
	v_mov_b32_e32 v83, v33
	v_and_b32_e32 v115, 0x80, v11
	s_delay_alu instid0(VALU_DEP_2) | instskip(SKIP_1) | instid1(SALU_CYCLE_1)
	v_cmp_gt_u64_e32 vcc_lo, 0x43e00001, v[82:83]
                                        ; implicit-def: $vgpr82
	s_and_saveexec_b32 s10, vcc_lo
	s_xor_b32 s41, exec_lo, s10
	s_cbranch_execz .LBB2_3497
; %bb.3488:                             ;   in Loop: Header=BB2_2648 Depth=2
	v_mov_b32_e32 v82, 0
	s_mov_b32 s42, exec_lo
	v_cmpx_ne_u32_e32 0, v10
	s_cbranch_execz .LBB2_3496
; %bb.3489:                             ;   in Loop: Header=BB2_2648 Depth=2
	v_bfe_u32 v117, v10, 23, 8
	v_and_b32_e32 v82, 0x7fffff, v10
	s_mov_b32 s43, exec_lo
	s_delay_alu instid0(VALU_DEP_2) | instskip(NEXT) | instid1(VALU_DEP_2)
	v_cmp_gt_u32_e32 vcc_lo, 0x7a, v117
	v_or_b32_e32 v83, 0x800000, v82
	v_sub_nc_u32_e32 v11, 0x79, v117
	s_delay_alu instid0(VALU_DEP_1) | instskip(SKIP_1) | instid1(VALU_DEP_2)
	v_cndmask_b32_e32 v11, 0, v11, vcc_lo
	v_cmp_eq_u32_e32 vcc_lo, 0, v117
	v_cndmask_b32_e64 v40, v11, 0x78, vcc_lo
	v_dual_cndmask_b32 v82, v83, v82 :: v_dual_mov_b32 v83, v33
	s_delay_alu instid0(VALU_DEP_2) | instskip(NEXT) | instid1(VALU_DEP_1)
	v_dual_add_nc_u32 v43, 19, v40 :: v_dual_add_nc_u32 v10, 20, v40
	v_lshlrev_b64_e64 v[56:57], v43, 1
	s_delay_alu instid0(VALU_DEP_2) | instskip(NEXT) | instid1(VALU_DEP_1)
	v_lshlrev_b64_e64 v[10:11], v10, -1
	v_bfi_b32 v59, v11, 0, 0
	s_delay_alu instid0(VALU_DEP_2) | instskip(SKIP_1) | instid1(VALU_DEP_1)
	v_bfi_b32 v58, v10, 0, v82
	v_lshrrev_b64 v[10:11], v40, v[82:83]
	v_mov_b64_e32 v[82:83], v[10:11]
	s_delay_alu instid0(VALU_DEP_3)
	v_cmpx_eq_u64_e64 v[58:59], v[56:57]
; %bb.3490:                             ;   in Loop: Header=BB2_2648 Depth=2
	v_bfe_u32 v82, v10, 20, 1
	v_mov_b32_e32 v83, v33
	s_delay_alu instid0(VALU_DEP_1) | instskip(NEXT) | instid1(VALU_DEP_1)
	v_add_nc_u64_e32 v[82:83], v[10:11], v[82:83]
	v_add_nc_u64_e32 v[82:83], -1, v[82:83]
; %bb.3491:                             ;   in Loop: Header=BB2_2648 Depth=2
	s_or_b32 exec_lo, exec_lo, s43
	v_add_nc_u32_e32 v11, 0xffffff81, v117
	v_lshrrev_b32_e32 v83, 23, v10
	s_mov_b32 s10, exec_lo
	s_delay_alu instid0(VALU_DEP_2) | instskip(NEXT) | instid1(VALU_DEP_1)
	v_cndmask_b32_e64 v11, v11, 0xffffff82, vcc_lo
	v_add3_u32 v83, v40, v11, v83
	v_and_b32_e32 v11, 0xfffff, v82
                                        ; implicit-def: $vgpr82
	s_delay_alu instid0(VALU_DEP_1) | instskip(SKIP_1) | instid1(VALU_DEP_2)
	v_dual_add_nc_u32 v117, 6, v83 :: v_dual_add_nc_u32 v10, v11, v10
	v_mov_b32_e32 v11, v33
	v_cmpx_ne_u32_e32 0, v117
	s_xor_b32 s10, exec_lo, s10
; %bb.3492:                             ;   in Loop: Header=BB2_2648 Depth=2
	s_delay_alu instid0(VALU_DEP_2) | instskip(SKIP_2) | instid1(VALU_DEP_2)
	v_cmp_lt_u64_e32 vcc_lo, 0xffffff, v[10:11]
	v_add_nc_u32_e32 v82, 7, v83
	v_cndmask_b32_e64 v83, 0, 1, vcc_lo
	v_cndmask_b32_e32 v82, v117, v82, vcc_lo
	s_delay_alu instid0(VALU_DEP_2)
	v_lshrrev_b64 v[10:11], v83, v[10:11]
; %bb.3493:                             ;   in Loop: Header=BB2_2648 Depth=2
	s_and_not1_saveexec_b32 s10, s10
; %bb.3494:                             ;   in Loop: Header=BB2_2648 Depth=2
	s_delay_alu instid0(VALU_DEP_1)
	v_bfe_u32 v82, v10, 23, 1
; %bb.3495:                             ;   in Loop: Header=BB2_2648 Depth=2
	s_or_b32 exec_lo, exec_lo, s10
	s_delay_alu instid0(VALU_DEP_2) | instskip(NEXT) | instid1(VALU_DEP_2)
	v_lshrrev_b64 v[10:11], 20, v[10:11]
	v_cmp_gt_i32_e32 vcc_lo, 16, v82
	v_min_i32_e32 v83, 15, v82
	v_cmp_eq_u32_e64 s10, 0, v82
	s_delay_alu instid0(VALU_DEP_4) | instskip(NEXT) | instid1(VALU_DEP_3)
	v_cndmask_b32_e32 v11, 0, v11, vcc_lo
	v_dual_cndmask_b32 v10, 7, v10 :: v_dual_lshlrev_b32 v83, 3, v83
	s_delay_alu instid0(VALU_DEP_1) | instskip(NEXT) | instid1(VALU_DEP_2)
	v_and_b32_e32 v83, 0xf8, v83
	v_cmp_eq_u64_e32 vcc_lo, 0, v[10:11]
	s_delay_alu instid0(VALU_DEP_2)
	v_and_or_b32 v10, v10, 7, v83
	s_and_b32 s10, s10, vcc_lo
	s_delay_alu instid0(VALU_DEP_1) | instid1(SALU_CYCLE_1)
	v_cndmask_b32_e64 v10, v10, 0, s10
	s_delay_alu instid0(VALU_DEP_1)
	v_or_b32_e32 v82, v10, v115
.LBB2_3496:                             ;   in Loop: Header=BB2_2648 Depth=2
	s_or_b32 exec_lo, exec_lo, s42
                                        ; implicit-def: $vgpr115
.LBB2_3497:                             ;   in Loop: Header=BB2_2648 Depth=2
	s_and_not1_saveexec_b32 s10, s41
; %bb.3498:                             ;   in Loop: Header=BB2_2648 Depth=2
	v_or_b32_e32 v82, 0x7e, v115
; %bb.3499:                             ;   in Loop: Header=BB2_2648 Depth=2
	s_or_b32 exec_lo, exec_lo, s10
                                        ; implicit-def: $vgpr11
.LBB2_3500:                             ;   in Loop: Header=BB2_2648 Depth=2
	s_and_not1_saveexec_b32 s10, s11
; %bb.3501:                             ;   in Loop: Header=BB2_2648 Depth=2
	v_or_b32_e32 v82, 0x7f, v11
; %bb.3502:                             ;   in Loop: Header=BB2_2648 Depth=2
	s_or_b32 exec_lo, exec_lo, s10
	v_mov_b32_e32 v11, 0
	s_mov_b32 s10, exec_lo
	v_cmpx_lt_u32_e32 0xffffff, v32
	s_cbranch_execz .LBB2_3510
; %bb.3503:                             ;   in Loop: Header=BB2_2648 Depth=2
	v_lshrrev_b32_e32 v10, 24, v32
	v_bfrev_b32_e32 v11, 1
	s_mov_b32 s11, exec_lo
	s_delay_alu instid0(VALU_DEP_2)
	v_cmpx_ne_u32_e32 0x80, v10
	s_cbranch_execz .LBB2_3509
; %bb.3504:                             ;   in Loop: Header=BB2_2648 Depth=2
	v_bfe_u32 v83, v32, 24, 7
	v_mov_b32_e32 v11, 0x7f800001
	s_mov_b32 s41, exec_lo
	s_delay_alu instid0(VALU_DEP_2)
	v_cmpx_ne_u32_e32 0x7f, v83
	s_cbranch_execz .LBB2_3508
; %bb.3505:                             ;   in Loop: Header=BB2_2648 Depth=2
	v_dual_lshrrev_b32 v11, 3, v83 :: v_dual_bitop2_b32 v32, 7, v10 bitop3:0x40
	s_mov_b32 s42, exec_lo
	v_cmpx_gt_u32_e32 8, v83
; %bb.3506:                             ;   in Loop: Header=BB2_2648 Depth=2
	s_delay_alu instid0(VALU_DEP_2) | instskip(NEXT) | instid1(VALU_DEP_1)
	v_clz_i32_u32_e32 v11, v32
	v_min_u32_e32 v11, 32, v11
	s_delay_alu instid0(VALU_DEP_1) | instskip(NEXT) | instid1(VALU_DEP_1)
	v_subrev_nc_u32_e32 v83, 28, v11
	v_lshlrev_b64_e32 v[56:57], v83, v[32:33]
	s_delay_alu instid0(VALU_DEP_1)
	v_dual_sub_nc_u32 v11, 29, v11 :: v_dual_bitop2_b32 v32, 7, v56 bitop3:0x40
; %bb.3507:                             ;   in Loop: Header=BB2_2648 Depth=2
	s_or_b32 exec_lo, exec_lo, s42
	s_delay_alu instid0(VALU_DEP_1) | instskip(NEXT) | instid1(VALU_DEP_2)
	v_dual_lshlrev_b32 v10, 24, v10 :: v_dual_lshlrev_b32 v32, 20, v32
	v_lshl_add_u32 v11, v11, 23, 0x3c000000
	s_delay_alu instid0(VALU_DEP_2) | instskip(NEXT) | instid1(VALU_DEP_1)
	v_and_b32_e32 v10, 0x80000000, v10
	v_or3_b32 v11, v32, v10, v11
.LBB2_3508:                             ;   in Loop: Header=BB2_2648 Depth=2
	s_or_b32 exec_lo, exec_lo, s41
.LBB2_3509:                             ;   in Loop: Header=BB2_2648 Depth=2
	s_delay_alu instid0(SALU_CYCLE_1)
	s_or_b32 exec_lo, exec_lo, s11
.LBB2_3510:                             ;   in Loop: Header=BB2_2648 Depth=2
	s_delay_alu instid0(SALU_CYCLE_1) | instskip(SKIP_3) | instid1(VALU_DEP_3)
	s_or_b32 exec_lo, exec_lo, s10
	v_lshrrev_b32_e32 v10, 24, v13
	v_bfe_u32 v32, v13, 24, 7
	v_cmp_gt_u64_e64 s11, s[14:15], v[12:13]
	v_cmp_eq_u32_e64 s10, 0x80, v10
	s_delay_alu instid0(VALU_DEP_3) | instskip(NEXT) | instid1(VALU_DEP_2)
	v_cmp_eq_u32_e32 vcc_lo, 0x7f, v32
	v_cndmask_b32_e64 v83, 0x7f800001, v99, s10
	s_or_b32 s10, s10, vcc_lo
	s_delay_alu instid0(VALU_DEP_1) | instskip(SKIP_1) | instid1(SALU_CYCLE_1)
	v_cndmask_b32_e64 v12, v83, 0, s11
	s_nor_b32 s11, s11, s10
	s_and_saveexec_b32 s10, s11
	s_cbranch_execz .LBB2_3512
; %bb.3511:                             ;   in Loop: Header=BB2_2648 Depth=2
	v_and_b32_e32 v83, 7, v10
	v_cmp_gt_u32_e32 vcc_lo, 8, v32
	s_delay_alu instid0(VALU_DEP_2) | instskip(NEXT) | instid1(VALU_DEP_1)
	v_clz_i32_u32_e32 v12, v83
	v_min_u32_e32 v115, 32, v12
	s_delay_alu instid0(VALU_DEP_1) | instskip(NEXT) | instid1(VALU_DEP_1)
	v_subrev_nc_u32_e32 v12, 28, v115
	v_lshlrev_b64_e32 v[12:13], v12, v[10:11]
	v_dual_lshrrev_b32 v13, 3, v32 :: v_dual_sub_nc_u32 v115, 29, v115
	s_delay_alu instid0(VALU_DEP_2) | instskip(NEXT) | instid1(VALU_DEP_1)
	v_dual_lshlrev_b32 v10, 24, v10 :: v_dual_bitop2_b32 v12, 7, v12 bitop3:0x40
	v_dual_cndmask_b32 v13, v13, v115 :: v_dual_cndmask_b32 v12, v83, v12
	s_delay_alu instid0(VALU_DEP_2) | instskip(NEXT) | instid1(VALU_DEP_2)
	v_and_b32_e32 v10, 0x80000000, v10
	v_lshl_add_u32 v13, v13, 23, 0x3c000000
	s_delay_alu instid0(VALU_DEP_3) | instskip(NEXT) | instid1(VALU_DEP_1)
	v_lshlrev_b32_e32 v12, 20, v12
	v_or3_b32 v12, v12, v10, v13
.LBB2_3512:                             ;   in Loop: Header=BB2_2648 Depth=2
	s_or_b32 exec_lo, exec_lo, s10
	s_delay_alu instid0(VALU_DEP_1) | instskip(SKIP_1) | instid1(VALU_DEP_1)
	v_add_f32_e32 v11, v11, v12
                                        ; implicit-def: $vgpr10
	s_mov_b32 s10, exec_lo
	v_and_b32_e32 v32, 0x7f800000, v11
	v_lshrrev_b32_e32 v12, 24, v11
	s_delay_alu instid0(VALU_DEP_2)
	v_cmpx_ne_u64_e32 0x7f800000, v[32:33]
	s_xor_b32 s11, exec_lo, s10
	s_cbranch_execz .LBB2_3526
; %bb.3513:                             ;   in Loop: Header=BB2_2648 Depth=2
	v_and_b32_e32 v32, 0x7fffffff, v11
	v_and_b32_e32 v83, 0x80, v12
                                        ; implicit-def: $vgpr10
	s_mov_b32 s10, exec_lo
	s_delay_alu instid0(VALU_DEP_2)
	v_cmpx_gt_u64_e32 0x43e00001, v[32:33]
	s_xor_b32 s41, exec_lo, s10
	s_cbranch_execz .LBB2_3523
; %bb.3514:                             ;   in Loop: Header=BB2_2648 Depth=2
	v_mov_b32_e32 v10, 0
	s_mov_b32 s42, exec_lo
	v_cmpx_ne_u32_e32 0, v11
	s_cbranch_execz .LBB2_3522
; %bb.3515:                             ;   in Loop: Header=BB2_2648 Depth=2
	v_bfe_u32 v115, v11, 23, 8
	v_and_b32_e32 v12, 0x7fffff, v11
	s_delay_alu instid0(VALU_DEP_2) | instskip(SKIP_1) | instid1(VALU_DEP_3)
	v_sub_nc_u32_e32 v10, 0x79, v115
	v_cmp_gt_u32_e32 vcc_lo, 0x7a, v115
	v_or_b32_e32 v13, 0x800000, v12
	s_delay_alu instid0(VALU_DEP_3) | instskip(SKIP_1) | instid1(VALU_DEP_2)
	v_cndmask_b32_e32 v10, 0, v10, vcc_lo
	v_cmp_eq_u32_e32 vcc_lo, 0, v115
	v_cndmask_b32_e64 v117, v10, 0x78, vcc_lo
	s_delay_alu instid0(VALU_DEP_1) | instskip(SKIP_1) | instid1(VALU_DEP_2)
	v_dual_cndmask_b32 v32, v13, v12, vcc_lo :: v_dual_add_nc_u32 v10, 20, v117
	v_add_nc_u32_e32 v40, 19, v117
	v_lshlrev_b64_e64 v[10:11], v10, -1
	s_delay_alu instid0(VALU_DEP_2) | instskip(NEXT) | instid1(VALU_DEP_2)
	v_lshlrev_b64_e64 v[12:13], v40, 1
	v_bfi_b32 v57, v11, 0, 0
	s_delay_alu instid0(VALU_DEP_3) | instskip(SKIP_1) | instid1(VALU_DEP_2)
	v_bfi_b32 v56, v10, 0, v32
	v_lshrrev_b64 v[10:11], v117, v[32:33]
	v_cmp_eq_u64_e64 s10, v[56:57], v[12:13]
	s_delay_alu instid0(VALU_DEP_2)
	v_mov_b64_e32 v[12:13], v[10:11]
	s_and_saveexec_b32 s43, s10
; %bb.3516:                             ;   in Loop: Header=BB2_2648 Depth=2
	v_bfe_u32 v32, v10, 20, 1
	s_delay_alu instid0(VALU_DEP_1) | instskip(NEXT) | instid1(VALU_DEP_1)
	v_add_nc_u64_e32 v[12:13], v[10:11], v[32:33]
	v_add_nc_u64_e32 v[12:13], -1, v[12:13]
; %bb.3517:                             ;   in Loop: Header=BB2_2648 Depth=2
	s_or_b32 exec_lo, exec_lo, s43
	v_add_nc_u32_e32 v11, 0xffffff81, v115
	v_lshrrev_b32_e32 v13, 23, v10
	s_mov_b32 s10, exec_lo
	s_delay_alu instid0(VALU_DEP_2) | instskip(NEXT) | instid1(VALU_DEP_1)
	v_cndmask_b32_e64 v11, v11, 0xffffff82, vcc_lo
	v_add3_u32 v13, v117, v11, v13
	v_and_b32_e32 v11, 0xfffff, v12
                                        ; implicit-def: $vgpr12
	s_delay_alu instid0(VALU_DEP_1) | instskip(NEXT) | instid1(VALU_DEP_1)
	v_dual_add_nc_u32 v115, 6, v13 :: v_dual_add_nc_u32 v32, v11, v10
                                        ; implicit-def: $vgpr10_vgpr11
	v_cmpx_ne_u32_e32 0, v115
	s_xor_b32 s10, exec_lo, s10
; %bb.3518:                             ;   in Loop: Header=BB2_2648 Depth=2
	s_delay_alu instid0(VALU_DEP_2) | instskip(SKIP_1) | instid1(VALU_DEP_1)
	v_cmp_lt_u64_e32 vcc_lo, 0xffffff, v[32:33]
	v_add_nc_u32_e32 v10, 7, v13
	v_cndmask_b32_e32 v12, v115, v10, vcc_lo
	v_cndmask_b32_e64 v10, 0, 1, vcc_lo
	s_delay_alu instid0(VALU_DEP_1)
	v_lshrrev_b64 v[10:11], v10, v[32:33]
; %bb.3519:                             ;   in Loop: Header=BB2_2648 Depth=2
	s_and_not1_saveexec_b32 s10, s10
; %bb.3520:                             ;   in Loop: Header=BB2_2648 Depth=2
	v_mov_b64_e32 v[10:11], v[32:33]
	v_bfe_u32 v12, v32, 23, 1
; %bb.3521:                             ;   in Loop: Header=BB2_2648 Depth=2
	s_or_b32 exec_lo, exec_lo, s10
	s_delay_alu instid0(VALU_DEP_2) | instskip(NEXT) | instid1(VALU_DEP_2)
	v_lshrrev_b64 v[10:11], 20, v[10:11]
	v_cmp_gt_i32_e32 vcc_lo, 16, v12
	v_min_i32_e32 v13, 15, v12
	v_cmp_eq_u32_e64 s10, 0, v12
	s_delay_alu instid0(VALU_DEP_2) | instskip(SKIP_1) | instid1(VALU_DEP_2)
	v_dual_cndmask_b32 v11, 0, v11, vcc_lo :: v_dual_lshlrev_b32 v13, 3, v13
	v_cndmask_b32_e32 v10, 7, v10, vcc_lo
	v_and_b32_e32 v13, 0xf8, v13
	s_delay_alu instid0(VALU_DEP_2) | instskip(NEXT) | instid1(VALU_DEP_2)
	v_cmp_eq_u64_e32 vcc_lo, 0, v[10:11]
	v_and_or_b32 v10, v10, 7, v13
	s_and_b32 s10, s10, vcc_lo
	s_delay_alu instid0(VALU_DEP_1) | instid1(SALU_CYCLE_1)
	v_cndmask_b32_e64 v10, v10, 0, s10
	s_delay_alu instid0(VALU_DEP_1)
	v_or_b32_e32 v10, v10, v83
.LBB2_3522:                             ;   in Loop: Header=BB2_2648 Depth=2
	s_or_b32 exec_lo, exec_lo, s42
                                        ; implicit-def: $vgpr83
.LBB2_3523:                             ;   in Loop: Header=BB2_2648 Depth=2
	s_and_not1_saveexec_b32 s10, s41
; %bb.3524:                             ;   in Loop: Header=BB2_2648 Depth=2
	v_or_b32_e32 v10, 0x7e, v83
; %bb.3525:                             ;   in Loop: Header=BB2_2648 Depth=2
	s_or_b32 exec_lo, exec_lo, s10
                                        ; implicit-def: $vgpr12
.LBB2_3526:                             ;   in Loop: Header=BB2_2648 Depth=2
	s_and_not1_saveexec_b32 s10, s11
	s_cbranch_execz .LBB2_2647
; %bb.3527:                             ;   in Loop: Header=BB2_2648 Depth=2
	v_or_b32_e32 v10, 0x7f, v12
	s_branch .LBB2_2647
.LBB2_3528:                             ;   in Loop: Header=BB2_2573 Depth=1
	s_or_b32 exec_lo, exec_lo, s28
.LBB2_3529:                             ;   in Loop: Header=BB2_2573 Depth=1
	s_delay_alu instid0(SALU_CYCLE_1) | instskip(SKIP_3) | instid1(VALU_DEP_1)
	s_or_b32 exec_lo, exec_lo, s26
	v_and_b32_e32 v10, 15, v100
	s_mov_b32 s10, 0
	s_mov_b32 s11, exec_lo
                                        ; implicit-def: $vgpr30
	v_dual_cndmask_b32 v112, v101, v10, s7 :: v_dual_mov_b32 v101, 0
	s_delay_alu instid0(VALU_DEP_1)
	v_cmpx_ne_u32_e32 0, v112
	s_cbranch_execz .LBB2_4415
; %bb.3530:                             ;   in Loop: Header=BB2_2573 Depth=1
	v_cmp_lt_i32_e32 vcc_lo, 0, v113
	s_mov_b32 s26, exec_lo
	v_cndmask_b32_e32 v10, 0, v34, vcc_lo
	s_delay_alu instid0(VALU_DEP_1) | instskip(NEXT) | instid1(VALU_DEP_1)
	v_sub_nc_u32_e32 v10, v10, v113
	v_lshl_or_b32 v10, v10, 5, v96
	s_delay_alu instid0(VALU_DEP_1) | instskip(NEXT) | instid1(VALU_DEP_1)
	v_ashrrev_i32_e32 v11, 31, v10
	v_lshrrev_b32_e32 v11, 27, v11
	s_delay_alu instid0(VALU_DEP_1) | instskip(NEXT) | instid1(VALU_DEP_1)
	v_add_nc_u32_e32 v11, v10, v11
	v_and_b32_e32 v12, 0xffffffe0, v11
	s_delay_alu instid0(VALU_DEP_1) | instskip(SKIP_1) | instid1(VALU_DEP_2)
	v_sub_nc_u32_e32 v113, v10, v12
	v_and_b32_e32 v12, 0x1f0, v100
	v_dual_lshlrev_b32 v10, 4, v113 :: v_dual_ashrrev_i32 v11, 5, v11
	s_delay_alu instid0(VALU_DEP_1) | instskip(NEXT) | instid1(VALU_DEP_3)
	v_lshl_add_u32 v10, v11, 9, v10
	v_dual_cndmask_b32 v12, 0, v12, s7 :: v_dual_sub_nc_u32 v114, 0, v11
	s_delay_alu instid0(VALU_DEP_2) | instskip(NEXT) | instid1(VALU_DEP_2)
	v_sub_nc_u32_e32 v115, v112, v10
	v_and_or_b32 v101, 0x3ffffe00, v100, v12
	s_delay_alu instid0(VALU_DEP_2)
	v_cmpx_lt_i32_e32 15, v115
	s_cbranch_execz .LBB2_4414
; %bb.3531:                             ;   in Loop: Header=BB2_2573 Depth=1
	s_trap 2
	ds_load_b64 v[12:13], v0
	v_add_nc_u32_e32 v10, v10, v101
	s_delay_alu instid0(VALU_DEP_1) | instskip(NEXT) | instid1(VALU_DEP_1)
	v_ashrrev_i32_e32 v11, 31, v10
	v_add_nc_u64_e32 v[68:69], v[10:11], v[64:65]
	v_add_nc_u64_e32 v[70:71], v[10:11], v[66:67]
	s_wait_dscnt 0x0
	v_readfirstlane_b32 s40, v12
	v_readfirstlane_b32 s41, v13
	v_add_nc_u64_e32 v[80:81], v[12:13], v[10:11]
	s_and_b32 s7, s40, 7
	s_and_b32 s10, s40, 0x7f
	s_clz_i32_u32 s7, s7
	s_bfe_u32 s27, s40, 0x40003
	s_min_u32 s7, s7, 32
	s_delay_alu instid0(SALU_CYCLE_1)
	s_sub_co_i32 s28, s7, 28
	s_sub_co_i32 s7, 29, s7
	s_cmp_lt_u32 s10, 8
	s_cselect_b32 s7, s7, s27
	s_cselect_b32 s27, s28, 0
	s_lshl_b32 s42, s40, 24
	s_lshl_b64 s[28:29], s[40:41], s27
	s_and_b32 s27, s42, 0x80000000
	s_lshl_b32 s28, s28, 20
	s_lshl_b32 s7, s7, 23
	s_and_b32 s28, s28, 0x700000
	s_add_co_i32 s7, s7, 0x3c000000
	s_or_b32 s27, s28, s27
	s_delay_alu instid0(SALU_CYCLE_1)
	s_or_b32 s7, s7, s27
	s_cmp_lg_u32 s10, 0x7f
	s_mov_b32 s27, 0
	s_cselect_b32 s28, s7, 0x7f800001
	s_and_b32 s29, s40, 0xff
	s_branch .LBB2_3533
.LBB2_3532:                             ;   in Loop: Header=BB2_3533 Depth=2
	s_or_b32 exec_lo, exec_lo, s7
	v_lshl_or_b32 v11, v87, 8, v86
	v_dual_lshlrev_b32 v12, 16, v56 :: v_dual_lshlrev_b32 v13, 24, v30
	v_lshl_or_b32 v30, v118, 8, v116
	v_dual_lshlrev_b32 v32, 16, v41 :: v_dual_lshlrev_b32 v83, 24, v44
	;; [unrolled: 2-line block ×3, first 2 shown]
	v_lshlrev_b32_e32 v117, 24, v10
	v_lshlrev_b32_e32 v82, 16, v82
	v_lshl_or_b32 v84, v85, 8, v84
	v_or3_b32 v11, v11, v12, v13
	v_or3_b32 v10, v30, v32, v83
	;; [unrolled: 1-line block ×3, first 2 shown]
	v_sub_nc_u32_e32 v115, v115, v38
	v_or3_b32 v13, v84, v82, v117
	v_add_nc_u64_e32 v[68:69], v[68:69], v[38:39]
	v_add_nc_u64_e32 v[80:81], v[80:81], v[38:39]
	v_sub_nc_u32_e32 v114, v114, v34
	v_cmp_gt_i32_e32 vcc_lo, 16, v115
	global_store_b128 v[70:71], v[10:13], off th:TH_STORE_NT
	s_wait_xcnt 0x0
	v_add_nc_u64_e32 v[70:71], v[70:71], v[38:39]
	s_or_b32 s27, vcc_lo, s27
	s_delay_alu instid0(SALU_CYCLE_1)
	s_and_not1_b32 exec_lo, exec_lo, s27
	s_cbranch_execz .LBB2_4413
.LBB2_3533:                             ;   Parent Loop BB2_2573 Depth=1
                                        ; =>  This Inner Loop Header: Depth=2
	s_cmp_lt_i32 s29, 0x80
	s_cbranch_scc1 .LBB2_3537
; %bb.3534:                             ;   in Loop: Header=BB2_3533 Depth=2
	s_and_b32 s7, 0xffff, s29
	s_delay_alu instid0(SALU_CYCLE_1)
	s_cmp_eq_u32 s7, 0x80
	s_mov_b32 s7, -1
	s_cbranch_scc0 .LBB2_3536
; %bb.3535:                             ;   in Loop: Header=BB2_3533 Depth=2
	s_mov_b32 s7, 0
.LBB2_3536:                             ;   in Loop: Header=BB2_3533 Depth=2
	s_brev_b32 s10, 1
	s_branch .LBB2_3539
.LBB2_3537:                             ;   in Loop: Header=BB2_3533 Depth=2
	s_mov_b32 s7, 0
	s_brev_b32 s10, 1
	s_cbranch_execz .LBB2_3539
; %bb.3538:                             ;   in Loop: Header=BB2_3533 Depth=2
	s_and_b32 s7, 0xffff, s29
	s_mov_b32 s10, 0
	s_cmp_lg_u32 s7, 0
	s_cselect_b32 s7, -1, 0
.LBB2_3539:                             ;   in Loop: Header=BB2_3533 Depth=2
	s_delay_alu instid0(SALU_CYCLE_1)
	s_and_not1_b32 vcc_lo, exec_lo, s7
	s_cbranch_vccnz .LBB2_3541
; %bb.3540:                             ;   in Loop: Header=BB2_3533 Depth=2
	s_mov_b32 s10, s28
.LBB2_3541:                             ;   in Loop: Header=BB2_3533 Depth=2
	global_load_b128 v[10:13], v[68:69], off th:TH_LOAD_NT
	v_mov_b32_e32 v30, 0
	s_mov_b32 s7, exec_lo
	s_wait_loadcnt 0x0
	v_and_b32_e32 v32, 0xff, v10
	s_wait_xcnt 0x0
	s_delay_alu instid0(VALU_DEP_1)
	v_cmpx_ne_u16_e32 0, v32
	s_cbranch_execz .LBB2_3547
; %bb.3542:                             ;   in Loop: Header=BB2_3533 Depth=2
	v_bfrev_b32_e32 v30, 1
	s_mov_b32 s40, exec_lo
	v_cmpx_ne_u16_e32 0x80, v32
	s_cbranch_execz .LBB2_3546
; %bb.3543:                             ;   in Loop: Header=BB2_3533 Depth=2
	v_and_b32_e32 v32, 0x7f, v10
	v_mov_b32_e32 v30, 0x7f800001
	s_mov_b32 s41, exec_lo
	s_delay_alu instid0(VALU_DEP_2)
	v_cmpx_ne_u32_e32 0x7f, v32
	s_cbranch_execz .LBB2_3545
; %bb.3544:                             ;   in Loop: Header=BB2_3533 Depth=2
	v_dual_lshrrev_b32 v82, 3, v32 :: v_dual_bitop2_b32 v30, 7, v10 bitop3:0x40
	v_cmp_gt_u32_e32 vcc_lo, 8, v32
	s_delay_alu instid0(VALU_DEP_2) | instskip(NEXT) | instid1(VALU_DEP_1)
	v_clz_i32_u32_e32 v30, v30
	v_min_u32_e32 v30, 32, v30
	s_delay_alu instid0(VALU_DEP_1) | instskip(NEXT) | instid1(VALU_DEP_1)
	v_subrev_nc_u32_e32 v83, 28, v30
	v_dual_sub_nc_u32 v30, 29, v30 :: v_dual_cndmask_b32 v32, 0, v83, vcc_lo
	s_delay_alu instid0(VALU_DEP_1) | instskip(NEXT) | instid1(VALU_DEP_2)
	v_cndmask_b32_e32 v30, v82, v30, vcc_lo
	v_lshlrev_b64_e32 v[82:83], v32, v[10:11]
	v_lshlrev_b32_e32 v32, 24, v10
	s_delay_alu instid0(VALU_DEP_3) | instskip(NEXT) | instid1(VALU_DEP_2)
	v_lshl_add_u32 v30, v30, 23, 0x3c000000
	v_and_b32_e32 v32, 0x80000000, v32
	s_delay_alu instid0(VALU_DEP_4) | instskip(NEXT) | instid1(VALU_DEP_1)
	v_lshlrev_b32_e32 v82, 20, v82
	v_and_b32_e32 v82, 0x700000, v82
	s_delay_alu instid0(VALU_DEP_1)
	v_or3_b32 v30, v82, v32, v30
.LBB2_3545:                             ;   in Loop: Header=BB2_3533 Depth=2
	s_or_b32 exec_lo, exec_lo, s41
.LBB2_3546:                             ;   in Loop: Header=BB2_3533 Depth=2
	s_delay_alu instid0(SALU_CYCLE_1)
	s_or_b32 exec_lo, exec_lo, s40
.LBB2_3547:                             ;   in Loop: Header=BB2_3533 Depth=2
	s_delay_alu instid0(SALU_CYCLE_1) | instskip(NEXT) | instid1(VALU_DEP_1)
	s_or_b32 exec_lo, exec_lo, s7
	v_mul_f32_e32 v82, s10, v30
                                        ; implicit-def: $vgpr30
	s_mov_b32 s7, exec_lo
	s_delay_alu instid0(VALU_DEP_1) | instskip(SKIP_1) | instid1(VALU_DEP_2)
	v_and_b32_e32 v32, 0x7f800000, v82
	v_lshrrev_b32_e32 v83, 24, v82
	v_cmpx_ne_u64_e32 0x7f800000, v[32:33]
	s_xor_b32 s40, exec_lo, s7
	s_cbranch_execz .LBB2_3561
; %bb.3548:                             ;   in Loop: Header=BB2_3533 Depth=2
	v_and_b32_e32 v32, 0x7fffffff, v82
	v_and_b32_e32 v86, 0x80, v83
                                        ; implicit-def: $vgpr30
	s_mov_b32 s7, exec_lo
	s_delay_alu instid0(VALU_DEP_2)
	v_cmpx_gt_u64_e32 0x43e00001, v[32:33]
	s_xor_b32 s41, exec_lo, s7
	s_cbranch_execz .LBB2_3558
; %bb.3549:                             ;   in Loop: Header=BB2_3533 Depth=2
	v_mov_b32_e32 v30, 0
	s_mov_b32 s42, exec_lo
	v_cmpx_ne_u32_e32 0, v82
	s_cbranch_execz .LBB2_3557
; %bb.3550:                             ;   in Loop: Header=BB2_3533 Depth=2
	v_bfe_u32 v30, v82, 23, 8
	s_delay_alu instid0(VALU_DEP_1) | instskip(SKIP_1) | instid1(VALU_DEP_2)
	v_sub_nc_u32_e32 v32, 0x79, v30
	v_cmp_gt_u32_e32 vcc_lo, 0x7a, v30
	v_cndmask_b32_e32 v32, 0, v32, vcc_lo
	v_cmp_eq_u32_e32 vcc_lo, 0, v30
	s_delay_alu instid0(VALU_DEP_2) | instskip(SKIP_1) | instid1(VALU_DEP_2)
	v_cndmask_b32_e64 v87, v32, 0x78, vcc_lo
	v_and_b32_e32 v32, 0x7fffff, v82
	v_add_nc_u32_e32 v82, 20, v87
	s_delay_alu instid0(VALU_DEP_2) | instskip(SKIP_1) | instid1(VALU_DEP_3)
	v_or_b32_e32 v84, 0x800000, v32
	v_add_nc_u32_e32 v85, 19, v87
	v_lshlrev_b64_e64 v[82:83], v82, -1
	s_delay_alu instid0(VALU_DEP_3) | instskip(NEXT) | instid1(VALU_DEP_3)
	v_cndmask_b32_e32 v32, v84, v32, vcc_lo
	v_lshlrev_b64_e64 v[84:85], v85, 1
	s_delay_alu instid0(VALU_DEP_3) | instskip(NEXT) | instid1(VALU_DEP_3)
	v_bfi_b32 v117, v83, 0, 0
	v_bfi_b32 v116, v82, 0, v32
	v_lshrrev_b64 v[82:83], v87, v[32:33]
	s_delay_alu instid0(VALU_DEP_2) | instskip(NEXT) | instid1(VALU_DEP_2)
	v_cmp_eq_u64_e64 s7, v[116:117], v[84:85]
	v_mov_b64_e32 v[84:85], v[82:83]
	s_and_saveexec_b32 s43, s7
; %bb.3551:                             ;   in Loop: Header=BB2_3533 Depth=2
	v_bfe_u32 v32, v82, 20, 1
	s_delay_alu instid0(VALU_DEP_1) | instskip(NEXT) | instid1(VALU_DEP_1)
	v_add_nc_u64_e32 v[84:85], v[82:83], v[32:33]
	v_add_nc_u64_e32 v[84:85], -1, v[84:85]
; %bb.3552:                             ;   in Loop: Header=BB2_3533 Depth=2
	s_or_b32 exec_lo, exec_lo, s43
	v_add_nc_u32_e32 v30, 0xffffff81, v30
	v_lshrrev_b32_e32 v32, 23, v82
	s_mov_b32 s7, exec_lo
	s_delay_alu instid0(VALU_DEP_2) | instskip(NEXT) | instid1(VALU_DEP_1)
	v_cndmask_b32_e64 v30, v30, 0xffffff82, vcc_lo
	v_add3_u32 v85, v87, v30, v32
	v_and_b32_e32 v30, 0xfffff, v84
	s_delay_alu instid0(VALU_DEP_1) | instskip(NEXT) | instid1(VALU_DEP_1)
	v_dual_add_nc_u32 v84, 6, v85 :: v_dual_add_nc_u32 v32, v30, v82
                                        ; implicit-def: $vgpr82_vgpr83
                                        ; implicit-def: $vgpr30
	v_cmpx_ne_u32_e32 0, v84
	s_xor_b32 s7, exec_lo, s7
; %bb.3553:                             ;   in Loop: Header=BB2_3533 Depth=2
	s_delay_alu instid0(VALU_DEP_2) | instskip(SKIP_2) | instid1(VALU_DEP_2)
	v_cmp_lt_u64_e32 vcc_lo, 0xffffff, v[32:33]
	v_add_nc_u32_e32 v30, 7, v85
	v_cndmask_b32_e64 v82, 0, 1, vcc_lo
	v_cndmask_b32_e32 v30, v84, v30, vcc_lo
	s_delay_alu instid0(VALU_DEP_2)
	v_lshrrev_b64 v[82:83], v82, v[32:33]
; %bb.3554:                             ;   in Loop: Header=BB2_3533 Depth=2
	s_and_not1_saveexec_b32 s7, s7
; %bb.3555:                             ;   in Loop: Header=BB2_3533 Depth=2
	v_mov_b64_e32 v[82:83], v[32:33]
	v_bfe_u32 v30, v32, 23, 1
; %bb.3556:                             ;   in Loop: Header=BB2_3533 Depth=2
	s_or_b32 exec_lo, exec_lo, s7
	s_delay_alu instid0(VALU_DEP_2) | instskip(NEXT) | instid1(VALU_DEP_2)
	v_lshrrev_b64 v[82:83], 20, v[82:83]
	v_cmp_gt_i32_e32 vcc_lo, 16, v30
	v_min_i32_e32 v32, 15, v30
	v_cmp_eq_u32_e64 s7, 0, v30
	s_delay_alu instid0(VALU_DEP_2) | instskip(SKIP_1) | instid1(VALU_DEP_2)
	v_dual_cndmask_b32 v83, 0, v83 :: v_dual_lshlrev_b32 v32, 3, v32
	v_cndmask_b32_e32 v82, 7, v82, vcc_lo
	v_and_b32_e32 v32, 0xf8, v32
	s_delay_alu instid0(VALU_DEP_2) | instskip(NEXT) | instid1(VALU_DEP_2)
	v_cmp_eq_u64_e32 vcc_lo, 0, v[82:83]
	v_and_or_b32 v30, v82, 7, v32
	s_and_b32 s7, s7, vcc_lo
	s_delay_alu instid0(VALU_DEP_1) | instid1(SALU_CYCLE_1)
	v_cndmask_b32_e64 v30, v30, 0, s7
	s_delay_alu instid0(VALU_DEP_1)
	v_or_b32_e32 v30, v30, v86
.LBB2_3557:                             ;   in Loop: Header=BB2_3533 Depth=2
	s_or_b32 exec_lo, exec_lo, s42
                                        ; implicit-def: $vgpr86
.LBB2_3558:                             ;   in Loop: Header=BB2_3533 Depth=2
	s_and_not1_saveexec_b32 s7, s41
; %bb.3559:                             ;   in Loop: Header=BB2_3533 Depth=2
	v_or_b32_e32 v30, 0x7e, v86
; %bb.3560:                             ;   in Loop: Header=BB2_3533 Depth=2
	s_or_b32 exec_lo, exec_lo, s7
                                        ; implicit-def: $vgpr83
.LBB2_3561:                             ;   in Loop: Header=BB2_3533 Depth=2
	s_and_not1_saveexec_b32 s7, s40
; %bb.3562:                             ;   in Loop: Header=BB2_3533 Depth=2
	v_or_b32_e32 v30, 0x7f, v83
; %bb.3563:                             ;   in Loop: Header=BB2_3533 Depth=2
	s_or_b32 exec_lo, exec_lo, s7
	v_lshrrev_b16 v82, 8, v10
	v_mov_b32_e32 v32, 0
	s_mov_b32 s7, exec_lo
	s_delay_alu instid0(VALU_DEP_2)
	v_cmpx_ne_u16_e32 0, v82
	s_cbranch_execz .LBB2_3571
; %bb.3564:                             ;   in Loop: Header=BB2_3533 Depth=2
	v_bfrev_b32_e32 v32, 1
	s_mov_b32 s40, exec_lo
	v_cmpx_ne_u16_e32 0x80, v82
	s_cbranch_execz .LBB2_3570
; %bb.3565:                             ;   in Loop: Header=BB2_3533 Depth=2
	v_and_b32_e32 v82, 0xffff, v82
	v_mov_b32_e32 v32, 0x7f800001
	s_mov_b32 s41, exec_lo
	s_delay_alu instid0(VALU_DEP_2) | instskip(NEXT) | instid1(VALU_DEP_1)
	v_and_b32_e32 v83, 0x7f, v82
	v_cmpx_ne_u32_e32 0x7f, v83
	s_cbranch_execz .LBB2_3569
; %bb.3566:                             ;   in Loop: Header=BB2_3533 Depth=2
	v_dual_lshrrev_b32 v82, 3, v83 :: v_dual_bitop2_b32 v32, 7, v82 bitop3:0x40
	s_mov_b32 s42, exec_lo
	v_cmpx_gt_u32_e32 8, v83
; %bb.3567:                             ;   in Loop: Header=BB2_3533 Depth=2
	s_delay_alu instid0(VALU_DEP_2) | instskip(NEXT) | instid1(VALU_DEP_1)
	v_clz_i32_u32_e32 v82, v32
	v_min_u32_e32 v82, 32, v82
	s_delay_alu instid0(VALU_DEP_1) | instskip(NEXT) | instid1(VALU_DEP_1)
	v_subrev_nc_u32_e32 v83, 28, v82
	v_lshlrev_b64_e32 v[84:85], v83, v[32:33]
	s_delay_alu instid0(VALU_DEP_1)
	v_dual_sub_nc_u32 v82, 29, v82 :: v_dual_bitop2_b32 v32, 7, v84 bitop3:0x40
; %bb.3568:                             ;   in Loop: Header=BB2_3533 Depth=2
	s_or_b32 exec_lo, exec_lo, s42
	s_delay_alu instid0(VALU_DEP_1) | instskip(NEXT) | instid1(VALU_DEP_2)
	v_dual_lshlrev_b32 v83, 16, v10 :: v_dual_lshlrev_b32 v32, 20, v32
	v_lshl_add_u32 v82, v82, 23, 0x3c000000
	s_delay_alu instid0(VALU_DEP_2) | instskip(NEXT) | instid1(VALU_DEP_1)
	v_and_b32_e32 v83, 0x80000000, v83
	v_or3_b32 v32, v32, v83, v82
.LBB2_3569:                             ;   in Loop: Header=BB2_3533 Depth=2
	s_or_b32 exec_lo, exec_lo, s41
.LBB2_3570:                             ;   in Loop: Header=BB2_3533 Depth=2
	s_delay_alu instid0(SALU_CYCLE_1)
	s_or_b32 exec_lo, exec_lo, s40
.LBB2_3571:                             ;   in Loop: Header=BB2_3533 Depth=2
	s_delay_alu instid0(SALU_CYCLE_1) | instskip(NEXT) | instid1(VALU_DEP_1)
	s_or_b32 exec_lo, exec_lo, s7
	v_mul_f32_e32 v82, s10, v32
                                        ; implicit-def: $vgpr116
	s_mov_b32 s7, exec_lo
	s_delay_alu instid0(VALU_DEP_1) | instskip(SKIP_1) | instid1(VALU_DEP_2)
	v_and_b32_e32 v32, 0x7f800000, v82
	v_lshrrev_b32_e32 v83, 24, v82
	v_cmpx_ne_u64_e32 0x7f800000, v[32:33]
	s_xor_b32 s40, exec_lo, s7
	s_cbranch_execz .LBB2_3585
; %bb.3572:                             ;   in Loop: Header=BB2_3533 Depth=2
	v_and_b32_e32 v32, 0x7fffffff, v82
	v_and_b32_e32 v86, 0x80, v83
                                        ; implicit-def: $vgpr116
	s_mov_b32 s7, exec_lo
	s_delay_alu instid0(VALU_DEP_2)
	v_cmpx_gt_u64_e32 0x43e00001, v[32:33]
	s_xor_b32 s41, exec_lo, s7
	s_cbranch_execz .LBB2_3582
; %bb.3573:                             ;   in Loop: Header=BB2_3533 Depth=2
	v_mov_b32_e32 v116, 0
	s_mov_b32 s42, exec_lo
	v_cmpx_ne_u32_e32 0, v82
	s_cbranch_execz .LBB2_3581
; %bb.3574:                             ;   in Loop: Header=BB2_3533 Depth=2
	v_bfe_u32 v87, v82, 23, 8
	s_delay_alu instid0(VALU_DEP_1) | instskip(SKIP_1) | instid1(VALU_DEP_2)
	v_sub_nc_u32_e32 v32, 0x79, v87
	v_cmp_gt_u32_e32 vcc_lo, 0x7a, v87
	v_cndmask_b32_e32 v32, 0, v32, vcc_lo
	v_cmp_eq_u32_e32 vcc_lo, 0, v87
	s_delay_alu instid0(VALU_DEP_2) | instskip(SKIP_1) | instid1(VALU_DEP_2)
	v_cndmask_b32_e64 v116, v32, 0x78, vcc_lo
	v_and_b32_e32 v32, 0x7fffff, v82
	v_dual_add_nc_u32 v82, 20, v116 :: v_dual_add_nc_u32 v85, 19, v116
	s_delay_alu instid0(VALU_DEP_2) | instskip(NEXT) | instid1(VALU_DEP_2)
	v_or_b32_e32 v84, 0x800000, v32
	v_lshlrev_b64_e64 v[82:83], v82, -1
	s_delay_alu instid0(VALU_DEP_2) | instskip(NEXT) | instid1(VALU_DEP_4)
	v_cndmask_b32_e32 v32, v84, v32, vcc_lo
	v_lshlrev_b64_e64 v[84:85], v85, 1
	s_delay_alu instid0(VALU_DEP_3) | instskip(NEXT) | instid1(VALU_DEP_3)
	v_bfi_b32 v119, v83, 0, 0
	v_bfi_b32 v118, v82, 0, v32
	v_lshrrev_b64 v[82:83], v116, v[32:33]
	s_delay_alu instid0(VALU_DEP_2) | instskip(NEXT) | instid1(VALU_DEP_2)
	v_cmp_eq_u64_e64 s7, v[118:119], v[84:85]
	v_mov_b64_e32 v[84:85], v[82:83]
	s_and_saveexec_b32 s43, s7
; %bb.3575:                             ;   in Loop: Header=BB2_3533 Depth=2
	v_bfe_u32 v32, v82, 20, 1
	s_delay_alu instid0(VALU_DEP_1) | instskip(NEXT) | instid1(VALU_DEP_1)
	v_add_nc_u64_e32 v[84:85], v[82:83], v[32:33]
	v_add_nc_u64_e32 v[84:85], -1, v[84:85]
; %bb.3576:                             ;   in Loop: Header=BB2_3533 Depth=2
	s_or_b32 exec_lo, exec_lo, s43
	v_add_nc_u32_e32 v32, 0xffffff81, v87
	v_lshrrev_b32_e32 v83, 23, v82
	s_mov_b32 s7, exec_lo
	s_delay_alu instid0(VALU_DEP_2) | instskip(NEXT) | instid1(VALU_DEP_1)
	v_cndmask_b32_e64 v32, v32, 0xffffff82, vcc_lo
	v_add3_u32 v85, v116, v32, v83
	v_and_b32_e32 v32, 0xfffff, v84
                                        ; implicit-def: $vgpr84
	s_delay_alu instid0(VALU_DEP_1) | instskip(NEXT) | instid1(VALU_DEP_1)
	v_dual_add_nc_u32 v87, 6, v85 :: v_dual_add_nc_u32 v32, v32, v82
                                        ; implicit-def: $vgpr82_vgpr83
	v_cmpx_ne_u32_e32 0, v87
	s_xor_b32 s7, exec_lo, s7
; %bb.3577:                             ;   in Loop: Header=BB2_3533 Depth=2
	s_delay_alu instid0(VALU_DEP_2) | instskip(SKIP_1) | instid1(VALU_DEP_1)
	v_cmp_lt_u64_e32 vcc_lo, 0xffffff, v[32:33]
	v_add_nc_u32_e32 v82, 7, v85
	v_cndmask_b32_e32 v84, v87, v82, vcc_lo
	v_cndmask_b32_e64 v82, 0, 1, vcc_lo
	s_delay_alu instid0(VALU_DEP_1)
	v_lshrrev_b64 v[82:83], v82, v[32:33]
; %bb.3578:                             ;   in Loop: Header=BB2_3533 Depth=2
	s_and_not1_saveexec_b32 s7, s7
; %bb.3579:                             ;   in Loop: Header=BB2_3533 Depth=2
	v_mov_b64_e32 v[82:83], v[32:33]
	v_bfe_u32 v84, v32, 23, 1
; %bb.3580:                             ;   in Loop: Header=BB2_3533 Depth=2
	s_or_b32 exec_lo, exec_lo, s7
	s_delay_alu instid0(VALU_DEP_2) | instskip(NEXT) | instid1(VALU_DEP_2)
	v_lshrrev_b64 v[82:83], 20, v[82:83]
	v_cmp_gt_i32_e32 vcc_lo, 16, v84
	v_min_i32_e32 v32, 15, v84
	v_cmp_eq_u32_e64 s7, 0, v84
	s_delay_alu instid0(VALU_DEP_2) | instskip(SKIP_1) | instid1(VALU_DEP_2)
	v_dual_cndmask_b32 v83, 0, v83 :: v_dual_lshlrev_b32 v32, 3, v32
	v_cndmask_b32_e32 v82, 7, v82, vcc_lo
	v_and_b32_e32 v32, 0xf8, v32
	s_delay_alu instid0(VALU_DEP_2) | instskip(NEXT) | instid1(VALU_DEP_2)
	v_cmp_eq_u64_e32 vcc_lo, 0, v[82:83]
	v_and_or_b32 v32, v82, 7, v32
	s_and_b32 s7, s7, vcc_lo
	s_delay_alu instid0(VALU_DEP_1) | instid1(SALU_CYCLE_1)
	v_cndmask_b32_e64 v32, v32, 0, s7
	s_delay_alu instid0(VALU_DEP_1)
	v_or_b32_e32 v116, v32, v86
.LBB2_3581:                             ;   in Loop: Header=BB2_3533 Depth=2
	s_or_b32 exec_lo, exec_lo, s42
                                        ; implicit-def: $vgpr86
.LBB2_3582:                             ;   in Loop: Header=BB2_3533 Depth=2
	s_and_not1_saveexec_b32 s7, s41
; %bb.3583:                             ;   in Loop: Header=BB2_3533 Depth=2
	v_or_b32_e32 v116, 0x7e, v86
; %bb.3584:                             ;   in Loop: Header=BB2_3533 Depth=2
	s_or_b32 exec_lo, exec_lo, s7
                                        ; implicit-def: $vgpr83
.LBB2_3585:                             ;   in Loop: Header=BB2_3533 Depth=2
	s_and_not1_saveexec_b32 s7, s40
; %bb.3586:                             ;   in Loop: Header=BB2_3533 Depth=2
	v_or_b32_e32 v116, 0x7f, v83
; %bb.3587:                             ;   in Loop: Header=BB2_3533 Depth=2
	s_or_b32 exec_lo, exec_lo, s7
	v_dual_lshrrev_b32 v82, 16, v10 :: v_dual_mov_b32 v32, 0
	s_mov_b32 s7, exec_lo
	s_delay_alu instid0(VALU_DEP_1) | instskip(NEXT) | instid1(VALU_DEP_1)
	v_and_b32_e32 v83, 0xff, v82
	v_cmpx_ne_u16_e32 0, v83
	s_cbranch_execz .LBB2_3595
; %bb.3588:                             ;   in Loop: Header=BB2_3533 Depth=2
	v_bfrev_b32_e32 v32, 1
	s_mov_b32 s40, exec_lo
	v_cmpx_ne_u16_e32 0x80, v83
	s_cbranch_execz .LBB2_3594
; %bb.3589:                             ;   in Loop: Header=BB2_3533 Depth=2
	v_bfe_u32 v84, v10, 16, 7
	v_mov_b32_e32 v32, 0x7f800001
	s_mov_b32 s41, exec_lo
	s_delay_alu instid0(VALU_DEP_2)
	v_cmpx_ne_u32_e32 0x7f, v84
	s_cbranch_execz .LBB2_3593
; %bb.3590:                             ;   in Loop: Header=BB2_3533 Depth=2
	v_dual_lshrrev_b32 v83, 3, v84 :: v_dual_bitop2_b32 v32, 7, v82 bitop3:0x40
	s_mov_b32 s42, exec_lo
	v_cmpx_gt_u32_e32 8, v84
; %bb.3591:                             ;   in Loop: Header=BB2_3533 Depth=2
	s_delay_alu instid0(VALU_DEP_2) | instskip(NEXT) | instid1(VALU_DEP_1)
	v_clz_i32_u32_e32 v83, v32
	v_min_u32_e32 v83, 32, v83
	s_delay_alu instid0(VALU_DEP_1) | instskip(NEXT) | instid1(VALU_DEP_1)
	v_subrev_nc_u32_e32 v84, 28, v83
	v_lshlrev_b64_e32 v[84:85], v84, v[32:33]
	s_delay_alu instid0(VALU_DEP_1)
	v_dual_sub_nc_u32 v83, 29, v83 :: v_dual_bitop2_b32 v32, 7, v84 bitop3:0x40
; %bb.3592:                             ;   in Loop: Header=BB2_3533 Depth=2
	s_or_b32 exec_lo, exec_lo, s42
	s_delay_alu instid0(VALU_DEP_1) | instskip(NEXT) | instid1(VALU_DEP_2)
	v_dual_lshlrev_b32 v82, 24, v82 :: v_dual_lshlrev_b32 v32, 20, v32
	v_lshl_add_u32 v83, v83, 23, 0x3c000000
	s_delay_alu instid0(VALU_DEP_2) | instskip(NEXT) | instid1(VALU_DEP_1)
	v_and_b32_e32 v82, 0x80000000, v82
	v_or3_b32 v32, v32, v82, v83
.LBB2_3593:                             ;   in Loop: Header=BB2_3533 Depth=2
	s_or_b32 exec_lo, exec_lo, s41
.LBB2_3594:                             ;   in Loop: Header=BB2_3533 Depth=2
	s_delay_alu instid0(SALU_CYCLE_1)
	s_or_b32 exec_lo, exec_lo, s40
.LBB2_3595:                             ;   in Loop: Header=BB2_3533 Depth=2
	s_delay_alu instid0(SALU_CYCLE_1) | instskip(NEXT) | instid1(VALU_DEP_1)
	s_or_b32 exec_lo, exec_lo, s7
	v_mul_f32_e32 v82, s10, v32
                                        ; implicit-def: $vgpr118
	s_mov_b32 s7, exec_lo
	s_delay_alu instid0(VALU_DEP_1) | instskip(SKIP_1) | instid1(VALU_DEP_2)
	v_and_b32_e32 v32, 0x7f800000, v82
	v_lshrrev_b32_e32 v83, 24, v82
	v_cmpx_ne_u64_e32 0x7f800000, v[32:33]
	s_xor_b32 s40, exec_lo, s7
	s_cbranch_execz .LBB2_3609
; %bb.3596:                             ;   in Loop: Header=BB2_3533 Depth=2
	v_and_b32_e32 v32, 0x7fffffff, v82
	v_and_b32_e32 v86, 0x80, v83
                                        ; implicit-def: $vgpr118
	s_mov_b32 s7, exec_lo
	s_delay_alu instid0(VALU_DEP_2)
	v_cmpx_gt_u64_e32 0x43e00001, v[32:33]
	s_xor_b32 s41, exec_lo, s7
	s_cbranch_execz .LBB2_3606
; %bb.3597:                             ;   in Loop: Header=BB2_3533 Depth=2
	v_mov_b32_e32 v118, 0
	s_mov_b32 s42, exec_lo
	v_cmpx_ne_u32_e32 0, v82
	s_cbranch_execz .LBB2_3605
; %bb.3598:                             ;   in Loop: Header=BB2_3533 Depth=2
	v_bfe_u32 v87, v82, 23, 8
	s_delay_alu instid0(VALU_DEP_1) | instskip(SKIP_1) | instid1(VALU_DEP_2)
	v_sub_nc_u32_e32 v32, 0x79, v87
	v_cmp_gt_u32_e32 vcc_lo, 0x7a, v87
	v_cndmask_b32_e32 v32, 0, v32, vcc_lo
	v_cmp_eq_u32_e32 vcc_lo, 0, v87
	s_delay_alu instid0(VALU_DEP_2) | instskip(SKIP_1) | instid1(VALU_DEP_2)
	v_cndmask_b32_e64 v117, v32, 0x78, vcc_lo
	v_and_b32_e32 v32, 0x7fffff, v82
	v_add_nc_u32_e32 v82, 20, v117
	s_delay_alu instid0(VALU_DEP_2) | instskip(SKIP_1) | instid1(VALU_DEP_3)
	v_or_b32_e32 v84, 0x800000, v32
	v_add_nc_u32_e32 v85, 19, v117
	v_lshlrev_b64_e64 v[82:83], v82, -1
	s_delay_alu instid0(VALU_DEP_3) | instskip(NEXT) | instid1(VALU_DEP_3)
	v_cndmask_b32_e32 v32, v84, v32, vcc_lo
	v_lshlrev_b64_e64 v[84:85], v85, 1
	s_delay_alu instid0(VALU_DEP_3) | instskip(NEXT) | instid1(VALU_DEP_3)
	v_bfi_b32 v119, v83, 0, 0
	v_bfi_b32 v118, v82, 0, v32
	v_lshrrev_b64 v[82:83], v117, v[32:33]
	s_delay_alu instid0(VALU_DEP_2) | instskip(NEXT) | instid1(VALU_DEP_2)
	v_cmp_eq_u64_e64 s7, v[118:119], v[84:85]
	v_mov_b64_e32 v[84:85], v[82:83]
	s_and_saveexec_b32 s43, s7
; %bb.3599:                             ;   in Loop: Header=BB2_3533 Depth=2
	v_bfe_u32 v32, v82, 20, 1
	s_delay_alu instid0(VALU_DEP_1) | instskip(NEXT) | instid1(VALU_DEP_1)
	v_add_nc_u64_e32 v[84:85], v[82:83], v[32:33]
	v_add_nc_u64_e32 v[84:85], -1, v[84:85]
; %bb.3600:                             ;   in Loop: Header=BB2_3533 Depth=2
	s_or_b32 exec_lo, exec_lo, s43
	v_add_nc_u32_e32 v32, 0xffffff81, v87
	v_lshrrev_b32_e32 v83, 23, v82
	s_mov_b32 s7, exec_lo
	s_delay_alu instid0(VALU_DEP_2) | instskip(NEXT) | instid1(VALU_DEP_1)
	v_cndmask_b32_e64 v32, v32, 0xffffff82, vcc_lo
	v_add3_u32 v85, v117, v32, v83
	v_and_b32_e32 v32, 0xfffff, v84
                                        ; implicit-def: $vgpr84
	s_delay_alu instid0(VALU_DEP_1) | instskip(NEXT) | instid1(VALU_DEP_1)
	v_dual_add_nc_u32 v87, 6, v85 :: v_dual_add_nc_u32 v32, v32, v82
                                        ; implicit-def: $vgpr82_vgpr83
	v_cmpx_ne_u32_e32 0, v87
	s_xor_b32 s7, exec_lo, s7
; %bb.3601:                             ;   in Loop: Header=BB2_3533 Depth=2
	s_delay_alu instid0(VALU_DEP_2) | instskip(SKIP_1) | instid1(VALU_DEP_1)
	v_cmp_lt_u64_e32 vcc_lo, 0xffffff, v[32:33]
	v_add_nc_u32_e32 v82, 7, v85
	v_cndmask_b32_e32 v84, v87, v82, vcc_lo
	v_cndmask_b32_e64 v82, 0, 1, vcc_lo
	s_delay_alu instid0(VALU_DEP_1)
	v_lshrrev_b64 v[82:83], v82, v[32:33]
; %bb.3602:                             ;   in Loop: Header=BB2_3533 Depth=2
	s_and_not1_saveexec_b32 s7, s7
; %bb.3603:                             ;   in Loop: Header=BB2_3533 Depth=2
	v_mov_b64_e32 v[82:83], v[32:33]
	v_bfe_u32 v84, v32, 23, 1
; %bb.3604:                             ;   in Loop: Header=BB2_3533 Depth=2
	s_or_b32 exec_lo, exec_lo, s7
	s_delay_alu instid0(VALU_DEP_2) | instskip(NEXT) | instid1(VALU_DEP_2)
	v_lshrrev_b64 v[82:83], 20, v[82:83]
	v_cmp_gt_i32_e32 vcc_lo, 16, v84
	v_min_i32_e32 v32, 15, v84
	v_cmp_eq_u32_e64 s7, 0, v84
	s_delay_alu instid0(VALU_DEP_2) | instskip(SKIP_1) | instid1(VALU_DEP_2)
	v_dual_cndmask_b32 v83, 0, v83 :: v_dual_lshlrev_b32 v32, 3, v32
	v_cndmask_b32_e32 v82, 7, v82, vcc_lo
	v_and_b32_e32 v32, 0xf8, v32
	s_delay_alu instid0(VALU_DEP_2) | instskip(NEXT) | instid1(VALU_DEP_2)
	v_cmp_eq_u64_e32 vcc_lo, 0, v[82:83]
	v_and_or_b32 v32, v82, 7, v32
	s_and_b32 s7, s7, vcc_lo
	s_delay_alu instid0(VALU_DEP_1) | instid1(SALU_CYCLE_1)
	v_cndmask_b32_e64 v32, v32, 0, s7
	s_delay_alu instid0(VALU_DEP_1)
	v_or_b32_e32 v118, v32, v86
.LBB2_3605:                             ;   in Loop: Header=BB2_3533 Depth=2
	s_or_b32 exec_lo, exec_lo, s42
                                        ; implicit-def: $vgpr86
.LBB2_3606:                             ;   in Loop: Header=BB2_3533 Depth=2
	s_and_not1_saveexec_b32 s7, s41
; %bb.3607:                             ;   in Loop: Header=BB2_3533 Depth=2
	v_or_b32_e32 v118, 0x7e, v86
; %bb.3608:                             ;   in Loop: Header=BB2_3533 Depth=2
	s_or_b32 exec_lo, exec_lo, s7
                                        ; implicit-def: $vgpr83
.LBB2_3609:                             ;   in Loop: Header=BB2_3533 Depth=2
	s_and_not1_saveexec_b32 s7, s40
; %bb.3610:                             ;   in Loop: Header=BB2_3533 Depth=2
	v_or_b32_e32 v118, 0x7f, v83
; %bb.3611:                             ;   in Loop: Header=BB2_3533 Depth=2
	s_or_b32 exec_lo, exec_lo, s7
	v_mov_b32_e32 v32, 0
	s_mov_b32 s7, exec_lo
	v_cmpx_lt_u32_e32 0xffffff, v10
	s_cbranch_execz .LBB2_3619
; %bb.3612:                             ;   in Loop: Header=BB2_3533 Depth=2
	v_lshrrev_b32_e32 v82, 24, v10
	v_bfrev_b32_e32 v32, 1
	s_mov_b32 s40, exec_lo
	s_delay_alu instid0(VALU_DEP_2)
	v_cmpx_ne_u32_e32 0x80, v82
	s_cbranch_execz .LBB2_3618
; %bb.3613:                             ;   in Loop: Header=BB2_3533 Depth=2
	v_bfe_u32 v84, v10, 24, 7
	v_mov_b32_e32 v32, 0x7f800001
	s_mov_b32 s41, exec_lo
	s_delay_alu instid0(VALU_DEP_2)
	v_cmpx_ne_u32_e32 0x7f, v84
	s_cbranch_execz .LBB2_3617
; %bb.3614:                             ;   in Loop: Header=BB2_3533 Depth=2
	v_dual_lshrrev_b32 v83, 3, v84 :: v_dual_bitop2_b32 v32, 7, v82 bitop3:0x40
	s_mov_b32 s42, exec_lo
	v_cmpx_gt_u32_e32 8, v84
; %bb.3615:                             ;   in Loop: Header=BB2_3533 Depth=2
	s_delay_alu instid0(VALU_DEP_2) | instskip(NEXT) | instid1(VALU_DEP_1)
	v_clz_i32_u32_e32 v83, v32
	v_min_u32_e32 v83, 32, v83
	s_delay_alu instid0(VALU_DEP_1) | instskip(NEXT) | instid1(VALU_DEP_1)
	v_subrev_nc_u32_e32 v84, 28, v83
	v_lshlrev_b64_e32 v[84:85], v84, v[32:33]
	s_delay_alu instid0(VALU_DEP_1)
	v_dual_sub_nc_u32 v83, 29, v83 :: v_dual_bitop2_b32 v32, 7, v84 bitop3:0x40
; %bb.3616:                             ;   in Loop: Header=BB2_3533 Depth=2
	s_or_b32 exec_lo, exec_lo, s42
	s_delay_alu instid0(VALU_DEP_1) | instskip(NEXT) | instid1(VALU_DEP_2)
	v_dual_lshlrev_b32 v82, 24, v82 :: v_dual_lshlrev_b32 v32, 20, v32
	v_lshl_add_u32 v83, v83, 23, 0x3c000000
	s_delay_alu instid0(VALU_DEP_2) | instskip(NEXT) | instid1(VALU_DEP_1)
	v_and_b32_e32 v82, 0x80000000, v82
	v_or3_b32 v32, v32, v82, v83
.LBB2_3617:                             ;   in Loop: Header=BB2_3533 Depth=2
	s_or_b32 exec_lo, exec_lo, s41
.LBB2_3618:                             ;   in Loop: Header=BB2_3533 Depth=2
	s_delay_alu instid0(SALU_CYCLE_1)
	s_or_b32 exec_lo, exec_lo, s40
.LBB2_3619:                             ;   in Loop: Header=BB2_3533 Depth=2
	s_delay_alu instid0(SALU_CYCLE_1) | instskip(NEXT) | instid1(VALU_DEP_1)
	s_or_b32 exec_lo, exec_lo, s7
	v_mul_f32_e32 v82, s10, v32
                                        ; implicit-def: $vgpr41
	s_mov_b32 s7, exec_lo
	s_delay_alu instid0(VALU_DEP_1) | instskip(SKIP_1) | instid1(VALU_DEP_2)
	v_and_b32_e32 v32, 0x7f800000, v82
	v_lshrrev_b32_e32 v83, 24, v82
	v_cmpx_ne_u64_e32 0x7f800000, v[32:33]
	s_xor_b32 s40, exec_lo, s7
	s_cbranch_execz .LBB2_3633
; %bb.3620:                             ;   in Loop: Header=BB2_3533 Depth=2
	v_and_b32_e32 v32, 0x7fffffff, v82
	v_and_b32_e32 v86, 0x80, v83
                                        ; implicit-def: $vgpr41
	s_mov_b32 s7, exec_lo
	s_delay_alu instid0(VALU_DEP_2)
	v_cmpx_gt_u64_e32 0x43e00001, v[32:33]
	s_xor_b32 s41, exec_lo, s7
	s_cbranch_execz .LBB2_3630
; %bb.3621:                             ;   in Loop: Header=BB2_3533 Depth=2
	v_mov_b32_e32 v41, 0
	s_mov_b32 s42, exec_lo
	v_cmpx_ne_u32_e32 0, v82
	s_cbranch_execz .LBB2_3629
; %bb.3622:                             ;   in Loop: Header=BB2_3533 Depth=2
	v_bfe_u32 v87, v82, 23, 8
	s_delay_alu instid0(VALU_DEP_1) | instskip(SKIP_1) | instid1(VALU_DEP_2)
	v_sub_nc_u32_e32 v32, 0x79, v87
	v_cmp_gt_u32_e32 vcc_lo, 0x7a, v87
	v_cndmask_b32_e32 v32, 0, v32, vcc_lo
	v_cmp_eq_u32_e32 vcc_lo, 0, v87
	s_delay_alu instid0(VALU_DEP_2) | instskip(SKIP_1) | instid1(VALU_DEP_2)
	v_cndmask_b32_e64 v117, v32, 0x78, vcc_lo
	v_and_b32_e32 v32, 0x7fffff, v82
	v_add_nc_u32_e32 v82, 20, v117
	s_delay_alu instid0(VALU_DEP_2) | instskip(SKIP_1) | instid1(VALU_DEP_3)
	v_or_b32_e32 v84, 0x800000, v32
	v_add_nc_u32_e32 v85, 19, v117
	v_lshlrev_b64_e64 v[82:83], v82, -1
	s_delay_alu instid0(VALU_DEP_3) | instskip(NEXT) | instid1(VALU_DEP_3)
	v_cndmask_b32_e32 v32, v84, v32, vcc_lo
	v_lshlrev_b64_e64 v[84:85], v85, 1
	s_delay_alu instid0(VALU_DEP_3) | instskip(NEXT) | instid1(VALU_DEP_3)
	v_bfi_b32 v41, v83, 0, 0
	v_bfi_b32 v40, v82, 0, v32
	v_lshrrev_b64 v[82:83], v117, v[32:33]
	s_delay_alu instid0(VALU_DEP_2) | instskip(NEXT) | instid1(VALU_DEP_2)
	v_cmp_eq_u64_e64 s7, v[40:41], v[84:85]
	v_mov_b64_e32 v[84:85], v[82:83]
	s_and_saveexec_b32 s43, s7
; %bb.3623:                             ;   in Loop: Header=BB2_3533 Depth=2
	v_bfe_u32 v32, v82, 20, 1
	s_delay_alu instid0(VALU_DEP_1) | instskip(NEXT) | instid1(VALU_DEP_1)
	v_add_nc_u64_e32 v[84:85], v[82:83], v[32:33]
	v_add_nc_u64_e32 v[84:85], -1, v[84:85]
; %bb.3624:                             ;   in Loop: Header=BB2_3533 Depth=2
	s_or_b32 exec_lo, exec_lo, s43
	v_add_nc_u32_e32 v32, 0xffffff81, v87
	v_lshrrev_b32_e32 v83, 23, v82
	s_mov_b32 s7, exec_lo
	s_delay_alu instid0(VALU_DEP_2) | instskip(NEXT) | instid1(VALU_DEP_1)
	v_cndmask_b32_e64 v32, v32, 0xffffff82, vcc_lo
	v_add3_u32 v85, v117, v32, v83
	v_and_b32_e32 v32, 0xfffff, v84
                                        ; implicit-def: $vgpr84
	s_delay_alu instid0(VALU_DEP_1) | instskip(NEXT) | instid1(VALU_DEP_1)
	v_dual_add_nc_u32 v87, 6, v85 :: v_dual_add_nc_u32 v32, v32, v82
                                        ; implicit-def: $vgpr82_vgpr83
	v_cmpx_ne_u32_e32 0, v87
	s_xor_b32 s7, exec_lo, s7
; %bb.3625:                             ;   in Loop: Header=BB2_3533 Depth=2
	s_delay_alu instid0(VALU_DEP_2) | instskip(SKIP_1) | instid1(VALU_DEP_1)
	v_cmp_lt_u64_e32 vcc_lo, 0xffffff, v[32:33]
	v_add_nc_u32_e32 v82, 7, v85
	v_cndmask_b32_e32 v84, v87, v82, vcc_lo
	v_cndmask_b32_e64 v82, 0, 1, vcc_lo
	s_delay_alu instid0(VALU_DEP_1)
	v_lshrrev_b64 v[82:83], v82, v[32:33]
; %bb.3626:                             ;   in Loop: Header=BB2_3533 Depth=2
	s_and_not1_saveexec_b32 s7, s7
; %bb.3627:                             ;   in Loop: Header=BB2_3533 Depth=2
	v_mov_b64_e32 v[82:83], v[32:33]
	v_bfe_u32 v84, v32, 23, 1
; %bb.3628:                             ;   in Loop: Header=BB2_3533 Depth=2
	s_or_b32 exec_lo, exec_lo, s7
	s_delay_alu instid0(VALU_DEP_2) | instskip(NEXT) | instid1(VALU_DEP_2)
	v_lshrrev_b64 v[82:83], 20, v[82:83]
	v_cmp_gt_i32_e32 vcc_lo, 16, v84
	v_min_i32_e32 v32, 15, v84
	v_cmp_eq_u32_e64 s7, 0, v84
	s_delay_alu instid0(VALU_DEP_2) | instskip(SKIP_1) | instid1(VALU_DEP_2)
	v_dual_cndmask_b32 v83, 0, v83 :: v_dual_lshlrev_b32 v32, 3, v32
	v_cndmask_b32_e32 v82, 7, v82, vcc_lo
	v_and_b32_e32 v32, 0xf8, v32
	s_delay_alu instid0(VALU_DEP_2) | instskip(NEXT) | instid1(VALU_DEP_2)
	v_cmp_eq_u64_e32 vcc_lo, 0, v[82:83]
	v_and_or_b32 v32, v82, 7, v32
	s_and_b32 s7, s7, vcc_lo
	s_delay_alu instid0(VALU_DEP_1) | instid1(SALU_CYCLE_1)
	v_cndmask_b32_e64 v32, v32, 0, s7
	s_delay_alu instid0(VALU_DEP_1)
	v_or_b32_e32 v41, v32, v86
.LBB2_3629:                             ;   in Loop: Header=BB2_3533 Depth=2
	s_or_b32 exec_lo, exec_lo, s42
                                        ; implicit-def: $vgpr86
.LBB2_3630:                             ;   in Loop: Header=BB2_3533 Depth=2
	s_and_not1_saveexec_b32 s7, s41
; %bb.3631:                             ;   in Loop: Header=BB2_3533 Depth=2
	v_or_b32_e32 v41, 0x7e, v86
; %bb.3632:                             ;   in Loop: Header=BB2_3533 Depth=2
	s_or_b32 exec_lo, exec_lo, s7
                                        ; implicit-def: $vgpr83
.LBB2_3633:                             ;   in Loop: Header=BB2_3533 Depth=2
	s_and_not1_saveexec_b32 s7, s40
; %bb.3634:                             ;   in Loop: Header=BB2_3533 Depth=2
	v_or_b32_e32 v41, 0x7f, v83
; %bb.3635:                             ;   in Loop: Header=BB2_3533 Depth=2
	s_or_b32 exec_lo, exec_lo, s7
	v_and_b32_e32 v83, 0xff, v11
	v_dual_mov_b32 v32, v11 :: v_dual_mov_b32 v82, 0
	s_mov_b32 s7, exec_lo
	s_delay_alu instid0(VALU_DEP_2)
	v_cmpx_ne_u16_e32 0, v83
	s_cbranch_execz .LBB2_3641
; %bb.3636:                             ;   in Loop: Header=BB2_3533 Depth=2
	v_bfrev_b32_e32 v82, 1
	s_mov_b32 s40, exec_lo
	v_cmpx_ne_u16_e32 0x80, v83
	s_cbranch_execz .LBB2_3640
; %bb.3637:                             ;   in Loop: Header=BB2_3533 Depth=2
	v_and_b32_e32 v83, 0x7f, v11
	v_mov_b32_e32 v82, 0x7f800001
	s_mov_b32 s41, exec_lo
	s_delay_alu instid0(VALU_DEP_2)
	v_cmpx_ne_u32_e32 0x7f, v83
	s_cbranch_execz .LBB2_3639
; %bb.3638:                             ;   in Loop: Header=BB2_3533 Depth=2
	v_and_b32_e32 v82, 7, v11
	v_cmp_gt_u32_e32 vcc_lo, 8, v83
	s_delay_alu instid0(VALU_DEP_2) | instskip(NEXT) | instid1(VALU_DEP_1)
	v_clz_i32_u32_e32 v82, v82
	v_min_u32_e32 v82, 32, v82
	v_lshrrev_b32_e32 v84, 3, v83
	s_delay_alu instid0(VALU_DEP_2) | instskip(SKIP_1) | instid1(VALU_DEP_1)
	v_subrev_nc_u32_e32 v85, 28, v82
	v_sub_nc_u32_e32 v82, 29, v82
	v_dual_cndmask_b32 v84, v84, v82, vcc_lo :: v_dual_cndmask_b32 v82, 0, v85, vcc_lo
	s_delay_alu instid0(VALU_DEP_1) | instskip(NEXT) | instid1(VALU_DEP_2)
	v_lshl_add_u32 v84, v84, 23, 0x3c000000
	v_lshlrev_b64_e32 v[82:83], v82, v[32:33]
	v_lshlrev_b32_e32 v83, 24, v32
	s_delay_alu instid0(VALU_DEP_1) | instskip(NEXT) | instid1(VALU_DEP_3)
	v_and_b32_e32 v83, 0x80000000, v83
	v_lshlrev_b32_e32 v82, 20, v82
	s_delay_alu instid0(VALU_DEP_1) | instskip(NEXT) | instid1(VALU_DEP_1)
	v_and_b32_e32 v82, 0x700000, v82
	v_or3_b32 v82, v82, v83, v84
.LBB2_3639:                             ;   in Loop: Header=BB2_3533 Depth=2
	s_or_b32 exec_lo, exec_lo, s41
.LBB2_3640:                             ;   in Loop: Header=BB2_3533 Depth=2
	s_delay_alu instid0(SALU_CYCLE_1)
	s_or_b32 exec_lo, exec_lo, s40
.LBB2_3641:                             ;   in Loop: Header=BB2_3533 Depth=2
	s_delay_alu instid0(SALU_CYCLE_1) | instskip(NEXT) | instid1(VALU_DEP_1)
	s_or_b32 exec_lo, exec_lo, s7
	v_dual_mul_f32 v82, s10, v82 :: v_dual_mov_b32 v85, v33
                                        ; implicit-def: $vgpr86
	s_mov_b32 s7, exec_lo
	s_delay_alu instid0(VALU_DEP_1) | instskip(SKIP_1) | instid1(VALU_DEP_2)
	v_and_b32_e32 v84, 0x7f800000, v82
	v_lshrrev_b32_e32 v83, 24, v82
	v_cmpx_ne_u64_e32 0x7f800000, v[84:85]
	s_xor_b32 s40, exec_lo, s7
	s_cbranch_execz .LBB2_3655
; %bb.3642:                             ;   in Loop: Header=BB2_3533 Depth=2
	v_and_b32_e32 v84, 0x7fffffff, v82
	v_mov_b32_e32 v85, v33
	v_and_b32_e32 v87, 0x80, v83
                                        ; implicit-def: $vgpr86
	s_mov_b32 s7, exec_lo
	s_delay_alu instid0(VALU_DEP_2)
	v_cmpx_gt_u64_e32 0x43e00001, v[84:85]
	s_xor_b32 s41, exec_lo, s7
	s_cbranch_execz .LBB2_3652
; %bb.3643:                             ;   in Loop: Header=BB2_3533 Depth=2
	v_mov_b32_e32 v86, 0
	s_mov_b32 s42, exec_lo
	v_cmpx_ne_u32_e32 0, v82
	s_cbranch_execz .LBB2_3651
; %bb.3644:                             ;   in Loop: Header=BB2_3533 Depth=2
	v_bfe_u32 v86, v82, 23, 8
	v_and_b32_e32 v84, 0x7fffff, v82
	s_mov_b32 s43, exec_lo
	s_delay_alu instid0(VALU_DEP_2) | instskip(NEXT) | instid1(VALU_DEP_2)
	v_cmp_gt_u32_e32 vcc_lo, 0x7a, v86
	v_or_b32_e32 v85, 0x800000, v84
	v_sub_nc_u32_e32 v83, 0x79, v86
	s_delay_alu instid0(VALU_DEP_1) | instskip(SKIP_1) | instid1(VALU_DEP_2)
	v_cndmask_b32_e32 v83, 0, v83, vcc_lo
	v_cmp_eq_u32_e32 vcc_lo, 0, v86
	v_cndmask_b32_e64 v117, v83, 0x78, vcc_lo
	v_cndmask_b32_e32 v84, v85, v84, vcc_lo
	s_delay_alu instid0(VALU_DEP_2) | instskip(SKIP_1) | instid1(VALU_DEP_2)
	v_dual_mov_b32 v85, v33 :: v_dual_add_nc_u32 v119, 19, v117
	v_add_nc_u32_e32 v82, 20, v117
	v_lshlrev_b64_e64 v[42:43], v119, 1
	s_delay_alu instid0(VALU_DEP_2) | instskip(NEXT) | instid1(VALU_DEP_1)
	v_lshlrev_b64_e64 v[82:83], v82, -1
	v_bfi_b32 v45, v83, 0, 0
	s_delay_alu instid0(VALU_DEP_2) | instskip(SKIP_1) | instid1(VALU_DEP_1)
	v_bfi_b32 v44, v82, 0, v84
	v_lshrrev_b64 v[82:83], v117, v[84:85]
	v_mov_b64_e32 v[84:85], v[82:83]
	s_delay_alu instid0(VALU_DEP_3)
	v_cmpx_eq_u64_e64 v[44:45], v[42:43]
; %bb.3645:                             ;   in Loop: Header=BB2_3533 Depth=2
	v_bfe_u32 v84, v82, 20, 1
	v_mov_b32_e32 v85, v33
	s_delay_alu instid0(VALU_DEP_1) | instskip(NEXT) | instid1(VALU_DEP_1)
	v_add_nc_u64_e32 v[84:85], v[82:83], v[84:85]
	v_add_nc_u64_e32 v[84:85], -1, v[84:85]
; %bb.3646:                             ;   in Loop: Header=BB2_3533 Depth=2
	s_or_b32 exec_lo, exec_lo, s43
	v_add_nc_u32_e32 v83, 0xffffff81, v86
	v_lshrrev_b32_e32 v85, 23, v82
	s_mov_b32 s7, exec_lo
	s_delay_alu instid0(VALU_DEP_2) | instskip(NEXT) | instid1(VALU_DEP_1)
	v_cndmask_b32_e64 v83, v83, 0xffffff82, vcc_lo
	v_add3_u32 v85, v117, v83, v85
	v_and_b32_e32 v83, 0xfffff, v84
                                        ; implicit-def: $vgpr84
	s_delay_alu instid0(VALU_DEP_1) | instskip(SKIP_1) | instid1(VALU_DEP_2)
	v_dual_add_nc_u32 v86, 6, v85 :: v_dual_add_nc_u32 v82, v83, v82
	v_mov_b32_e32 v83, v33
	v_cmpx_ne_u32_e32 0, v86
	s_xor_b32 s7, exec_lo, s7
; %bb.3647:                             ;   in Loop: Header=BB2_3533 Depth=2
	s_delay_alu instid0(VALU_DEP_2) | instskip(SKIP_2) | instid1(VALU_DEP_2)
	v_cmp_lt_u64_e32 vcc_lo, 0xffffff, v[82:83]
	v_add_nc_u32_e32 v84, 7, v85
	v_cndmask_b32_e64 v85, 0, 1, vcc_lo
	v_cndmask_b32_e32 v84, v86, v84, vcc_lo
	s_delay_alu instid0(VALU_DEP_2)
	v_lshrrev_b64 v[82:83], v85, v[82:83]
; %bb.3648:                             ;   in Loop: Header=BB2_3533 Depth=2
	s_and_not1_saveexec_b32 s7, s7
; %bb.3649:                             ;   in Loop: Header=BB2_3533 Depth=2
	s_delay_alu instid0(VALU_DEP_1)
	v_bfe_u32 v84, v82, 23, 1
; %bb.3650:                             ;   in Loop: Header=BB2_3533 Depth=2
	s_or_b32 exec_lo, exec_lo, s7
	s_delay_alu instid0(VALU_DEP_2) | instskip(NEXT) | instid1(VALU_DEP_2)
	v_lshrrev_b64 v[82:83], 20, v[82:83]
	v_cmp_gt_i32_e32 vcc_lo, 16, v84
	v_min_i32_e32 v85, 15, v84
	v_cmp_eq_u32_e64 s7, 0, v84
	s_delay_alu instid0(VALU_DEP_2) | instskip(SKIP_1) | instid1(VALU_DEP_2)
	v_dual_cndmask_b32 v83, 0, v83, vcc_lo :: v_dual_lshlrev_b32 v85, 3, v85
	v_cndmask_b32_e32 v82, 7, v82, vcc_lo
	v_and_b32_e32 v85, 0xf8, v85
	s_delay_alu instid0(VALU_DEP_2) | instskip(NEXT) | instid1(VALU_DEP_2)
	v_cmp_eq_u64_e32 vcc_lo, 0, v[82:83]
	v_and_or_b32 v82, v82, 7, v85
	s_and_b32 s7, s7, vcc_lo
	s_delay_alu instid0(VALU_DEP_1) | instid1(SALU_CYCLE_1)
	v_cndmask_b32_e64 v82, v82, 0, s7
	s_delay_alu instid0(VALU_DEP_1)
	v_or_b32_e32 v86, v82, v87
.LBB2_3651:                             ;   in Loop: Header=BB2_3533 Depth=2
	s_or_b32 exec_lo, exec_lo, s42
                                        ; implicit-def: $vgpr87
.LBB2_3652:                             ;   in Loop: Header=BB2_3533 Depth=2
	s_and_not1_saveexec_b32 s7, s41
; %bb.3653:                             ;   in Loop: Header=BB2_3533 Depth=2
	v_or_b32_e32 v86, 0x7e, v87
; %bb.3654:                             ;   in Loop: Header=BB2_3533 Depth=2
	s_or_b32 exec_lo, exec_lo, s7
                                        ; implicit-def: $vgpr83
.LBB2_3655:                             ;   in Loop: Header=BB2_3533 Depth=2
	s_and_not1_saveexec_b32 s7, s40
; %bb.3656:                             ;   in Loop: Header=BB2_3533 Depth=2
	v_or_b32_e32 v86, 0x7f, v83
; %bb.3657:                             ;   in Loop: Header=BB2_3533 Depth=2
	s_or_b32 exec_lo, exec_lo, s7
	v_lshrrev_b16 v83, 8, v32
	v_mov_b32_e32 v82, 0
	s_mov_b32 s7, exec_lo
	s_delay_alu instid0(VALU_DEP_2)
	v_cmpx_ne_u16_e32 0, v83
	s_cbranch_execz .LBB2_3665
; %bb.3658:                             ;   in Loop: Header=BB2_3533 Depth=2
	v_bfrev_b32_e32 v82, 1
	s_mov_b32 s40, exec_lo
	v_cmpx_ne_u16_e32 0x80, v83
	s_cbranch_execz .LBB2_3664
; %bb.3659:                             ;   in Loop: Header=BB2_3533 Depth=2
	v_and_b32_e32 v83, 0xffff, v83
	v_mov_b32_e32 v82, 0x7f800001
	s_mov_b32 s41, exec_lo
	s_delay_alu instid0(VALU_DEP_2) | instskip(NEXT) | instid1(VALU_DEP_1)
	v_and_b32_e32 v85, 0x7f, v83
	v_cmpx_ne_u32_e32 0x7f, v85
	s_cbranch_execz .LBB2_3663
; %bb.3660:                             ;   in Loop: Header=BB2_3533 Depth=2
	v_dual_mov_b32 v83, v33 :: v_dual_bitop2_b32 v82, 7, v83 bitop3:0x40
	v_lshrrev_b32_e32 v84, 3, v85
	s_mov_b32 s42, exec_lo
	v_cmpx_gt_u32_e32 8, v85
; %bb.3661:                             ;   in Loop: Header=BB2_3533 Depth=2
	s_delay_alu instid0(VALU_DEP_3) | instskip(NEXT) | instid1(VALU_DEP_1)
	v_clz_i32_u32_e32 v84, v82
	v_min_u32_e32 v84, 32, v84
	s_delay_alu instid0(VALU_DEP_1) | instskip(NEXT) | instid1(VALU_DEP_1)
	v_subrev_nc_u32_e32 v85, 28, v84
	v_lshlrev_b64_e32 v[82:83], v85, v[82:83]
	s_delay_alu instid0(VALU_DEP_1)
	v_dual_sub_nc_u32 v84, 29, v84 :: v_dual_bitop2_b32 v82, 7, v82 bitop3:0x40
; %bb.3662:                             ;   in Loop: Header=BB2_3533 Depth=2
	s_or_b32 exec_lo, exec_lo, s42
	s_delay_alu instid0(VALU_DEP_1) | instskip(NEXT) | instid1(VALU_DEP_2)
	v_dual_lshlrev_b32 v32, 16, v32 :: v_dual_lshlrev_b32 v82, 20, v82
	v_lshl_add_u32 v83, v84, 23, 0x3c000000
	s_delay_alu instid0(VALU_DEP_2) | instskip(NEXT) | instid1(VALU_DEP_1)
	v_and_b32_e32 v32, 0x80000000, v32
	v_or3_b32 v82, v82, v32, v83
.LBB2_3663:                             ;   in Loop: Header=BB2_3533 Depth=2
	s_or_b32 exec_lo, exec_lo, s41
.LBB2_3664:                             ;   in Loop: Header=BB2_3533 Depth=2
	s_delay_alu instid0(SALU_CYCLE_1)
	s_or_b32 exec_lo, exec_lo, s40
.LBB2_3665:                             ;   in Loop: Header=BB2_3533 Depth=2
	s_delay_alu instid0(SALU_CYCLE_1) | instskip(NEXT) | instid1(VALU_DEP_1)
	s_or_b32 exec_lo, exec_lo, s7
	v_mul_f32_e32 v82, s10, v82
                                        ; implicit-def: $vgpr87
	s_mov_b32 s7, exec_lo
	s_delay_alu instid0(VALU_DEP_1) | instskip(SKIP_1) | instid1(VALU_DEP_2)
	v_and_b32_e32 v32, 0x7f800000, v82
	v_lshrrev_b32_e32 v83, 24, v82
	v_cmpx_ne_u64_e32 0x7f800000, v[32:33]
	s_xor_b32 s40, exec_lo, s7
	s_cbranch_execz .LBB2_3679
; %bb.3666:                             ;   in Loop: Header=BB2_3533 Depth=2
	v_and_b32_e32 v32, 0x7fffffff, v82
	v_and_b32_e32 v117, 0x80, v83
                                        ; implicit-def: $vgpr87
	s_mov_b32 s7, exec_lo
	s_delay_alu instid0(VALU_DEP_2)
	v_cmpx_gt_u64_e32 0x43e00001, v[32:33]
	s_xor_b32 s41, exec_lo, s7
	s_cbranch_execz .LBB2_3676
; %bb.3667:                             ;   in Loop: Header=BB2_3533 Depth=2
	v_mov_b32_e32 v87, 0
	s_mov_b32 s42, exec_lo
	v_cmpx_ne_u32_e32 0, v82
	s_cbranch_execz .LBB2_3675
; %bb.3668:                             ;   in Loop: Header=BB2_3533 Depth=2
	v_bfe_u32 v87, v82, 23, 8
	s_delay_alu instid0(VALU_DEP_1) | instskip(SKIP_1) | instid1(VALU_DEP_2)
	v_sub_nc_u32_e32 v32, 0x79, v87
	v_cmp_gt_u32_e32 vcc_lo, 0x7a, v87
	v_cndmask_b32_e32 v32, 0, v32, vcc_lo
	v_cmp_eq_u32_e32 vcc_lo, 0, v87
	s_delay_alu instid0(VALU_DEP_2) | instskip(SKIP_1) | instid1(VALU_DEP_2)
	v_cndmask_b32_e64 v119, v32, 0x78, vcc_lo
	v_and_b32_e32 v32, 0x7fffff, v82
	v_add_nc_u32_e32 v82, 20, v119
	s_delay_alu instid0(VALU_DEP_2) | instskip(SKIP_1) | instid1(VALU_DEP_3)
	v_or_b32_e32 v84, 0x800000, v32
	v_add_nc_u32_e32 v85, 19, v119
	v_lshlrev_b64_e64 v[82:83], v82, -1
	s_delay_alu instid0(VALU_DEP_3) | instskip(NEXT) | instid1(VALU_DEP_3)
	v_cndmask_b32_e32 v32, v84, v32, vcc_lo
	v_lshlrev_b64_e64 v[84:85], v85, 1
	s_delay_alu instid0(VALU_DEP_3) | instskip(NEXT) | instid1(VALU_DEP_3)
	v_bfi_b32 v43, v83, 0, 0
	v_bfi_b32 v42, v82, 0, v32
	v_lshrrev_b64 v[82:83], v119, v[32:33]
	s_delay_alu instid0(VALU_DEP_2) | instskip(NEXT) | instid1(VALU_DEP_2)
	v_cmp_eq_u64_e64 s7, v[42:43], v[84:85]
	v_mov_b64_e32 v[84:85], v[82:83]
	s_and_saveexec_b32 s43, s7
; %bb.3669:                             ;   in Loop: Header=BB2_3533 Depth=2
	v_bfe_u32 v32, v82, 20, 1
	s_delay_alu instid0(VALU_DEP_1) | instskip(NEXT) | instid1(VALU_DEP_1)
	v_add_nc_u64_e32 v[84:85], v[82:83], v[32:33]
	v_add_nc_u64_e32 v[84:85], -1, v[84:85]
; %bb.3670:                             ;   in Loop: Header=BB2_3533 Depth=2
	s_or_b32 exec_lo, exec_lo, s43
	v_add_nc_u32_e32 v32, 0xffffff81, v87
	v_lshrrev_b32_e32 v83, 23, v82
	s_mov_b32 s7, exec_lo
	s_delay_alu instid0(VALU_DEP_2) | instskip(NEXT) | instid1(VALU_DEP_1)
	v_cndmask_b32_e64 v32, v32, 0xffffff82, vcc_lo
	v_add3_u32 v85, v119, v32, v83
	v_and_b32_e32 v32, 0xfffff, v84
                                        ; implicit-def: $vgpr84
	s_delay_alu instid0(VALU_DEP_1) | instskip(NEXT) | instid1(VALU_DEP_1)
	v_dual_add_nc_u32 v87, 6, v85 :: v_dual_add_nc_u32 v32, v32, v82
                                        ; implicit-def: $vgpr82_vgpr83
	v_cmpx_ne_u32_e32 0, v87
	s_xor_b32 s7, exec_lo, s7
; %bb.3671:                             ;   in Loop: Header=BB2_3533 Depth=2
	s_delay_alu instid0(VALU_DEP_2) | instskip(SKIP_1) | instid1(VALU_DEP_1)
	v_cmp_lt_u64_e32 vcc_lo, 0xffffff, v[32:33]
	v_add_nc_u32_e32 v82, 7, v85
	v_cndmask_b32_e32 v84, v87, v82, vcc_lo
	v_cndmask_b32_e64 v82, 0, 1, vcc_lo
	s_delay_alu instid0(VALU_DEP_1)
	v_lshrrev_b64 v[82:83], v82, v[32:33]
; %bb.3672:                             ;   in Loop: Header=BB2_3533 Depth=2
	s_and_not1_saveexec_b32 s7, s7
; %bb.3673:                             ;   in Loop: Header=BB2_3533 Depth=2
	v_mov_b64_e32 v[82:83], v[32:33]
	v_bfe_u32 v84, v32, 23, 1
; %bb.3674:                             ;   in Loop: Header=BB2_3533 Depth=2
	s_or_b32 exec_lo, exec_lo, s7
	s_delay_alu instid0(VALU_DEP_2) | instskip(NEXT) | instid1(VALU_DEP_2)
	v_lshrrev_b64 v[82:83], 20, v[82:83]
	v_cmp_gt_i32_e32 vcc_lo, 16, v84
	v_min_i32_e32 v32, 15, v84
	v_cmp_eq_u32_e64 s7, 0, v84
	s_delay_alu instid0(VALU_DEP_2) | instskip(SKIP_1) | instid1(VALU_DEP_2)
	v_dual_cndmask_b32 v83, 0, v83 :: v_dual_lshlrev_b32 v32, 3, v32
	v_cndmask_b32_e32 v82, 7, v82, vcc_lo
	v_and_b32_e32 v32, 0xf8, v32
	s_delay_alu instid0(VALU_DEP_2) | instskip(NEXT) | instid1(VALU_DEP_2)
	v_cmp_eq_u64_e32 vcc_lo, 0, v[82:83]
	v_and_or_b32 v32, v82, 7, v32
	s_and_b32 s7, s7, vcc_lo
	s_delay_alu instid0(VALU_DEP_1) | instid1(SALU_CYCLE_1)
	v_cndmask_b32_e64 v32, v32, 0, s7
	s_delay_alu instid0(VALU_DEP_1)
	v_or_b32_e32 v87, v32, v117
.LBB2_3675:                             ;   in Loop: Header=BB2_3533 Depth=2
	s_or_b32 exec_lo, exec_lo, s42
                                        ; implicit-def: $vgpr117
.LBB2_3676:                             ;   in Loop: Header=BB2_3533 Depth=2
	s_and_not1_saveexec_b32 s7, s41
; %bb.3677:                             ;   in Loop: Header=BB2_3533 Depth=2
	v_or_b32_e32 v87, 0x7e, v117
; %bb.3678:                             ;   in Loop: Header=BB2_3533 Depth=2
	s_or_b32 exec_lo, exec_lo, s7
                                        ; implicit-def: $vgpr83
.LBB2_3679:                             ;   in Loop: Header=BB2_3533 Depth=2
	s_and_not1_saveexec_b32 s7, s40
; %bb.3680:                             ;   in Loop: Header=BB2_3533 Depth=2
	v_or_b32_e32 v87, 0x7f, v83
; %bb.3681:                             ;   in Loop: Header=BB2_3533 Depth=2
	s_or_b32 exec_lo, exec_lo, s7
	v_dual_lshrrev_b32 v82, 16, v11 :: v_dual_mov_b32 v32, 0
	s_mov_b32 s7, exec_lo
	s_delay_alu instid0(VALU_DEP_1) | instskip(NEXT) | instid1(VALU_DEP_1)
	v_and_b32_e32 v83, 0xff, v82
	v_cmpx_ne_u16_e32 0, v83
	s_cbranch_execz .LBB2_3689
; %bb.3682:                             ;   in Loop: Header=BB2_3533 Depth=2
	v_bfrev_b32_e32 v32, 1
	s_mov_b32 s40, exec_lo
	v_cmpx_ne_u16_e32 0x80, v83
	s_cbranch_execz .LBB2_3688
; %bb.3683:                             ;   in Loop: Header=BB2_3533 Depth=2
	v_bfe_u32 v84, v11, 16, 7
	v_mov_b32_e32 v32, 0x7f800001
	s_mov_b32 s41, exec_lo
	s_delay_alu instid0(VALU_DEP_2)
	v_cmpx_ne_u32_e32 0x7f, v84
	s_cbranch_execz .LBB2_3687
; %bb.3684:                             ;   in Loop: Header=BB2_3533 Depth=2
	v_dual_lshrrev_b32 v83, 3, v84 :: v_dual_bitop2_b32 v32, 7, v82 bitop3:0x40
	s_mov_b32 s42, exec_lo
	v_cmpx_gt_u32_e32 8, v84
; %bb.3685:                             ;   in Loop: Header=BB2_3533 Depth=2
	s_delay_alu instid0(VALU_DEP_2) | instskip(NEXT) | instid1(VALU_DEP_1)
	v_clz_i32_u32_e32 v83, v32
	v_min_u32_e32 v83, 32, v83
	s_delay_alu instid0(VALU_DEP_1) | instskip(NEXT) | instid1(VALU_DEP_1)
	v_subrev_nc_u32_e32 v84, 28, v83
	v_lshlrev_b64_e32 v[84:85], v84, v[32:33]
	s_delay_alu instid0(VALU_DEP_1)
	v_dual_sub_nc_u32 v83, 29, v83 :: v_dual_bitop2_b32 v32, 7, v84 bitop3:0x40
; %bb.3686:                             ;   in Loop: Header=BB2_3533 Depth=2
	s_or_b32 exec_lo, exec_lo, s42
	s_delay_alu instid0(VALU_DEP_1) | instskip(NEXT) | instid1(VALU_DEP_2)
	v_dual_lshlrev_b32 v82, 24, v82 :: v_dual_lshlrev_b32 v32, 20, v32
	v_lshl_add_u32 v83, v83, 23, 0x3c000000
	s_delay_alu instid0(VALU_DEP_2) | instskip(NEXT) | instid1(VALU_DEP_1)
	v_and_b32_e32 v82, 0x80000000, v82
	v_or3_b32 v32, v32, v82, v83
.LBB2_3687:                             ;   in Loop: Header=BB2_3533 Depth=2
	s_or_b32 exec_lo, exec_lo, s41
.LBB2_3688:                             ;   in Loop: Header=BB2_3533 Depth=2
	s_delay_alu instid0(SALU_CYCLE_1)
	s_or_b32 exec_lo, exec_lo, s40
.LBB2_3689:                             ;   in Loop: Header=BB2_3533 Depth=2
	s_delay_alu instid0(SALU_CYCLE_1) | instskip(NEXT) | instid1(VALU_DEP_1)
	s_or_b32 exec_lo, exec_lo, s7
	v_mul_f32_e32 v82, s10, v32
                                        ; implicit-def: $vgpr56
	s_mov_b32 s7, exec_lo
	s_delay_alu instid0(VALU_DEP_1) | instskip(SKIP_1) | instid1(VALU_DEP_2)
	v_and_b32_e32 v32, 0x7f800000, v82
	v_lshrrev_b32_e32 v83, 24, v82
	v_cmpx_ne_u64_e32 0x7f800000, v[32:33]
	s_xor_b32 s40, exec_lo, s7
	s_cbranch_execz .LBB2_3703
; %bb.3690:                             ;   in Loop: Header=BB2_3533 Depth=2
	v_and_b32_e32 v32, 0x7fffffff, v82
	v_and_b32_e32 v117, 0x80, v83
                                        ; implicit-def: $vgpr56
	s_mov_b32 s7, exec_lo
	s_delay_alu instid0(VALU_DEP_2)
	v_cmpx_gt_u64_e32 0x43e00001, v[32:33]
	s_xor_b32 s41, exec_lo, s7
	s_cbranch_execz .LBB2_3700
; %bb.3691:                             ;   in Loop: Header=BB2_3533 Depth=2
	v_mov_b32_e32 v56, 0
	s_mov_b32 s42, exec_lo
	v_cmpx_ne_u32_e32 0, v82
	s_cbranch_execz .LBB2_3699
; %bb.3692:                             ;   in Loop: Header=BB2_3533 Depth=2
	v_bfe_u32 v119, v82, 23, 8
	s_delay_alu instid0(VALU_DEP_1) | instskip(SKIP_1) | instid1(VALU_DEP_2)
	v_sub_nc_u32_e32 v32, 0x79, v119
	v_cmp_gt_u32_e32 vcc_lo, 0x7a, v119
	v_cndmask_b32_e32 v32, 0, v32, vcc_lo
	v_cmp_eq_u32_e32 vcc_lo, 0, v119
	s_delay_alu instid0(VALU_DEP_2) | instskip(SKIP_1) | instid1(VALU_DEP_2)
	v_cndmask_b32_e64 v40, v32, 0x78, vcc_lo
	v_and_b32_e32 v32, 0x7fffff, v82
	v_dual_add_nc_u32 v82, 20, v40 :: v_dual_add_nc_u32 v85, 19, v40
	s_delay_alu instid0(VALU_DEP_2) | instskip(NEXT) | instid1(VALU_DEP_2)
	v_or_b32_e32 v84, 0x800000, v32
	v_lshlrev_b64_e64 v[82:83], v82, -1
	s_delay_alu instid0(VALU_DEP_2) | instskip(NEXT) | instid1(VALU_DEP_4)
	v_cndmask_b32_e32 v32, v84, v32, vcc_lo
	v_lshlrev_b64_e64 v[84:85], v85, 1
	s_delay_alu instid0(VALU_DEP_3) | instskip(NEXT) | instid1(VALU_DEP_3)
	v_bfi_b32 v43, v83, 0, 0
	v_bfi_b32 v42, v82, 0, v32
	v_lshrrev_b64 v[82:83], v40, v[32:33]
	s_delay_alu instid0(VALU_DEP_2) | instskip(NEXT) | instid1(VALU_DEP_2)
	v_cmp_eq_u64_e64 s7, v[42:43], v[84:85]
	v_mov_b64_e32 v[84:85], v[82:83]
	s_and_saveexec_b32 s43, s7
; %bb.3693:                             ;   in Loop: Header=BB2_3533 Depth=2
	v_bfe_u32 v32, v82, 20, 1
	s_delay_alu instid0(VALU_DEP_1) | instskip(NEXT) | instid1(VALU_DEP_1)
	v_add_nc_u64_e32 v[84:85], v[82:83], v[32:33]
	v_add_nc_u64_e32 v[84:85], -1, v[84:85]
; %bb.3694:                             ;   in Loop: Header=BB2_3533 Depth=2
	s_or_b32 exec_lo, exec_lo, s43
	v_add_nc_u32_e32 v32, 0xffffff81, v119
	v_lshrrev_b32_e32 v83, 23, v82
	s_mov_b32 s7, exec_lo
	s_delay_alu instid0(VALU_DEP_2) | instskip(NEXT) | instid1(VALU_DEP_1)
	v_cndmask_b32_e64 v32, v32, 0xffffff82, vcc_lo
	v_add3_u32 v85, v40, v32, v83
	v_and_b32_e32 v32, 0xfffff, v84
                                        ; implicit-def: $vgpr84
	s_delay_alu instid0(VALU_DEP_1) | instskip(NEXT) | instid1(VALU_DEP_1)
	v_dual_add_nc_u32 v119, 6, v85 :: v_dual_add_nc_u32 v32, v32, v82
                                        ; implicit-def: $vgpr82_vgpr83
	v_cmpx_ne_u32_e32 0, v119
	s_xor_b32 s7, exec_lo, s7
; %bb.3695:                             ;   in Loop: Header=BB2_3533 Depth=2
	s_delay_alu instid0(VALU_DEP_2) | instskip(SKIP_1) | instid1(VALU_DEP_1)
	v_cmp_lt_u64_e32 vcc_lo, 0xffffff, v[32:33]
	v_add_nc_u32_e32 v82, 7, v85
	v_cndmask_b32_e32 v84, v119, v82, vcc_lo
	v_cndmask_b32_e64 v82, 0, 1, vcc_lo
	s_delay_alu instid0(VALU_DEP_1)
	v_lshrrev_b64 v[82:83], v82, v[32:33]
; %bb.3696:                             ;   in Loop: Header=BB2_3533 Depth=2
	s_and_not1_saveexec_b32 s7, s7
; %bb.3697:                             ;   in Loop: Header=BB2_3533 Depth=2
	v_mov_b64_e32 v[82:83], v[32:33]
	v_bfe_u32 v84, v32, 23, 1
; %bb.3698:                             ;   in Loop: Header=BB2_3533 Depth=2
	s_or_b32 exec_lo, exec_lo, s7
	s_delay_alu instid0(VALU_DEP_2) | instskip(NEXT) | instid1(VALU_DEP_2)
	v_lshrrev_b64 v[82:83], 20, v[82:83]
	v_cmp_gt_i32_e32 vcc_lo, 16, v84
	v_min_i32_e32 v32, 15, v84
	v_cmp_eq_u32_e64 s7, 0, v84
	s_delay_alu instid0(VALU_DEP_2) | instskip(SKIP_1) | instid1(VALU_DEP_2)
	v_dual_cndmask_b32 v83, 0, v83 :: v_dual_lshlrev_b32 v32, 3, v32
	v_cndmask_b32_e32 v82, 7, v82, vcc_lo
	v_and_b32_e32 v32, 0xf8, v32
	s_delay_alu instid0(VALU_DEP_2) | instskip(NEXT) | instid1(VALU_DEP_2)
	v_cmp_eq_u64_e32 vcc_lo, 0, v[82:83]
	v_and_or_b32 v32, v82, 7, v32
	s_and_b32 s7, s7, vcc_lo
	s_delay_alu instid0(VALU_DEP_1) | instid1(SALU_CYCLE_1)
	v_cndmask_b32_e64 v32, v32, 0, s7
	s_delay_alu instid0(VALU_DEP_1)
	v_or_b32_e32 v56, v32, v117
.LBB2_3699:                             ;   in Loop: Header=BB2_3533 Depth=2
	s_or_b32 exec_lo, exec_lo, s42
                                        ; implicit-def: $vgpr117
.LBB2_3700:                             ;   in Loop: Header=BB2_3533 Depth=2
	s_and_not1_saveexec_b32 s7, s41
; %bb.3701:                             ;   in Loop: Header=BB2_3533 Depth=2
	v_or_b32_e32 v56, 0x7e, v117
; %bb.3702:                             ;   in Loop: Header=BB2_3533 Depth=2
	s_or_b32 exec_lo, exec_lo, s7
                                        ; implicit-def: $vgpr83
.LBB2_3703:                             ;   in Loop: Header=BB2_3533 Depth=2
	s_and_not1_saveexec_b32 s7, s40
; %bb.3704:                             ;   in Loop: Header=BB2_3533 Depth=2
	v_or_b32_e32 v56, 0x7f, v83
; %bb.3705:                             ;   in Loop: Header=BB2_3533 Depth=2
	s_or_b32 exec_lo, exec_lo, s7
	v_mov_b32_e32 v32, 0
	s_mov_b32 s7, exec_lo
	v_cmpx_lt_u64_e64 s[12:13], v[10:11]
	s_cbranch_execz .LBB2_3713
; %bb.3706:                             ;   in Loop: Header=BB2_3533 Depth=2
	v_lshrrev_b32_e32 v10, 24, v11
	v_bfrev_b32_e32 v32, 1
	s_mov_b32 s40, exec_lo
	s_delay_alu instid0(VALU_DEP_2)
	v_cmpx_ne_u32_e32 0x80, v10
	s_cbranch_execz .LBB2_3712
; %bb.3707:                             ;   in Loop: Header=BB2_3533 Depth=2
	v_bfe_u32 v82, v11, 24, 7
	v_mov_b32_e32 v32, 0x7f800001
	s_mov_b32 s41, exec_lo
	s_delay_alu instid0(VALU_DEP_2)
	v_cmpx_ne_u32_e32 0x7f, v82
	s_cbranch_execz .LBB2_3711
; %bb.3708:                             ;   in Loop: Header=BB2_3533 Depth=2
	v_and_b32_e32 v32, 7, v10
	v_lshrrev_b32_e32 v11, 3, v82
	s_mov_b32 s42, exec_lo
	v_cmpx_gt_u32_e32 8, v82
; %bb.3709:                             ;   in Loop: Header=BB2_3533 Depth=2
	s_delay_alu instid0(VALU_DEP_3) | instskip(NEXT) | instid1(VALU_DEP_1)
	v_clz_i32_u32_e32 v11, v32
	v_min_u32_e32 v11, 32, v11
	s_delay_alu instid0(VALU_DEP_1) | instskip(NEXT) | instid1(VALU_DEP_1)
	v_subrev_nc_u32_e32 v82, 28, v11
	v_lshlrev_b64_e32 v[82:83], v82, v[32:33]
	s_delay_alu instid0(VALU_DEP_1)
	v_dual_sub_nc_u32 v11, 29, v11 :: v_dual_bitop2_b32 v32, 7, v82 bitop3:0x40
; %bb.3710:                             ;   in Loop: Header=BB2_3533 Depth=2
	s_or_b32 exec_lo, exec_lo, s42
	s_delay_alu instid0(VALU_DEP_1) | instskip(NEXT) | instid1(VALU_DEP_2)
	v_dual_lshlrev_b32 v10, 24, v10 :: v_dual_lshlrev_b32 v32, 20, v32
	v_lshl_add_u32 v11, v11, 23, 0x3c000000
	s_delay_alu instid0(VALU_DEP_2) | instskip(NEXT) | instid1(VALU_DEP_1)
	v_and_b32_e32 v10, 0x80000000, v10
	v_or3_b32 v32, v32, v10, v11
.LBB2_3711:                             ;   in Loop: Header=BB2_3533 Depth=2
	s_or_b32 exec_lo, exec_lo, s41
.LBB2_3712:                             ;   in Loop: Header=BB2_3533 Depth=2
	s_delay_alu instid0(SALU_CYCLE_1)
	s_or_b32 exec_lo, exec_lo, s40
.LBB2_3713:                             ;   in Loop: Header=BB2_3533 Depth=2
	s_delay_alu instid0(SALU_CYCLE_1) | instskip(NEXT) | instid1(VALU_DEP_1)
	s_or_b32 exec_lo, exec_lo, s7
	v_mul_f32_e32 v10, s10, v32
                                        ; implicit-def: $vgpr57
	s_mov_b32 s7, exec_lo
	s_delay_alu instid0(VALU_DEP_1) | instskip(SKIP_1) | instid1(VALU_DEP_2)
	v_and_b32_e32 v32, 0x7f800000, v10
	v_lshrrev_b32_e32 v11, 24, v10
	v_cmpx_ne_u64_e32 0x7f800000, v[32:33]
	s_xor_b32 s40, exec_lo, s7
	s_cbranch_execz .LBB2_3727
; %bb.3714:                             ;   in Loop: Header=BB2_3533 Depth=2
	v_and_b32_e32 v32, 0x7fffffff, v10
	v_and_b32_e32 v84, 0x80, v11
                                        ; implicit-def: $vgpr57
	s_mov_b32 s7, exec_lo
	s_delay_alu instid0(VALU_DEP_2)
	v_cmpx_gt_u64_e32 0x43e00001, v[32:33]
	s_xor_b32 s41, exec_lo, s7
	s_cbranch_execz .LBB2_3724
; %bb.3715:                             ;   in Loop: Header=BB2_3533 Depth=2
	v_mov_b32_e32 v57, 0
	s_mov_b32 s42, exec_lo
	v_cmpx_ne_u32_e32 0, v10
	s_cbranch_execz .LBB2_3723
; %bb.3716:                             ;   in Loop: Header=BB2_3533 Depth=2
	v_bfe_u32 v85, v10, 23, 8
	v_and_b32_e32 v32, 0x7fffff, v10
	s_delay_alu instid0(VALU_DEP_2) | instskip(NEXT) | instid1(VALU_DEP_2)
	v_cmp_gt_u32_e32 vcc_lo, 0x7a, v85
	v_or_b32_e32 v82, 0x800000, v32
	v_sub_nc_u32_e32 v11, 0x79, v85
	s_delay_alu instid0(VALU_DEP_1) | instskip(SKIP_1) | instid1(VALU_DEP_2)
	v_cndmask_b32_e32 v11, 0, v11, vcc_lo
	v_cmp_eq_u32_e32 vcc_lo, 0, v85
	v_cndmask_b32_e64 v117, v11, 0x78, vcc_lo
	s_delay_alu instid0(VALU_DEP_1) | instskip(SKIP_1) | instid1(VALU_DEP_2)
	v_dual_cndmask_b32 v32, v82, v32, vcc_lo :: v_dual_add_nc_u32 v10, 20, v117
	v_add_nc_u32_e32 v83, 19, v117
	v_lshlrev_b64_e64 v[10:11], v10, -1
	s_delay_alu instid0(VALU_DEP_2) | instskip(NEXT) | instid1(VALU_DEP_2)
	v_lshlrev_b64_e64 v[82:83], v83, 1
	v_bfi_b32 v43, v11, 0, 0
	s_delay_alu instid0(VALU_DEP_3) | instskip(SKIP_1) | instid1(VALU_DEP_2)
	v_bfi_b32 v42, v10, 0, v32
	v_lshrrev_b64 v[10:11], v117, v[32:33]
	v_cmp_eq_u64_e64 s7, v[42:43], v[82:83]
	s_delay_alu instid0(VALU_DEP_2)
	v_mov_b64_e32 v[82:83], v[10:11]
	s_and_saveexec_b32 s43, s7
; %bb.3717:                             ;   in Loop: Header=BB2_3533 Depth=2
	v_bfe_u32 v32, v10, 20, 1
	s_delay_alu instid0(VALU_DEP_1) | instskip(NEXT) | instid1(VALU_DEP_1)
	v_add_nc_u64_e32 v[82:83], v[10:11], v[32:33]
	v_add_nc_u64_e32 v[82:83], -1, v[82:83]
; %bb.3718:                             ;   in Loop: Header=BB2_3533 Depth=2
	s_or_b32 exec_lo, exec_lo, s43
	v_add_nc_u32_e32 v11, 0xffffff81, v85
	v_lshrrev_b32_e32 v32, 23, v10
	s_mov_b32 s7, exec_lo
	s_delay_alu instid0(VALU_DEP_2) | instskip(NEXT) | instid1(VALU_DEP_1)
	v_cndmask_b32_e64 v11, v11, 0xffffff82, vcc_lo
	v_add3_u32 v83, v117, v11, v32
	v_and_b32_e32 v11, 0xfffff, v82
                                        ; implicit-def: $vgpr82
	s_delay_alu instid0(VALU_DEP_1) | instskip(NEXT) | instid1(VALU_DEP_1)
	v_dual_add_nc_u32 v85, 6, v83 :: v_dual_add_nc_u32 v32, v11, v10
                                        ; implicit-def: $vgpr10_vgpr11
	v_cmpx_ne_u32_e32 0, v85
	s_xor_b32 s7, exec_lo, s7
; %bb.3719:                             ;   in Loop: Header=BB2_3533 Depth=2
	s_delay_alu instid0(VALU_DEP_2) | instskip(SKIP_1) | instid1(VALU_DEP_1)
	v_cmp_lt_u64_e32 vcc_lo, 0xffffff, v[32:33]
	v_add_nc_u32_e32 v10, 7, v83
	v_cndmask_b32_e32 v82, v85, v10, vcc_lo
	v_cndmask_b32_e64 v10, 0, 1, vcc_lo
	s_delay_alu instid0(VALU_DEP_1)
	v_lshrrev_b64 v[10:11], v10, v[32:33]
; %bb.3720:                             ;   in Loop: Header=BB2_3533 Depth=2
	s_and_not1_saveexec_b32 s7, s7
; %bb.3721:                             ;   in Loop: Header=BB2_3533 Depth=2
	v_mov_b64_e32 v[10:11], v[32:33]
	v_bfe_u32 v82, v32, 23, 1
; %bb.3722:                             ;   in Loop: Header=BB2_3533 Depth=2
	s_or_b32 exec_lo, exec_lo, s7
	s_delay_alu instid0(VALU_DEP_2) | instskip(NEXT) | instid1(VALU_DEP_2)
	v_lshrrev_b64 v[10:11], 20, v[10:11]
	v_cmp_gt_i32_e32 vcc_lo, 16, v82
	v_min_i32_e32 v32, 15, v82
	v_cmp_eq_u32_e64 s7, 0, v82
	s_delay_alu instid0(VALU_DEP_2) | instskip(SKIP_1) | instid1(VALU_DEP_2)
	v_dual_cndmask_b32 v11, 0, v11 :: v_dual_lshlrev_b32 v32, 3, v32
	v_cndmask_b32_e32 v10, 7, v10, vcc_lo
	v_and_b32_e32 v32, 0xf8, v32
	s_delay_alu instid0(VALU_DEP_2) | instskip(NEXT) | instid1(VALU_DEP_2)
	v_cmp_eq_u64_e32 vcc_lo, 0, v[10:11]
	v_and_or_b32 v10, v10, 7, v32
	s_and_b32 s7, s7, vcc_lo
	s_delay_alu instid0(VALU_DEP_1) | instid1(SALU_CYCLE_1)
	v_cndmask_b32_e64 v10, v10, 0, s7
	s_delay_alu instid0(VALU_DEP_1)
	v_or_b32_e32 v57, v10, v84
.LBB2_3723:                             ;   in Loop: Header=BB2_3533 Depth=2
	s_or_b32 exec_lo, exec_lo, s42
                                        ; implicit-def: $vgpr84
.LBB2_3724:                             ;   in Loop: Header=BB2_3533 Depth=2
	s_and_not1_saveexec_b32 s7, s41
; %bb.3725:                             ;   in Loop: Header=BB2_3533 Depth=2
	v_or_b32_e32 v57, 0x7e, v84
; %bb.3726:                             ;   in Loop: Header=BB2_3533 Depth=2
	s_or_b32 exec_lo, exec_lo, s7
                                        ; implicit-def: $vgpr11
.LBB2_3727:                             ;   in Loop: Header=BB2_3533 Depth=2
	s_and_not1_saveexec_b32 s7, s40
; %bb.3728:                             ;   in Loop: Header=BB2_3533 Depth=2
	v_or_b32_e32 v57, 0x7f, v11
; %bb.3729:                             ;   in Loop: Header=BB2_3533 Depth=2
	s_or_b32 exec_lo, exec_lo, s7
	v_and_b32_e32 v11, 0xff, v12
	v_mov_b32_e32 v10, 0
	s_mov_b32 s7, exec_lo
	s_delay_alu instid0(VALU_DEP_2)
	v_cmpx_ne_u16_e32 0, v11
	s_cbranch_execz .LBB2_3735
; %bb.3730:                             ;   in Loop: Header=BB2_3533 Depth=2
	v_bfrev_b32_e32 v10, 1
	s_mov_b32 s40, exec_lo
	v_cmpx_ne_u16_e32 0x80, v11
	s_cbranch_execz .LBB2_3734
; %bb.3731:                             ;   in Loop: Header=BB2_3533 Depth=2
	v_and_b32_e32 v11, 0x7f, v12
	v_mov_b32_e32 v10, 0x7f800001
	s_mov_b32 s41, exec_lo
	s_delay_alu instid0(VALU_DEP_2)
	v_cmpx_ne_u32_e32 0x7f, v11
	s_cbranch_execz .LBB2_3733
; %bb.3732:                             ;   in Loop: Header=BB2_3533 Depth=2
	v_dual_lshrrev_b32 v32, 3, v11 :: v_dual_bitop2_b32 v10, 7, v12 bitop3:0x40
	v_cmp_gt_u32_e32 vcc_lo, 8, v11
	s_delay_alu instid0(VALU_DEP_2) | instskip(NEXT) | instid1(VALU_DEP_1)
	v_clz_i32_u32_e32 v10, v10
	v_min_u32_e32 v10, 32, v10
	s_delay_alu instid0(VALU_DEP_1) | instskip(SKIP_1) | instid1(VALU_DEP_1)
	v_subrev_nc_u32_e32 v82, 28, v10
	v_sub_nc_u32_e32 v10, 29, v10
	v_cndmask_b32_e32 v32, v32, v10, vcc_lo
	s_delay_alu instid0(VALU_DEP_3) | instskip(NEXT) | instid1(VALU_DEP_1)
	v_cndmask_b32_e32 v10, 0, v82, vcc_lo
	v_lshlrev_b64_e32 v[10:11], v10, v[12:13]
	v_lshlrev_b32_e32 v11, 24, v12
	s_delay_alu instid0(VALU_DEP_1) | instskip(NEXT) | instid1(VALU_DEP_3)
	v_and_b32_e32 v11, 0x80000000, v11
	v_lshlrev_b32_e32 v10, 20, v10
	v_lshl_add_u32 v32, v32, 23, 0x3c000000
	s_delay_alu instid0(VALU_DEP_2) | instskip(NEXT) | instid1(VALU_DEP_1)
	v_and_b32_e32 v10, 0x700000, v10
	v_or3_b32 v10, v10, v11, v32
.LBB2_3733:                             ;   in Loop: Header=BB2_3533 Depth=2
	s_or_b32 exec_lo, exec_lo, s41
.LBB2_3734:                             ;   in Loop: Header=BB2_3533 Depth=2
	s_delay_alu instid0(SALU_CYCLE_1)
	s_or_b32 exec_lo, exec_lo, s40
.LBB2_3735:                             ;   in Loop: Header=BB2_3533 Depth=2
	s_delay_alu instid0(SALU_CYCLE_1) | instskip(NEXT) | instid1(VALU_DEP_1)
	s_or_b32 exec_lo, exec_lo, s7
	v_mul_f32_e32 v10, s10, v10
                                        ; implicit-def: $vgpr40
	s_mov_b32 s7, exec_lo
	s_delay_alu instid0(VALU_DEP_1) | instskip(SKIP_1) | instid1(VALU_DEP_2)
	v_and_b32_e32 v32, 0x7f800000, v10
	v_lshrrev_b32_e32 v11, 24, v10
	v_cmpx_ne_u64_e32 0x7f800000, v[32:33]
	s_xor_b32 s40, exec_lo, s7
	s_cbranch_execz .LBB2_3749
; %bb.3736:                             ;   in Loop: Header=BB2_3533 Depth=2
	v_and_b32_e32 v32, 0x7fffffff, v10
	v_and_b32_e32 v84, 0x80, v11
                                        ; implicit-def: $vgpr40
	s_mov_b32 s7, exec_lo
	s_delay_alu instid0(VALU_DEP_2)
	v_cmpx_gt_u64_e32 0x43e00001, v[32:33]
	s_xor_b32 s41, exec_lo, s7
	s_cbranch_execz .LBB2_3746
; %bb.3737:                             ;   in Loop: Header=BB2_3533 Depth=2
	v_mov_b32_e32 v40, 0
	s_mov_b32 s42, exec_lo
	v_cmpx_ne_u32_e32 0, v10
	s_cbranch_execz .LBB2_3745
; %bb.3738:                             ;   in Loop: Header=BB2_3533 Depth=2
	v_bfe_u32 v85, v10, 23, 8
	v_and_b32_e32 v32, 0x7fffff, v10
	s_delay_alu instid0(VALU_DEP_2) | instskip(NEXT) | instid1(VALU_DEP_2)
	v_cmp_gt_u32_e32 vcc_lo, 0x7a, v85
	v_or_b32_e32 v82, 0x800000, v32
	v_sub_nc_u32_e32 v11, 0x79, v85
	s_delay_alu instid0(VALU_DEP_1) | instskip(SKIP_1) | instid1(VALU_DEP_2)
	v_cndmask_b32_e32 v11, 0, v11, vcc_lo
	v_cmp_eq_u32_e32 vcc_lo, 0, v85
	v_cndmask_b32_e64 v117, v11, 0x78, vcc_lo
	s_delay_alu instid0(VALU_DEP_1) | instskip(SKIP_1) | instid1(VALU_DEP_2)
	v_dual_cndmask_b32 v32, v82, v32, vcc_lo :: v_dual_add_nc_u32 v10, 20, v117
	v_add_nc_u32_e32 v83, 19, v117
	v_lshlrev_b64_e64 v[10:11], v10, -1
	s_delay_alu instid0(VALU_DEP_2) | instskip(NEXT) | instid1(VALU_DEP_2)
	v_lshlrev_b64_e64 v[82:83], v83, 1
	v_bfi_b32 v43, v11, 0, 0
	s_delay_alu instid0(VALU_DEP_3) | instskip(SKIP_1) | instid1(VALU_DEP_2)
	v_bfi_b32 v42, v10, 0, v32
	v_lshrrev_b64 v[10:11], v117, v[32:33]
	v_cmp_eq_u64_e64 s7, v[42:43], v[82:83]
	s_delay_alu instid0(VALU_DEP_2)
	v_mov_b64_e32 v[82:83], v[10:11]
	s_and_saveexec_b32 s43, s7
; %bb.3739:                             ;   in Loop: Header=BB2_3533 Depth=2
	v_bfe_u32 v32, v10, 20, 1
	s_delay_alu instid0(VALU_DEP_1) | instskip(NEXT) | instid1(VALU_DEP_1)
	v_add_nc_u64_e32 v[82:83], v[10:11], v[32:33]
	v_add_nc_u64_e32 v[82:83], -1, v[82:83]
; %bb.3740:                             ;   in Loop: Header=BB2_3533 Depth=2
	s_or_b32 exec_lo, exec_lo, s43
	v_add_nc_u32_e32 v11, 0xffffff81, v85
	v_lshrrev_b32_e32 v32, 23, v10
	s_mov_b32 s7, exec_lo
	s_delay_alu instid0(VALU_DEP_2) | instskip(NEXT) | instid1(VALU_DEP_1)
	v_cndmask_b32_e64 v11, v11, 0xffffff82, vcc_lo
	v_add3_u32 v83, v117, v11, v32
	v_and_b32_e32 v11, 0xfffff, v82
                                        ; implicit-def: $vgpr82
	s_delay_alu instid0(VALU_DEP_1) | instskip(NEXT) | instid1(VALU_DEP_1)
	v_dual_add_nc_u32 v85, 6, v83 :: v_dual_add_nc_u32 v32, v11, v10
                                        ; implicit-def: $vgpr10_vgpr11
	v_cmpx_ne_u32_e32 0, v85
	s_xor_b32 s7, exec_lo, s7
; %bb.3741:                             ;   in Loop: Header=BB2_3533 Depth=2
	s_delay_alu instid0(VALU_DEP_2) | instskip(SKIP_1) | instid1(VALU_DEP_1)
	v_cmp_lt_u64_e32 vcc_lo, 0xffffff, v[32:33]
	v_add_nc_u32_e32 v10, 7, v83
	v_cndmask_b32_e32 v82, v85, v10, vcc_lo
	v_cndmask_b32_e64 v10, 0, 1, vcc_lo
	s_delay_alu instid0(VALU_DEP_1)
	v_lshrrev_b64 v[10:11], v10, v[32:33]
; %bb.3742:                             ;   in Loop: Header=BB2_3533 Depth=2
	s_and_not1_saveexec_b32 s7, s7
; %bb.3743:                             ;   in Loop: Header=BB2_3533 Depth=2
	v_mov_b64_e32 v[10:11], v[32:33]
	v_bfe_u32 v82, v32, 23, 1
; %bb.3744:                             ;   in Loop: Header=BB2_3533 Depth=2
	s_or_b32 exec_lo, exec_lo, s7
	s_delay_alu instid0(VALU_DEP_2) | instskip(NEXT) | instid1(VALU_DEP_2)
	v_lshrrev_b64 v[10:11], 20, v[10:11]
	v_cmp_gt_i32_e32 vcc_lo, 16, v82
	v_min_i32_e32 v32, 15, v82
	v_cmp_eq_u32_e64 s7, 0, v82
	s_delay_alu instid0(VALU_DEP_2) | instskip(SKIP_1) | instid1(VALU_DEP_2)
	v_dual_cndmask_b32 v11, 0, v11 :: v_dual_lshlrev_b32 v32, 3, v32
	v_cndmask_b32_e32 v10, 7, v10, vcc_lo
	v_and_b32_e32 v32, 0xf8, v32
	s_delay_alu instid0(VALU_DEP_2) | instskip(NEXT) | instid1(VALU_DEP_2)
	v_cmp_eq_u64_e32 vcc_lo, 0, v[10:11]
	v_and_or_b32 v10, v10, 7, v32
	s_and_b32 s7, s7, vcc_lo
	s_delay_alu instid0(VALU_DEP_1) | instid1(SALU_CYCLE_1)
	v_cndmask_b32_e64 v10, v10, 0, s7
	s_delay_alu instid0(VALU_DEP_1)
	v_or_b32_e32 v40, v10, v84
.LBB2_3745:                             ;   in Loop: Header=BB2_3533 Depth=2
	s_or_b32 exec_lo, exec_lo, s42
                                        ; implicit-def: $vgpr84
.LBB2_3746:                             ;   in Loop: Header=BB2_3533 Depth=2
	s_and_not1_saveexec_b32 s7, s41
; %bb.3747:                             ;   in Loop: Header=BB2_3533 Depth=2
	v_or_b32_e32 v40, 0x7e, v84
; %bb.3748:                             ;   in Loop: Header=BB2_3533 Depth=2
	s_or_b32 exec_lo, exec_lo, s7
                                        ; implicit-def: $vgpr11
.LBB2_3749:                             ;   in Loop: Header=BB2_3533 Depth=2
	s_and_not1_saveexec_b32 s7, s40
; %bb.3750:                             ;   in Loop: Header=BB2_3533 Depth=2
	v_or_b32_e32 v40, 0x7f, v11
; %bb.3751:                             ;   in Loop: Header=BB2_3533 Depth=2
	s_or_b32 exec_lo, exec_lo, s7
	v_lshrrev_b16 v11, 8, v12
	v_mov_b32_e32 v10, 0
	s_mov_b32 s7, exec_lo
	s_delay_alu instid0(VALU_DEP_2)
	v_cmpx_ne_u16_e32 0, v11
	s_cbranch_execz .LBB2_3759
; %bb.3752:                             ;   in Loop: Header=BB2_3533 Depth=2
	v_bfrev_b32_e32 v10, 1
	s_mov_b32 s40, exec_lo
	v_cmpx_ne_u16_e32 0x80, v11
	s_cbranch_execz .LBB2_3758
; %bb.3753:                             ;   in Loop: Header=BB2_3533 Depth=2
	v_and_b32_e32 v32, 0xffff, v11
	v_mov_b32_e32 v10, 0x7f800001
	s_mov_b32 s41, exec_lo
	s_delay_alu instid0(VALU_DEP_2) | instskip(NEXT) | instid1(VALU_DEP_1)
	v_and_b32_e32 v11, 0x7f, v32
	v_cmpx_ne_u32_e32 0x7f, v11
	s_cbranch_execz .LBB2_3757
; %bb.3754:                             ;   in Loop: Header=BB2_3533 Depth=2
	v_dual_lshrrev_b32 v10, 3, v11 :: v_dual_bitop2_b32 v32, 7, v32 bitop3:0x40
	s_mov_b32 s42, exec_lo
	v_cmpx_gt_u32_e32 8, v11
; %bb.3755:                             ;   in Loop: Header=BB2_3533 Depth=2
	s_delay_alu instid0(VALU_DEP_2) | instskip(NEXT) | instid1(VALU_DEP_1)
	v_clz_i32_u32_e32 v10, v32
	v_min_u32_e32 v10, 32, v10
	s_delay_alu instid0(VALU_DEP_1) | instskip(SKIP_1) | instid1(VALU_DEP_2)
	v_subrev_nc_u32_e32 v11, 28, v10
	v_sub_nc_u32_e32 v10, 29, v10
	v_lshlrev_b64_e32 v[82:83], v11, v[32:33]
	s_delay_alu instid0(VALU_DEP_1)
	v_and_b32_e32 v32, 7, v82
; %bb.3756:                             ;   in Loop: Header=BB2_3533 Depth=2
	s_or_b32 exec_lo, exec_lo, s42
	v_lshlrev_b32_e32 v11, 16, v12
	s_delay_alu instid0(VALU_DEP_2) | instskip(SKIP_1) | instid1(VALU_DEP_3)
	v_lshlrev_b32_e32 v32, 20, v32
	v_lshl_add_u32 v10, v10, 23, 0x3c000000
	v_and_b32_e32 v11, 0x80000000, v11
	s_delay_alu instid0(VALU_DEP_1)
	v_or3_b32 v10, v32, v11, v10
.LBB2_3757:                             ;   in Loop: Header=BB2_3533 Depth=2
	s_or_b32 exec_lo, exec_lo, s41
.LBB2_3758:                             ;   in Loop: Header=BB2_3533 Depth=2
	s_delay_alu instid0(SALU_CYCLE_1)
	s_or_b32 exec_lo, exec_lo, s40
.LBB2_3759:                             ;   in Loop: Header=BB2_3533 Depth=2
	s_delay_alu instid0(SALU_CYCLE_1) | instskip(NEXT) | instid1(VALU_DEP_1)
	s_or_b32 exec_lo, exec_lo, s7
	v_mul_f32_e32 v10, s10, v10
                                        ; implicit-def: $vgpr43
	s_mov_b32 s7, exec_lo
	s_delay_alu instid0(VALU_DEP_1) | instskip(SKIP_1) | instid1(VALU_DEP_2)
	v_and_b32_e32 v32, 0x7f800000, v10
	v_lshrrev_b32_e32 v11, 24, v10
	v_cmpx_ne_u64_e32 0x7f800000, v[32:33]
	s_xor_b32 s40, exec_lo, s7
	s_cbranch_execz .LBB2_3773
; %bb.3760:                             ;   in Loop: Header=BB2_3533 Depth=2
	v_and_b32_e32 v32, 0x7fffffff, v10
	v_and_b32_e32 v84, 0x80, v11
                                        ; implicit-def: $vgpr43
	s_mov_b32 s7, exec_lo
	s_delay_alu instid0(VALU_DEP_2)
	v_cmpx_gt_u64_e32 0x43e00001, v[32:33]
	s_xor_b32 s41, exec_lo, s7
	s_cbranch_execz .LBB2_3770
; %bb.3761:                             ;   in Loop: Header=BB2_3533 Depth=2
	v_mov_b32_e32 v43, 0
	s_mov_b32 s42, exec_lo
	v_cmpx_ne_u32_e32 0, v10
	s_cbranch_execz .LBB2_3769
; %bb.3762:                             ;   in Loop: Header=BB2_3533 Depth=2
	v_bfe_u32 v85, v10, 23, 8
	v_and_b32_e32 v32, 0x7fffff, v10
	s_delay_alu instid0(VALU_DEP_2) | instskip(NEXT) | instid1(VALU_DEP_2)
	v_cmp_gt_u32_e32 vcc_lo, 0x7a, v85
	v_or_b32_e32 v82, 0x800000, v32
	v_sub_nc_u32_e32 v11, 0x79, v85
	s_delay_alu instid0(VALU_DEP_1) | instskip(SKIP_1) | instid1(VALU_DEP_2)
	v_cndmask_b32_e32 v11, 0, v11, vcc_lo
	v_cmp_eq_u32_e32 vcc_lo, 0, v85
	v_cndmask_b32_e64 v117, v11, 0x78, vcc_lo
	s_delay_alu instid0(VALU_DEP_1) | instskip(SKIP_1) | instid1(VALU_DEP_2)
	v_dual_cndmask_b32 v32, v82, v32, vcc_lo :: v_dual_add_nc_u32 v10, 20, v117
	v_add_nc_u32_e32 v83, 19, v117
	v_lshlrev_b64_e64 v[10:11], v10, -1
	s_delay_alu instid0(VALU_DEP_2) | instskip(NEXT) | instid1(VALU_DEP_2)
	v_lshlrev_b64_e64 v[82:83], v83, 1
	v_bfi_b32 v43, v11, 0, 0
	s_delay_alu instid0(VALU_DEP_3) | instskip(SKIP_1) | instid1(VALU_DEP_2)
	v_bfi_b32 v42, v10, 0, v32
	v_lshrrev_b64 v[10:11], v117, v[32:33]
	v_cmp_eq_u64_e64 s7, v[42:43], v[82:83]
	s_delay_alu instid0(VALU_DEP_2)
	v_mov_b64_e32 v[82:83], v[10:11]
	s_and_saveexec_b32 s43, s7
; %bb.3763:                             ;   in Loop: Header=BB2_3533 Depth=2
	v_bfe_u32 v32, v10, 20, 1
	s_delay_alu instid0(VALU_DEP_1) | instskip(NEXT) | instid1(VALU_DEP_1)
	v_add_nc_u64_e32 v[82:83], v[10:11], v[32:33]
	v_add_nc_u64_e32 v[82:83], -1, v[82:83]
; %bb.3764:                             ;   in Loop: Header=BB2_3533 Depth=2
	s_or_b32 exec_lo, exec_lo, s43
	v_add_nc_u32_e32 v11, 0xffffff81, v85
	v_lshrrev_b32_e32 v32, 23, v10
	s_mov_b32 s7, exec_lo
	s_delay_alu instid0(VALU_DEP_2) | instskip(NEXT) | instid1(VALU_DEP_1)
	v_cndmask_b32_e64 v11, v11, 0xffffff82, vcc_lo
	v_add3_u32 v83, v117, v11, v32
	v_and_b32_e32 v11, 0xfffff, v82
                                        ; implicit-def: $vgpr82
	s_delay_alu instid0(VALU_DEP_1) | instskip(NEXT) | instid1(VALU_DEP_1)
	v_dual_add_nc_u32 v85, 6, v83 :: v_dual_add_nc_u32 v32, v11, v10
                                        ; implicit-def: $vgpr10_vgpr11
	v_cmpx_ne_u32_e32 0, v85
	s_xor_b32 s7, exec_lo, s7
; %bb.3765:                             ;   in Loop: Header=BB2_3533 Depth=2
	s_delay_alu instid0(VALU_DEP_2) | instskip(SKIP_1) | instid1(VALU_DEP_1)
	v_cmp_lt_u64_e32 vcc_lo, 0xffffff, v[32:33]
	v_add_nc_u32_e32 v10, 7, v83
	v_cndmask_b32_e32 v82, v85, v10, vcc_lo
	v_cndmask_b32_e64 v10, 0, 1, vcc_lo
	s_delay_alu instid0(VALU_DEP_1)
	v_lshrrev_b64 v[10:11], v10, v[32:33]
; %bb.3766:                             ;   in Loop: Header=BB2_3533 Depth=2
	s_and_not1_saveexec_b32 s7, s7
; %bb.3767:                             ;   in Loop: Header=BB2_3533 Depth=2
	v_mov_b64_e32 v[10:11], v[32:33]
	v_bfe_u32 v82, v32, 23, 1
; %bb.3768:                             ;   in Loop: Header=BB2_3533 Depth=2
	s_or_b32 exec_lo, exec_lo, s7
	s_delay_alu instid0(VALU_DEP_2) | instskip(NEXT) | instid1(VALU_DEP_2)
	v_lshrrev_b64 v[10:11], 20, v[10:11]
	v_cmp_gt_i32_e32 vcc_lo, 16, v82
	v_min_i32_e32 v32, 15, v82
	v_cmp_eq_u32_e64 s7, 0, v82
	s_delay_alu instid0(VALU_DEP_2) | instskip(SKIP_1) | instid1(VALU_DEP_2)
	v_dual_cndmask_b32 v11, 0, v11 :: v_dual_lshlrev_b32 v32, 3, v32
	v_cndmask_b32_e32 v10, 7, v10, vcc_lo
	v_and_b32_e32 v32, 0xf8, v32
	s_delay_alu instid0(VALU_DEP_2) | instskip(NEXT) | instid1(VALU_DEP_2)
	v_cmp_eq_u64_e32 vcc_lo, 0, v[10:11]
	v_and_or_b32 v10, v10, 7, v32
	s_and_b32 s7, s7, vcc_lo
	s_delay_alu instid0(VALU_DEP_1) | instid1(SALU_CYCLE_1)
	v_cndmask_b32_e64 v10, v10, 0, s7
	s_delay_alu instid0(VALU_DEP_1)
	v_or_b32_e32 v43, v10, v84
.LBB2_3769:                             ;   in Loop: Header=BB2_3533 Depth=2
	s_or_b32 exec_lo, exec_lo, s42
                                        ; implicit-def: $vgpr84
.LBB2_3770:                             ;   in Loop: Header=BB2_3533 Depth=2
	s_and_not1_saveexec_b32 s7, s41
; %bb.3771:                             ;   in Loop: Header=BB2_3533 Depth=2
	v_or_b32_e32 v43, 0x7e, v84
; %bb.3772:                             ;   in Loop: Header=BB2_3533 Depth=2
	s_or_b32 exec_lo, exec_lo, s7
                                        ; implicit-def: $vgpr11
.LBB2_3773:                             ;   in Loop: Header=BB2_3533 Depth=2
	s_and_not1_saveexec_b32 s7, s40
; %bb.3774:                             ;   in Loop: Header=BB2_3533 Depth=2
	v_or_b32_e32 v43, 0x7f, v11
; %bb.3775:                             ;   in Loop: Header=BB2_3533 Depth=2
	s_or_b32 exec_lo, exec_lo, s7
	v_dual_mov_b32 v11, 0 :: v_dual_lshrrev_b32 v10, 16, v12
	s_mov_b32 s7, exec_lo
	s_delay_alu instid0(VALU_DEP_1) | instskip(NEXT) | instid1(VALU_DEP_1)
	v_and_b32_e32 v32, 0xff, v10
	v_cmpx_ne_u16_e32 0, v32
	s_cbranch_execz .LBB2_3783
; %bb.3776:                             ;   in Loop: Header=BB2_3533 Depth=2
	v_bfrev_b32_e32 v11, 1
	s_mov_b32 s40, exec_lo
	v_cmpx_ne_u16_e32 0x80, v32
	s_cbranch_execz .LBB2_3782
; %bb.3777:                             ;   in Loop: Header=BB2_3533 Depth=2
	v_bfe_u32 v82, v12, 16, 7
	v_mov_b32_e32 v11, 0x7f800001
	s_mov_b32 s41, exec_lo
	s_delay_alu instid0(VALU_DEP_2)
	v_cmpx_ne_u32_e32 0x7f, v82
	s_cbranch_execz .LBB2_3781
; %bb.3778:                             ;   in Loop: Header=BB2_3533 Depth=2
	v_and_b32_e32 v32, 7, v10
	v_lshrrev_b32_e32 v11, 3, v82
	s_mov_b32 s42, exec_lo
	v_cmpx_gt_u32_e32 8, v82
; %bb.3779:                             ;   in Loop: Header=BB2_3533 Depth=2
	s_delay_alu instid0(VALU_DEP_3) | instskip(NEXT) | instid1(VALU_DEP_1)
	v_clz_i32_u32_e32 v11, v32
	v_min_u32_e32 v11, 32, v11
	s_delay_alu instid0(VALU_DEP_1) | instskip(NEXT) | instid1(VALU_DEP_1)
	v_subrev_nc_u32_e32 v82, 28, v11
	v_lshlrev_b64_e32 v[82:83], v82, v[32:33]
	s_delay_alu instid0(VALU_DEP_1)
	v_dual_sub_nc_u32 v11, 29, v11 :: v_dual_bitop2_b32 v32, 7, v82 bitop3:0x40
; %bb.3780:                             ;   in Loop: Header=BB2_3533 Depth=2
	s_or_b32 exec_lo, exec_lo, s42
	s_delay_alu instid0(VALU_DEP_1) | instskip(NEXT) | instid1(VALU_DEP_2)
	v_dual_lshlrev_b32 v10, 24, v10 :: v_dual_lshlrev_b32 v32, 20, v32
	v_lshl_add_u32 v11, v11, 23, 0x3c000000
	s_delay_alu instid0(VALU_DEP_2) | instskip(NEXT) | instid1(VALU_DEP_1)
	v_and_b32_e32 v10, 0x80000000, v10
	v_or3_b32 v11, v32, v10, v11
.LBB2_3781:                             ;   in Loop: Header=BB2_3533 Depth=2
	s_or_b32 exec_lo, exec_lo, s41
.LBB2_3782:                             ;   in Loop: Header=BB2_3533 Depth=2
	s_delay_alu instid0(SALU_CYCLE_1)
	s_or_b32 exec_lo, exec_lo, s40
.LBB2_3783:                             ;   in Loop: Header=BB2_3533 Depth=2
	s_delay_alu instid0(SALU_CYCLE_1) | instskip(NEXT) | instid1(VALU_DEP_1)
	s_or_b32 exec_lo, exec_lo, s7
	v_mul_f32_e32 v10, s10, v11
                                        ; implicit-def: $vgpr46
	s_mov_b32 s7, exec_lo
	s_delay_alu instid0(VALU_DEP_1) | instskip(SKIP_1) | instid1(VALU_DEP_2)
	v_and_b32_e32 v32, 0x7f800000, v10
	v_lshrrev_b32_e32 v11, 24, v10
	v_cmpx_ne_u64_e32 0x7f800000, v[32:33]
	s_xor_b32 s40, exec_lo, s7
	s_cbranch_execz .LBB2_3797
; %bb.3784:                             ;   in Loop: Header=BB2_3533 Depth=2
	v_and_b32_e32 v32, 0x7fffffff, v10
	v_and_b32_e32 v84, 0x80, v11
                                        ; implicit-def: $vgpr46
	s_mov_b32 s7, exec_lo
	s_delay_alu instid0(VALU_DEP_2)
	v_cmpx_gt_u64_e32 0x43e00001, v[32:33]
	s_xor_b32 s41, exec_lo, s7
	s_cbranch_execz .LBB2_3794
; %bb.3785:                             ;   in Loop: Header=BB2_3533 Depth=2
	v_mov_b32_e32 v46, 0
	s_mov_b32 s42, exec_lo
	v_cmpx_ne_u32_e32 0, v10
	s_cbranch_execz .LBB2_3793
; %bb.3786:                             ;   in Loop: Header=BB2_3533 Depth=2
	v_bfe_u32 v85, v10, 23, 8
	v_and_b32_e32 v32, 0x7fffff, v10
	s_delay_alu instid0(VALU_DEP_2) | instskip(NEXT) | instid1(VALU_DEP_2)
	v_cmp_gt_u32_e32 vcc_lo, 0x7a, v85
	v_or_b32_e32 v82, 0x800000, v32
	v_sub_nc_u32_e32 v11, 0x79, v85
	s_delay_alu instid0(VALU_DEP_1) | instskip(SKIP_1) | instid1(VALU_DEP_2)
	v_cndmask_b32_e32 v11, 0, v11, vcc_lo
	v_cmp_eq_u32_e32 vcc_lo, 0, v85
	v_cndmask_b32_e64 v117, v11, 0x78, vcc_lo
	s_delay_alu instid0(VALU_DEP_1) | instskip(SKIP_1) | instid1(VALU_DEP_2)
	v_dual_cndmask_b32 v32, v82, v32, vcc_lo :: v_dual_add_nc_u32 v10, 20, v117
	v_add_nc_u32_e32 v83, 19, v117
	v_lshlrev_b64_e64 v[10:11], v10, -1
	s_delay_alu instid0(VALU_DEP_2) | instskip(NEXT) | instid1(VALU_DEP_2)
	v_lshlrev_b64_e64 v[82:83], v83, 1
	v_bfi_b32 v45, v11, 0, 0
	s_delay_alu instid0(VALU_DEP_3) | instskip(SKIP_1) | instid1(VALU_DEP_2)
	v_bfi_b32 v44, v10, 0, v32
	v_lshrrev_b64 v[10:11], v117, v[32:33]
	v_cmp_eq_u64_e64 s7, v[44:45], v[82:83]
	s_delay_alu instid0(VALU_DEP_2)
	v_mov_b64_e32 v[82:83], v[10:11]
	s_and_saveexec_b32 s43, s7
; %bb.3787:                             ;   in Loop: Header=BB2_3533 Depth=2
	v_bfe_u32 v32, v10, 20, 1
	s_delay_alu instid0(VALU_DEP_1) | instskip(NEXT) | instid1(VALU_DEP_1)
	v_add_nc_u64_e32 v[82:83], v[10:11], v[32:33]
	v_add_nc_u64_e32 v[82:83], -1, v[82:83]
; %bb.3788:                             ;   in Loop: Header=BB2_3533 Depth=2
	s_or_b32 exec_lo, exec_lo, s43
	v_add_nc_u32_e32 v11, 0xffffff81, v85
	v_lshrrev_b32_e32 v32, 23, v10
	s_mov_b32 s7, exec_lo
	s_delay_alu instid0(VALU_DEP_2) | instskip(NEXT) | instid1(VALU_DEP_1)
	v_cndmask_b32_e64 v11, v11, 0xffffff82, vcc_lo
	v_add3_u32 v83, v117, v11, v32
	v_and_b32_e32 v11, 0xfffff, v82
                                        ; implicit-def: $vgpr82
	s_delay_alu instid0(VALU_DEP_1) | instskip(NEXT) | instid1(VALU_DEP_1)
	v_dual_add_nc_u32 v85, 6, v83 :: v_dual_add_nc_u32 v32, v11, v10
                                        ; implicit-def: $vgpr10_vgpr11
	v_cmpx_ne_u32_e32 0, v85
	s_xor_b32 s7, exec_lo, s7
; %bb.3789:                             ;   in Loop: Header=BB2_3533 Depth=2
	s_delay_alu instid0(VALU_DEP_2) | instskip(SKIP_1) | instid1(VALU_DEP_1)
	v_cmp_lt_u64_e32 vcc_lo, 0xffffff, v[32:33]
	v_add_nc_u32_e32 v10, 7, v83
	v_cndmask_b32_e32 v82, v85, v10, vcc_lo
	v_cndmask_b32_e64 v10, 0, 1, vcc_lo
	s_delay_alu instid0(VALU_DEP_1)
	v_lshrrev_b64 v[10:11], v10, v[32:33]
; %bb.3790:                             ;   in Loop: Header=BB2_3533 Depth=2
	s_and_not1_saveexec_b32 s7, s7
; %bb.3791:                             ;   in Loop: Header=BB2_3533 Depth=2
	v_mov_b64_e32 v[10:11], v[32:33]
	v_bfe_u32 v82, v32, 23, 1
; %bb.3792:                             ;   in Loop: Header=BB2_3533 Depth=2
	s_or_b32 exec_lo, exec_lo, s7
	s_delay_alu instid0(VALU_DEP_2) | instskip(NEXT) | instid1(VALU_DEP_2)
	v_lshrrev_b64 v[10:11], 20, v[10:11]
	v_cmp_gt_i32_e32 vcc_lo, 16, v82
	v_min_i32_e32 v32, 15, v82
	v_cmp_eq_u32_e64 s7, 0, v82
	s_delay_alu instid0(VALU_DEP_2) | instskip(SKIP_1) | instid1(VALU_DEP_2)
	v_dual_cndmask_b32 v11, 0, v11 :: v_dual_lshlrev_b32 v32, 3, v32
	v_cndmask_b32_e32 v10, 7, v10, vcc_lo
	v_and_b32_e32 v32, 0xf8, v32
	s_delay_alu instid0(VALU_DEP_2) | instskip(NEXT) | instid1(VALU_DEP_2)
	v_cmp_eq_u64_e32 vcc_lo, 0, v[10:11]
	v_and_or_b32 v10, v10, 7, v32
	s_and_b32 s7, s7, vcc_lo
	s_delay_alu instid0(VALU_DEP_1) | instid1(SALU_CYCLE_1)
	v_cndmask_b32_e64 v10, v10, 0, s7
	s_delay_alu instid0(VALU_DEP_1)
	v_or_b32_e32 v46, v10, v84
.LBB2_3793:                             ;   in Loop: Header=BB2_3533 Depth=2
	s_or_b32 exec_lo, exec_lo, s42
                                        ; implicit-def: $vgpr84
.LBB2_3794:                             ;   in Loop: Header=BB2_3533 Depth=2
	s_and_not1_saveexec_b32 s7, s41
; %bb.3795:                             ;   in Loop: Header=BB2_3533 Depth=2
	v_or_b32_e32 v46, 0x7e, v84
; %bb.3796:                             ;   in Loop: Header=BB2_3533 Depth=2
	s_or_b32 exec_lo, exec_lo, s7
                                        ; implicit-def: $vgpr11
.LBB2_3797:                             ;   in Loop: Header=BB2_3533 Depth=2
	s_and_not1_saveexec_b32 s7, s40
; %bb.3798:                             ;   in Loop: Header=BB2_3533 Depth=2
	v_or_b32_e32 v46, 0x7f, v11
; %bb.3799:                             ;   in Loop: Header=BB2_3533 Depth=2
	s_or_b32 exec_lo, exec_lo, s7
	v_mov_b32_e32 v11, 0
	s_mov_b32 s7, exec_lo
	v_cmpx_lt_u32_e32 0xffffff, v12
	s_cbranch_execz .LBB2_3807
; %bb.3800:                             ;   in Loop: Header=BB2_3533 Depth=2
	v_lshrrev_b32_e32 v10, 24, v12
	v_bfrev_b32_e32 v11, 1
	s_mov_b32 s40, exec_lo
	s_delay_alu instid0(VALU_DEP_2)
	v_cmpx_ne_u32_e32 0x80, v10
	s_cbranch_execz .LBB2_3806
; %bb.3801:                             ;   in Loop: Header=BB2_3533 Depth=2
	v_bfe_u32 v82, v12, 24, 7
	v_mov_b32_e32 v11, 0x7f800001
	s_mov_b32 s41, exec_lo
	s_delay_alu instid0(VALU_DEP_2)
	v_cmpx_ne_u32_e32 0x7f, v82
	s_cbranch_execz .LBB2_3805
; %bb.3802:                             ;   in Loop: Header=BB2_3533 Depth=2
	v_and_b32_e32 v32, 7, v10
	v_lshrrev_b32_e32 v11, 3, v82
	s_mov_b32 s42, exec_lo
	v_cmpx_gt_u32_e32 8, v82
; %bb.3803:                             ;   in Loop: Header=BB2_3533 Depth=2
	s_delay_alu instid0(VALU_DEP_3) | instskip(NEXT) | instid1(VALU_DEP_1)
	v_clz_i32_u32_e32 v11, v32
	v_min_u32_e32 v11, 32, v11
	s_delay_alu instid0(VALU_DEP_1) | instskip(NEXT) | instid1(VALU_DEP_1)
	v_subrev_nc_u32_e32 v82, 28, v11
	v_lshlrev_b64_e32 v[82:83], v82, v[32:33]
	s_delay_alu instid0(VALU_DEP_1)
	v_dual_sub_nc_u32 v11, 29, v11 :: v_dual_bitop2_b32 v32, 7, v82 bitop3:0x40
; %bb.3804:                             ;   in Loop: Header=BB2_3533 Depth=2
	s_or_b32 exec_lo, exec_lo, s42
	s_delay_alu instid0(VALU_DEP_1) | instskip(NEXT) | instid1(VALU_DEP_2)
	v_dual_lshlrev_b32 v10, 24, v10 :: v_dual_lshlrev_b32 v32, 20, v32
	v_lshl_add_u32 v11, v11, 23, 0x3c000000
	s_delay_alu instid0(VALU_DEP_2) | instskip(NEXT) | instid1(VALU_DEP_1)
	v_and_b32_e32 v10, 0x80000000, v10
	v_or3_b32 v11, v32, v10, v11
.LBB2_3805:                             ;   in Loop: Header=BB2_3533 Depth=2
	s_or_b32 exec_lo, exec_lo, s41
.LBB2_3806:                             ;   in Loop: Header=BB2_3533 Depth=2
	s_delay_alu instid0(SALU_CYCLE_1)
	s_or_b32 exec_lo, exec_lo, s40
.LBB2_3807:                             ;   in Loop: Header=BB2_3533 Depth=2
	s_delay_alu instid0(SALU_CYCLE_1) | instskip(NEXT) | instid1(VALU_DEP_1)
	s_or_b32 exec_lo, exec_lo, s7
	v_mul_f32_e32 v10, s10, v11
                                        ; implicit-def: $vgpr47
	s_mov_b32 s7, exec_lo
	s_delay_alu instid0(VALU_DEP_1) | instskip(SKIP_1) | instid1(VALU_DEP_2)
	v_and_b32_e32 v32, 0x7f800000, v10
	v_lshrrev_b32_e32 v11, 24, v10
	v_cmpx_ne_u64_e32 0x7f800000, v[32:33]
	s_xor_b32 s40, exec_lo, s7
	s_cbranch_execz .LBB2_3821
; %bb.3808:                             ;   in Loop: Header=BB2_3533 Depth=2
	v_and_b32_e32 v32, 0x7fffffff, v10
	v_and_b32_e32 v84, 0x80, v11
                                        ; implicit-def: $vgpr47
	s_mov_b32 s7, exec_lo
	s_delay_alu instid0(VALU_DEP_2)
	v_cmpx_gt_u64_e32 0x43e00001, v[32:33]
	s_xor_b32 s41, exec_lo, s7
	s_cbranch_execz .LBB2_3818
; %bb.3809:                             ;   in Loop: Header=BB2_3533 Depth=2
	v_mov_b32_e32 v47, 0
	s_mov_b32 s42, exec_lo
	v_cmpx_ne_u32_e32 0, v10
	s_cbranch_execz .LBB2_3817
; %bb.3810:                             ;   in Loop: Header=BB2_3533 Depth=2
	v_bfe_u32 v85, v10, 23, 8
	v_and_b32_e32 v32, 0x7fffff, v10
	s_delay_alu instid0(VALU_DEP_2) | instskip(NEXT) | instid1(VALU_DEP_2)
	v_cmp_gt_u32_e32 vcc_lo, 0x7a, v85
	v_or_b32_e32 v82, 0x800000, v32
	v_sub_nc_u32_e32 v11, 0x79, v85
	s_delay_alu instid0(VALU_DEP_1) | instskip(SKIP_1) | instid1(VALU_DEP_2)
	v_cndmask_b32_e32 v11, 0, v11, vcc_lo
	v_cmp_eq_u32_e32 vcc_lo, 0, v85
	v_cndmask_b32_e64 v117, v11, 0x78, vcc_lo
	s_delay_alu instid0(VALU_DEP_1) | instskip(SKIP_1) | instid1(VALU_DEP_2)
	v_dual_cndmask_b32 v32, v82, v32, vcc_lo :: v_dual_add_nc_u32 v10, 20, v117
	v_add_nc_u32_e32 v83, 19, v117
	v_lshlrev_b64_e64 v[10:11], v10, -1
	s_delay_alu instid0(VALU_DEP_2) | instskip(NEXT) | instid1(VALU_DEP_2)
	v_lshlrev_b64_e64 v[82:83], v83, 1
	v_bfi_b32 v45, v11, 0, 0
	s_delay_alu instid0(VALU_DEP_3) | instskip(SKIP_1) | instid1(VALU_DEP_2)
	v_bfi_b32 v44, v10, 0, v32
	v_lshrrev_b64 v[10:11], v117, v[32:33]
	v_cmp_eq_u64_e64 s7, v[44:45], v[82:83]
	s_delay_alu instid0(VALU_DEP_2)
	v_mov_b64_e32 v[82:83], v[10:11]
	s_and_saveexec_b32 s43, s7
; %bb.3811:                             ;   in Loop: Header=BB2_3533 Depth=2
	v_bfe_u32 v32, v10, 20, 1
	s_delay_alu instid0(VALU_DEP_1) | instskip(NEXT) | instid1(VALU_DEP_1)
	v_add_nc_u64_e32 v[82:83], v[10:11], v[32:33]
	v_add_nc_u64_e32 v[82:83], -1, v[82:83]
; %bb.3812:                             ;   in Loop: Header=BB2_3533 Depth=2
	s_or_b32 exec_lo, exec_lo, s43
	v_add_nc_u32_e32 v11, 0xffffff81, v85
	v_lshrrev_b32_e32 v32, 23, v10
	s_mov_b32 s7, exec_lo
	s_delay_alu instid0(VALU_DEP_2) | instskip(NEXT) | instid1(VALU_DEP_1)
	v_cndmask_b32_e64 v11, v11, 0xffffff82, vcc_lo
	v_add3_u32 v83, v117, v11, v32
	v_and_b32_e32 v11, 0xfffff, v82
                                        ; implicit-def: $vgpr82
	s_delay_alu instid0(VALU_DEP_1) | instskip(NEXT) | instid1(VALU_DEP_1)
	v_dual_add_nc_u32 v85, 6, v83 :: v_dual_add_nc_u32 v32, v11, v10
                                        ; implicit-def: $vgpr10_vgpr11
	v_cmpx_ne_u32_e32 0, v85
	s_xor_b32 s7, exec_lo, s7
; %bb.3813:                             ;   in Loop: Header=BB2_3533 Depth=2
	s_delay_alu instid0(VALU_DEP_2) | instskip(SKIP_1) | instid1(VALU_DEP_1)
	v_cmp_lt_u64_e32 vcc_lo, 0xffffff, v[32:33]
	v_add_nc_u32_e32 v10, 7, v83
	v_cndmask_b32_e32 v82, v85, v10, vcc_lo
	v_cndmask_b32_e64 v10, 0, 1, vcc_lo
	s_delay_alu instid0(VALU_DEP_1)
	v_lshrrev_b64 v[10:11], v10, v[32:33]
; %bb.3814:                             ;   in Loop: Header=BB2_3533 Depth=2
	s_and_not1_saveexec_b32 s7, s7
; %bb.3815:                             ;   in Loop: Header=BB2_3533 Depth=2
	v_mov_b64_e32 v[10:11], v[32:33]
	v_bfe_u32 v82, v32, 23, 1
; %bb.3816:                             ;   in Loop: Header=BB2_3533 Depth=2
	s_or_b32 exec_lo, exec_lo, s7
	s_delay_alu instid0(VALU_DEP_2) | instskip(NEXT) | instid1(VALU_DEP_2)
	v_lshrrev_b64 v[10:11], 20, v[10:11]
	v_cmp_gt_i32_e32 vcc_lo, 16, v82
	v_min_i32_e32 v32, 15, v82
	v_cmp_eq_u32_e64 s7, 0, v82
	s_delay_alu instid0(VALU_DEP_2) | instskip(SKIP_1) | instid1(VALU_DEP_2)
	v_dual_cndmask_b32 v11, 0, v11 :: v_dual_lshlrev_b32 v32, 3, v32
	v_cndmask_b32_e32 v10, 7, v10, vcc_lo
	v_and_b32_e32 v32, 0xf8, v32
	s_delay_alu instid0(VALU_DEP_2) | instskip(NEXT) | instid1(VALU_DEP_2)
	v_cmp_eq_u64_e32 vcc_lo, 0, v[10:11]
	v_and_or_b32 v10, v10, 7, v32
	s_and_b32 s7, s7, vcc_lo
	s_delay_alu instid0(VALU_DEP_1) | instid1(SALU_CYCLE_1)
	v_cndmask_b32_e64 v10, v10, 0, s7
	s_delay_alu instid0(VALU_DEP_1)
	v_or_b32_e32 v47, v10, v84
.LBB2_3817:                             ;   in Loop: Header=BB2_3533 Depth=2
	s_or_b32 exec_lo, exec_lo, s42
                                        ; implicit-def: $vgpr84
.LBB2_3818:                             ;   in Loop: Header=BB2_3533 Depth=2
	s_and_not1_saveexec_b32 s7, s41
; %bb.3819:                             ;   in Loop: Header=BB2_3533 Depth=2
	v_or_b32_e32 v47, 0x7e, v84
; %bb.3820:                             ;   in Loop: Header=BB2_3533 Depth=2
	s_or_b32 exec_lo, exec_lo, s7
                                        ; implicit-def: $vgpr11
.LBB2_3821:                             ;   in Loop: Header=BB2_3533 Depth=2
	s_and_not1_saveexec_b32 s7, s40
; %bb.3822:                             ;   in Loop: Header=BB2_3533 Depth=2
	v_or_b32_e32 v47, 0x7f, v11
; %bb.3823:                             ;   in Loop: Header=BB2_3533 Depth=2
	s_or_b32 exec_lo, exec_lo, s7
	v_and_b32_e32 v11, 0xff, v13
	v_dual_mov_b32 v32, v13 :: v_dual_mov_b32 v10, 0
	s_mov_b32 s7, exec_lo
	s_delay_alu instid0(VALU_DEP_2)
	v_cmpx_ne_u16_e32 0, v11
	s_cbranch_execz .LBB2_3829
; %bb.3824:                             ;   in Loop: Header=BB2_3533 Depth=2
	v_bfrev_b32_e32 v10, 1
	s_mov_b32 s40, exec_lo
	v_cmpx_ne_u16_e32 0x80, v11
	s_cbranch_execz .LBB2_3828
; %bb.3825:                             ;   in Loop: Header=BB2_3533 Depth=2
	v_and_b32_e32 v11, 0x7f, v13
	v_mov_b32_e32 v10, 0x7f800001
	s_mov_b32 s41, exec_lo
	s_delay_alu instid0(VALU_DEP_2)
	v_cmpx_ne_u32_e32 0x7f, v11
	s_cbranch_execz .LBB2_3827
; %bb.3826:                             ;   in Loop: Header=BB2_3533 Depth=2
	v_dual_lshrrev_b32 v82, 3, v11 :: v_dual_bitop2_b32 v10, 7, v13 bitop3:0x40
	v_cmp_gt_u32_e32 vcc_lo, 8, v11
	s_delay_alu instid0(VALU_DEP_2) | instskip(NEXT) | instid1(VALU_DEP_1)
	v_clz_i32_u32_e32 v10, v10
	v_min_u32_e32 v10, 32, v10
	s_delay_alu instid0(VALU_DEP_1) | instskip(SKIP_1) | instid1(VALU_DEP_1)
	v_subrev_nc_u32_e32 v83, 28, v10
	v_sub_nc_u32_e32 v10, 29, v10
	v_dual_cndmask_b32 v82, v82, v10, vcc_lo :: v_dual_cndmask_b32 v10, 0, v83, vcc_lo
	s_delay_alu instid0(VALU_DEP_1) | instskip(NEXT) | instid1(VALU_DEP_2)
	v_lshl_add_u32 v82, v82, 23, 0x3c000000
	v_lshlrev_b64_e32 v[10:11], v10, v[32:33]
	v_lshlrev_b32_e32 v11, 24, v32
	s_delay_alu instid0(VALU_DEP_1) | instskip(NEXT) | instid1(VALU_DEP_3)
	v_and_b32_e32 v11, 0x80000000, v11
	v_lshlrev_b32_e32 v10, 20, v10
	s_delay_alu instid0(VALU_DEP_1) | instskip(NEXT) | instid1(VALU_DEP_1)
	v_and_b32_e32 v10, 0x700000, v10
	v_or3_b32 v10, v10, v11, v82
.LBB2_3827:                             ;   in Loop: Header=BB2_3533 Depth=2
	s_or_b32 exec_lo, exec_lo, s41
.LBB2_3828:                             ;   in Loop: Header=BB2_3533 Depth=2
	s_delay_alu instid0(SALU_CYCLE_1)
	s_or_b32 exec_lo, exec_lo, s40
.LBB2_3829:                             ;   in Loop: Header=BB2_3533 Depth=2
	s_delay_alu instid0(SALU_CYCLE_1) | instskip(NEXT) | instid1(VALU_DEP_1)
	s_or_b32 exec_lo, exec_lo, s7
	v_dual_mul_f32 v10, s10, v10 :: v_dual_mov_b32 v83, v33
                                        ; implicit-def: $vgpr117
	s_mov_b32 s7, exec_lo
	s_delay_alu instid0(VALU_DEP_1) | instskip(SKIP_1) | instid1(VALU_DEP_2)
	v_and_b32_e32 v82, 0x7f800000, v10
	v_lshrrev_b32_e32 v11, 24, v10
	v_cmpx_ne_u64_e32 0x7f800000, v[82:83]
	s_xor_b32 s40, exec_lo, s7
	s_cbranch_execz .LBB2_3843
; %bb.3830:                             ;   in Loop: Header=BB2_3533 Depth=2
	v_and_b32_e32 v82, 0x7fffffff, v10
	v_mov_b32_e32 v83, v33
	v_and_b32_e32 v84, 0x80, v11
                                        ; implicit-def: $vgpr117
	s_mov_b32 s7, exec_lo
	s_delay_alu instid0(VALU_DEP_2)
	v_cmpx_gt_u64_e32 0x43e00001, v[82:83]
	s_xor_b32 s41, exec_lo, s7
	s_cbranch_execz .LBB2_3840
; %bb.3831:                             ;   in Loop: Header=BB2_3533 Depth=2
	v_mov_b32_e32 v117, 0
	s_mov_b32 s42, exec_lo
	v_cmpx_ne_u32_e32 0, v10
	s_cbranch_execz .LBB2_3839
; %bb.3832:                             ;   in Loop: Header=BB2_3533 Depth=2
	v_bfe_u32 v85, v10, 23, 8
	v_and_b32_e32 v82, 0x7fffff, v10
	s_mov_b32 s43, exec_lo
	s_delay_alu instid0(VALU_DEP_2) | instskip(NEXT) | instid1(VALU_DEP_2)
	v_cmp_gt_u32_e32 vcc_lo, 0x7a, v85
	v_or_b32_e32 v83, 0x800000, v82
	v_sub_nc_u32_e32 v11, 0x79, v85
	s_delay_alu instid0(VALU_DEP_1) | instskip(SKIP_1) | instid1(VALU_DEP_2)
	v_cndmask_b32_e32 v11, 0, v11, vcc_lo
	v_cmp_eq_u32_e32 vcc_lo, 0, v85
	v_cndmask_b32_e64 v117, v11, 0x78, vcc_lo
	v_dual_cndmask_b32 v82, v83, v82 :: v_dual_mov_b32 v83, v33
	s_delay_alu instid0(VALU_DEP_2) | instskip(NEXT) | instid1(VALU_DEP_1)
	v_dual_add_nc_u32 v119, 19, v117 :: v_dual_add_nc_u32 v10, 20, v117
	v_lshlrev_b64_e64 v[44:45], v119, 1
	s_delay_alu instid0(VALU_DEP_2) | instskip(NEXT) | instid1(VALU_DEP_1)
	v_lshlrev_b64_e64 v[10:11], v10, -1
	v_bfi_b32 v59, v11, 0, 0
	s_delay_alu instid0(VALU_DEP_2) | instskip(SKIP_1) | instid1(VALU_DEP_1)
	v_bfi_b32 v58, v10, 0, v82
	v_lshrrev_b64 v[10:11], v117, v[82:83]
	v_mov_b64_e32 v[82:83], v[10:11]
	s_delay_alu instid0(VALU_DEP_3)
	v_cmpx_eq_u64_e64 v[58:59], v[44:45]
; %bb.3833:                             ;   in Loop: Header=BB2_3533 Depth=2
	v_bfe_u32 v82, v10, 20, 1
	v_mov_b32_e32 v83, v33
	s_delay_alu instid0(VALU_DEP_1) | instskip(NEXT) | instid1(VALU_DEP_1)
	v_add_nc_u64_e32 v[82:83], v[10:11], v[82:83]
	v_add_nc_u64_e32 v[82:83], -1, v[82:83]
; %bb.3834:                             ;   in Loop: Header=BB2_3533 Depth=2
	s_or_b32 exec_lo, exec_lo, s43
	v_add_nc_u32_e32 v11, 0xffffff81, v85
	v_lshrrev_b32_e32 v83, 23, v10
	s_mov_b32 s7, exec_lo
	s_delay_alu instid0(VALU_DEP_2) | instskip(NEXT) | instid1(VALU_DEP_1)
	v_cndmask_b32_e64 v11, v11, 0xffffff82, vcc_lo
	v_add3_u32 v83, v117, v11, v83
	v_and_b32_e32 v11, 0xfffff, v82
                                        ; implicit-def: $vgpr82
	s_delay_alu instid0(VALU_DEP_1) | instskip(SKIP_1) | instid1(VALU_DEP_2)
	v_dual_add_nc_u32 v85, 6, v83 :: v_dual_add_nc_u32 v10, v11, v10
	v_mov_b32_e32 v11, v33
	v_cmpx_ne_u32_e32 0, v85
	s_xor_b32 s7, exec_lo, s7
; %bb.3835:                             ;   in Loop: Header=BB2_3533 Depth=2
	s_delay_alu instid0(VALU_DEP_2) | instskip(SKIP_2) | instid1(VALU_DEP_2)
	v_cmp_lt_u64_e32 vcc_lo, 0xffffff, v[10:11]
	v_add_nc_u32_e32 v82, 7, v83
	v_cndmask_b32_e64 v83, 0, 1, vcc_lo
	v_cndmask_b32_e32 v82, v85, v82, vcc_lo
	s_delay_alu instid0(VALU_DEP_2)
	v_lshrrev_b64 v[10:11], v83, v[10:11]
; %bb.3836:                             ;   in Loop: Header=BB2_3533 Depth=2
	s_and_not1_saveexec_b32 s7, s7
; %bb.3837:                             ;   in Loop: Header=BB2_3533 Depth=2
	s_delay_alu instid0(VALU_DEP_1)
	v_bfe_u32 v82, v10, 23, 1
; %bb.3838:                             ;   in Loop: Header=BB2_3533 Depth=2
	s_or_b32 exec_lo, exec_lo, s7
	s_delay_alu instid0(VALU_DEP_2) | instskip(NEXT) | instid1(VALU_DEP_2)
	v_lshrrev_b64 v[10:11], 20, v[10:11]
	v_cmp_gt_i32_e32 vcc_lo, 16, v82
	v_min_i32_e32 v83, 15, v82
	v_cmp_eq_u32_e64 s7, 0, v82
	s_delay_alu instid0(VALU_DEP_4) | instskip(NEXT) | instid1(VALU_DEP_3)
	v_cndmask_b32_e32 v11, 0, v11, vcc_lo
	v_dual_cndmask_b32 v10, 7, v10 :: v_dual_lshlrev_b32 v83, 3, v83
	s_delay_alu instid0(VALU_DEP_1) | instskip(NEXT) | instid1(VALU_DEP_2)
	v_and_b32_e32 v83, 0xf8, v83
	v_cmp_eq_u64_e32 vcc_lo, 0, v[10:11]
	s_delay_alu instid0(VALU_DEP_2)
	v_and_or_b32 v10, v10, 7, v83
	s_and_b32 s7, s7, vcc_lo
	s_delay_alu instid0(VALU_DEP_1) | instid1(SALU_CYCLE_1)
	v_cndmask_b32_e64 v10, v10, 0, s7
	s_delay_alu instid0(VALU_DEP_1)
	v_or_b32_e32 v117, v10, v84
.LBB2_3839:                             ;   in Loop: Header=BB2_3533 Depth=2
	s_or_b32 exec_lo, exec_lo, s42
                                        ; implicit-def: $vgpr84
.LBB2_3840:                             ;   in Loop: Header=BB2_3533 Depth=2
	s_and_not1_saveexec_b32 s7, s41
; %bb.3841:                             ;   in Loop: Header=BB2_3533 Depth=2
	v_or_b32_e32 v117, 0x7e, v84
; %bb.3842:                             ;   in Loop: Header=BB2_3533 Depth=2
	s_or_b32 exec_lo, exec_lo, s7
                                        ; implicit-def: $vgpr11
.LBB2_3843:                             ;   in Loop: Header=BB2_3533 Depth=2
	s_and_not1_saveexec_b32 s7, s40
; %bb.3844:                             ;   in Loop: Header=BB2_3533 Depth=2
	v_or_b32_e32 v117, 0x7f, v11
; %bb.3845:                             ;   in Loop: Header=BB2_3533 Depth=2
	s_or_b32 exec_lo, exec_lo, s7
	v_lshrrev_b16 v11, 8, v32
	v_mov_b32_e32 v10, 0
	s_mov_b32 s7, exec_lo
	s_delay_alu instid0(VALU_DEP_2)
	v_cmpx_ne_u16_e32 0, v11
	s_cbranch_execz .LBB2_3853
; %bb.3846:                             ;   in Loop: Header=BB2_3533 Depth=2
	v_bfrev_b32_e32 v10, 1
	s_mov_b32 s40, exec_lo
	v_cmpx_ne_u16_e32 0x80, v11
	s_cbranch_execz .LBB2_3852
; %bb.3847:                             ;   in Loop: Header=BB2_3533 Depth=2
	v_and_b32_e32 v11, 0xffff, v11
	v_mov_b32_e32 v10, 0x7f800001
	s_mov_b32 s41, exec_lo
	s_delay_alu instid0(VALU_DEP_2) | instskip(NEXT) | instid1(VALU_DEP_1)
	v_and_b32_e32 v83, 0x7f, v11
	v_cmpx_ne_u32_e32 0x7f, v83
	s_cbranch_execz .LBB2_3851
; %bb.3848:                             ;   in Loop: Header=BB2_3533 Depth=2
	v_dual_mov_b32 v11, v33 :: v_dual_bitop2_b32 v10, 7, v11 bitop3:0x40
	v_lshrrev_b32_e32 v82, 3, v83
	s_mov_b32 s42, exec_lo
	v_cmpx_gt_u32_e32 8, v83
; %bb.3849:                             ;   in Loop: Header=BB2_3533 Depth=2
	s_delay_alu instid0(VALU_DEP_3) | instskip(NEXT) | instid1(VALU_DEP_1)
	v_clz_i32_u32_e32 v82, v10
	v_min_u32_e32 v82, 32, v82
	s_delay_alu instid0(VALU_DEP_1) | instskip(SKIP_1) | instid1(VALU_DEP_2)
	v_subrev_nc_u32_e32 v83, 28, v82
	v_sub_nc_u32_e32 v82, 29, v82
	v_lshlrev_b64_e32 v[10:11], v83, v[10:11]
	s_delay_alu instid0(VALU_DEP_1)
	v_and_b32_e32 v10, 7, v10
; %bb.3850:                             ;   in Loop: Header=BB2_3533 Depth=2
	s_or_b32 exec_lo, exec_lo, s42
	s_delay_alu instid0(VALU_DEP_1) | instskip(SKIP_1) | instid1(VALU_DEP_2)
	v_dual_lshlrev_b32 v11, 16, v32 :: v_dual_lshlrev_b32 v10, 20, v10
	v_lshl_add_u32 v32, v82, 23, 0x3c000000
	v_and_b32_e32 v11, 0x80000000, v11
	s_delay_alu instid0(VALU_DEP_1)
	v_or3_b32 v10, v10, v11, v32
.LBB2_3851:                             ;   in Loop: Header=BB2_3533 Depth=2
	s_or_b32 exec_lo, exec_lo, s41
.LBB2_3852:                             ;   in Loop: Header=BB2_3533 Depth=2
	s_delay_alu instid0(SALU_CYCLE_1)
	s_or_b32 exec_lo, exec_lo, s40
.LBB2_3853:                             ;   in Loop: Header=BB2_3533 Depth=2
	s_delay_alu instid0(SALU_CYCLE_1) | instskip(NEXT) | instid1(VALU_DEP_1)
	s_or_b32 exec_lo, exec_lo, s7
	v_mul_f32_e32 v10, s10, v10
                                        ; implicit-def: $vgpr119
	s_mov_b32 s7, exec_lo
	s_delay_alu instid0(VALU_DEP_1) | instskip(SKIP_1) | instid1(VALU_DEP_2)
	v_and_b32_e32 v32, 0x7f800000, v10
	v_lshrrev_b32_e32 v11, 24, v10
	v_cmpx_ne_u64_e32 0x7f800000, v[32:33]
	s_xor_b32 s40, exec_lo, s7
	s_cbranch_execz .LBB2_3867
; %bb.3854:                             ;   in Loop: Header=BB2_3533 Depth=2
	v_and_b32_e32 v32, 0x7fffffff, v10
	v_and_b32_e32 v84, 0x80, v11
                                        ; implicit-def: $vgpr119
	s_mov_b32 s7, exec_lo
	s_delay_alu instid0(VALU_DEP_2)
	v_cmpx_gt_u64_e32 0x43e00001, v[32:33]
	s_xor_b32 s41, exec_lo, s7
	s_cbranch_execz .LBB2_3864
; %bb.3855:                             ;   in Loop: Header=BB2_3533 Depth=2
	v_mov_b32_e32 v119, 0
	s_mov_b32 s42, exec_lo
	v_cmpx_ne_u32_e32 0, v10
	s_cbranch_execz .LBB2_3863
; %bb.3856:                             ;   in Loop: Header=BB2_3533 Depth=2
	v_bfe_u32 v85, v10, 23, 8
	v_and_b32_e32 v32, 0x7fffff, v10
	s_delay_alu instid0(VALU_DEP_2) | instskip(NEXT) | instid1(VALU_DEP_2)
	v_cmp_gt_u32_e32 vcc_lo, 0x7a, v85
	v_or_b32_e32 v82, 0x800000, v32
	v_sub_nc_u32_e32 v11, 0x79, v85
	s_delay_alu instid0(VALU_DEP_1) | instskip(SKIP_1) | instid1(VALU_DEP_2)
	v_cndmask_b32_e32 v11, 0, v11, vcc_lo
	v_cmp_eq_u32_e32 vcc_lo, 0, v85
	v_cndmask_b32_e64 v119, v11, 0x78, vcc_lo
	s_delay_alu instid0(VALU_DEP_1) | instskip(SKIP_1) | instid1(VALU_DEP_2)
	v_dual_cndmask_b32 v32, v82, v32, vcc_lo :: v_dual_add_nc_u32 v10, 20, v119
	v_add_nc_u32_e32 v83, 19, v119
	v_lshlrev_b64_e64 v[10:11], v10, -1
	s_delay_alu instid0(VALU_DEP_2) | instskip(NEXT) | instid1(VALU_DEP_2)
	v_lshlrev_b64_e64 v[82:83], v83, 1
	v_bfi_b32 v45, v11, 0, 0
	s_delay_alu instid0(VALU_DEP_3) | instskip(SKIP_1) | instid1(VALU_DEP_2)
	v_bfi_b32 v44, v10, 0, v32
	v_lshrrev_b64 v[10:11], v119, v[32:33]
	v_cmp_eq_u64_e64 s7, v[44:45], v[82:83]
	s_delay_alu instid0(VALU_DEP_2)
	v_mov_b64_e32 v[82:83], v[10:11]
	s_and_saveexec_b32 s43, s7
; %bb.3857:                             ;   in Loop: Header=BB2_3533 Depth=2
	v_bfe_u32 v32, v10, 20, 1
	s_delay_alu instid0(VALU_DEP_1) | instskip(NEXT) | instid1(VALU_DEP_1)
	v_add_nc_u64_e32 v[82:83], v[10:11], v[32:33]
	v_add_nc_u64_e32 v[82:83], -1, v[82:83]
; %bb.3858:                             ;   in Loop: Header=BB2_3533 Depth=2
	s_or_b32 exec_lo, exec_lo, s43
	v_add_nc_u32_e32 v11, 0xffffff81, v85
	v_lshrrev_b32_e32 v32, 23, v10
	s_mov_b32 s7, exec_lo
	s_delay_alu instid0(VALU_DEP_2) | instskip(NEXT) | instid1(VALU_DEP_1)
	v_cndmask_b32_e64 v11, v11, 0xffffff82, vcc_lo
	v_add3_u32 v83, v119, v11, v32
	v_and_b32_e32 v11, 0xfffff, v82
                                        ; implicit-def: $vgpr82
	s_delay_alu instid0(VALU_DEP_1) | instskip(NEXT) | instid1(VALU_DEP_1)
	v_dual_add_nc_u32 v85, 6, v83 :: v_dual_add_nc_u32 v32, v11, v10
                                        ; implicit-def: $vgpr10_vgpr11
	v_cmpx_ne_u32_e32 0, v85
	s_xor_b32 s7, exec_lo, s7
; %bb.3859:                             ;   in Loop: Header=BB2_3533 Depth=2
	s_delay_alu instid0(VALU_DEP_2) | instskip(SKIP_1) | instid1(VALU_DEP_1)
	v_cmp_lt_u64_e32 vcc_lo, 0xffffff, v[32:33]
	v_add_nc_u32_e32 v10, 7, v83
	v_cndmask_b32_e32 v82, v85, v10, vcc_lo
	v_cndmask_b32_e64 v10, 0, 1, vcc_lo
	s_delay_alu instid0(VALU_DEP_1)
	v_lshrrev_b64 v[10:11], v10, v[32:33]
; %bb.3860:                             ;   in Loop: Header=BB2_3533 Depth=2
	s_and_not1_saveexec_b32 s7, s7
; %bb.3861:                             ;   in Loop: Header=BB2_3533 Depth=2
	v_mov_b64_e32 v[10:11], v[32:33]
	v_bfe_u32 v82, v32, 23, 1
; %bb.3862:                             ;   in Loop: Header=BB2_3533 Depth=2
	s_or_b32 exec_lo, exec_lo, s7
	s_delay_alu instid0(VALU_DEP_2) | instskip(NEXT) | instid1(VALU_DEP_2)
	v_lshrrev_b64 v[10:11], 20, v[10:11]
	v_cmp_gt_i32_e32 vcc_lo, 16, v82
	v_min_i32_e32 v32, 15, v82
	v_cmp_eq_u32_e64 s7, 0, v82
	s_delay_alu instid0(VALU_DEP_2) | instskip(SKIP_1) | instid1(VALU_DEP_2)
	v_dual_cndmask_b32 v11, 0, v11 :: v_dual_lshlrev_b32 v32, 3, v32
	v_cndmask_b32_e32 v10, 7, v10, vcc_lo
	v_and_b32_e32 v32, 0xf8, v32
	s_delay_alu instid0(VALU_DEP_2) | instskip(NEXT) | instid1(VALU_DEP_2)
	v_cmp_eq_u64_e32 vcc_lo, 0, v[10:11]
	v_and_or_b32 v10, v10, 7, v32
	s_and_b32 s7, s7, vcc_lo
	s_delay_alu instid0(VALU_DEP_1) | instid1(SALU_CYCLE_1)
	v_cndmask_b32_e64 v10, v10, 0, s7
	s_delay_alu instid0(VALU_DEP_1)
	v_or_b32_e32 v119, v10, v84
.LBB2_3863:                             ;   in Loop: Header=BB2_3533 Depth=2
	s_or_b32 exec_lo, exec_lo, s42
                                        ; implicit-def: $vgpr84
.LBB2_3864:                             ;   in Loop: Header=BB2_3533 Depth=2
	s_and_not1_saveexec_b32 s7, s41
; %bb.3865:                             ;   in Loop: Header=BB2_3533 Depth=2
	v_or_b32_e32 v119, 0x7e, v84
; %bb.3866:                             ;   in Loop: Header=BB2_3533 Depth=2
	s_or_b32 exec_lo, exec_lo, s7
                                        ; implicit-def: $vgpr11
.LBB2_3867:                             ;   in Loop: Header=BB2_3533 Depth=2
	s_and_not1_saveexec_b32 s7, s40
; %bb.3868:                             ;   in Loop: Header=BB2_3533 Depth=2
	v_or_b32_e32 v119, 0x7f, v11
; %bb.3869:                             ;   in Loop: Header=BB2_3533 Depth=2
	s_or_b32 exec_lo, exec_lo, s7
	v_dual_mov_b32 v11, 0 :: v_dual_lshrrev_b32 v10, 16, v13
	s_mov_b32 s7, exec_lo
	s_delay_alu instid0(VALU_DEP_1) | instskip(NEXT) | instid1(VALU_DEP_1)
	v_and_b32_e32 v32, 0xff, v10
	v_cmpx_ne_u16_e32 0, v32
	s_cbranch_execz .LBB2_3877
; %bb.3870:                             ;   in Loop: Header=BB2_3533 Depth=2
	v_bfrev_b32_e32 v11, 1
	s_mov_b32 s40, exec_lo
	v_cmpx_ne_u16_e32 0x80, v32
	s_cbranch_execz .LBB2_3876
; %bb.3871:                             ;   in Loop: Header=BB2_3533 Depth=2
	v_bfe_u32 v82, v13, 16, 7
	v_mov_b32_e32 v11, 0x7f800001
	s_mov_b32 s41, exec_lo
	s_delay_alu instid0(VALU_DEP_2)
	v_cmpx_ne_u32_e32 0x7f, v82
	s_cbranch_execz .LBB2_3875
; %bb.3872:                             ;   in Loop: Header=BB2_3533 Depth=2
	v_and_b32_e32 v32, 7, v10
	v_lshrrev_b32_e32 v11, 3, v82
	s_mov_b32 s42, exec_lo
	v_cmpx_gt_u32_e32 8, v82
; %bb.3873:                             ;   in Loop: Header=BB2_3533 Depth=2
	s_delay_alu instid0(VALU_DEP_3) | instskip(NEXT) | instid1(VALU_DEP_1)
	v_clz_i32_u32_e32 v11, v32
	v_min_u32_e32 v11, 32, v11
	s_delay_alu instid0(VALU_DEP_1) | instskip(NEXT) | instid1(VALU_DEP_1)
	v_subrev_nc_u32_e32 v82, 28, v11
	v_lshlrev_b64_e32 v[82:83], v82, v[32:33]
	s_delay_alu instid0(VALU_DEP_1)
	v_dual_sub_nc_u32 v11, 29, v11 :: v_dual_bitop2_b32 v32, 7, v82 bitop3:0x40
; %bb.3874:                             ;   in Loop: Header=BB2_3533 Depth=2
	s_or_b32 exec_lo, exec_lo, s42
	s_delay_alu instid0(VALU_DEP_1) | instskip(NEXT) | instid1(VALU_DEP_2)
	v_dual_lshlrev_b32 v10, 24, v10 :: v_dual_lshlrev_b32 v32, 20, v32
	v_lshl_add_u32 v11, v11, 23, 0x3c000000
	s_delay_alu instid0(VALU_DEP_2) | instskip(NEXT) | instid1(VALU_DEP_1)
	v_and_b32_e32 v10, 0x80000000, v10
	v_or3_b32 v11, v32, v10, v11
.LBB2_3875:                             ;   in Loop: Header=BB2_3533 Depth=2
	s_or_b32 exec_lo, exec_lo, s41
.LBB2_3876:                             ;   in Loop: Header=BB2_3533 Depth=2
	s_delay_alu instid0(SALU_CYCLE_1)
	s_or_b32 exec_lo, exec_lo, s40
.LBB2_3877:                             ;   in Loop: Header=BB2_3533 Depth=2
	s_delay_alu instid0(SALU_CYCLE_1) | instskip(NEXT) | instid1(VALU_DEP_1)
	s_or_b32 exec_lo, exec_lo, s7
	v_mul_f32_e32 v10, s10, v11
                                        ; implicit-def: $vgpr42
	s_mov_b32 s7, exec_lo
	s_delay_alu instid0(VALU_DEP_1) | instskip(SKIP_1) | instid1(VALU_DEP_2)
	v_and_b32_e32 v32, 0x7f800000, v10
	v_lshrrev_b32_e32 v11, 24, v10
	v_cmpx_ne_u64_e32 0x7f800000, v[32:33]
	s_xor_b32 s40, exec_lo, s7
	s_cbranch_execz .LBB2_3891
; %bb.3878:                             ;   in Loop: Header=BB2_3533 Depth=2
	v_and_b32_e32 v32, 0x7fffffff, v10
	v_and_b32_e32 v84, 0x80, v11
                                        ; implicit-def: $vgpr42
	s_mov_b32 s7, exec_lo
	s_delay_alu instid0(VALU_DEP_2)
	v_cmpx_gt_u64_e32 0x43e00001, v[32:33]
	s_xor_b32 s41, exec_lo, s7
	s_cbranch_execz .LBB2_3888
; %bb.3879:                             ;   in Loop: Header=BB2_3533 Depth=2
	v_mov_b32_e32 v42, 0
	s_mov_b32 s42, exec_lo
	v_cmpx_ne_u32_e32 0, v10
	s_cbranch_execz .LBB2_3887
; %bb.3880:                             ;   in Loop: Header=BB2_3533 Depth=2
	v_bfe_u32 v85, v10, 23, 8
	v_and_b32_e32 v32, 0x7fffff, v10
	s_delay_alu instid0(VALU_DEP_2) | instskip(NEXT) | instid1(VALU_DEP_2)
	v_cmp_gt_u32_e32 vcc_lo, 0x7a, v85
	v_or_b32_e32 v82, 0x800000, v32
	v_sub_nc_u32_e32 v11, 0x79, v85
	s_delay_alu instid0(VALU_DEP_1) | instskip(SKIP_1) | instid1(VALU_DEP_2)
	v_cndmask_b32_e32 v11, 0, v11, vcc_lo
	v_cmp_eq_u32_e32 vcc_lo, 0, v85
	v_cndmask_b32_e64 v42, v11, 0x78, vcc_lo
	s_delay_alu instid0(VALU_DEP_1) | instskip(SKIP_1) | instid1(VALU_DEP_2)
	v_dual_cndmask_b32 v32, v82, v32, vcc_lo :: v_dual_add_nc_u32 v10, 20, v42
	v_add_nc_u32_e32 v83, 19, v42
	v_lshlrev_b64_e64 v[10:11], v10, -1
	s_delay_alu instid0(VALU_DEP_2) | instskip(NEXT) | instid1(VALU_DEP_2)
	v_lshlrev_b64_e64 v[82:83], v83, 1
	v_bfi_b32 v45, v11, 0, 0
	s_delay_alu instid0(VALU_DEP_3) | instskip(SKIP_1) | instid1(VALU_DEP_2)
	v_bfi_b32 v44, v10, 0, v32
	v_lshrrev_b64 v[10:11], v42, v[32:33]
	v_cmp_eq_u64_e64 s7, v[44:45], v[82:83]
	s_delay_alu instid0(VALU_DEP_2)
	v_mov_b64_e32 v[82:83], v[10:11]
	s_and_saveexec_b32 s43, s7
; %bb.3881:                             ;   in Loop: Header=BB2_3533 Depth=2
	v_bfe_u32 v32, v10, 20, 1
	s_delay_alu instid0(VALU_DEP_1) | instskip(NEXT) | instid1(VALU_DEP_1)
	v_add_nc_u64_e32 v[82:83], v[10:11], v[32:33]
	v_add_nc_u64_e32 v[82:83], -1, v[82:83]
; %bb.3882:                             ;   in Loop: Header=BB2_3533 Depth=2
	s_or_b32 exec_lo, exec_lo, s43
	v_add_nc_u32_e32 v11, 0xffffff81, v85
	v_lshrrev_b32_e32 v32, 23, v10
	s_mov_b32 s7, exec_lo
	s_delay_alu instid0(VALU_DEP_2) | instskip(NEXT) | instid1(VALU_DEP_1)
	v_cndmask_b32_e64 v11, v11, 0xffffff82, vcc_lo
	v_add3_u32 v83, v42, v11, v32
	v_and_b32_e32 v11, 0xfffff, v82
                                        ; implicit-def: $vgpr82
	s_delay_alu instid0(VALU_DEP_1) | instskip(NEXT) | instid1(VALU_DEP_1)
	v_dual_add_nc_u32 v85, 6, v83 :: v_dual_add_nc_u32 v32, v11, v10
                                        ; implicit-def: $vgpr10_vgpr11
	v_cmpx_ne_u32_e32 0, v85
	s_xor_b32 s7, exec_lo, s7
; %bb.3883:                             ;   in Loop: Header=BB2_3533 Depth=2
	s_delay_alu instid0(VALU_DEP_2) | instskip(SKIP_1) | instid1(VALU_DEP_1)
	v_cmp_lt_u64_e32 vcc_lo, 0xffffff, v[32:33]
	v_add_nc_u32_e32 v10, 7, v83
	v_cndmask_b32_e32 v82, v85, v10, vcc_lo
	v_cndmask_b32_e64 v10, 0, 1, vcc_lo
	s_delay_alu instid0(VALU_DEP_1)
	v_lshrrev_b64 v[10:11], v10, v[32:33]
; %bb.3884:                             ;   in Loop: Header=BB2_3533 Depth=2
	s_and_not1_saveexec_b32 s7, s7
; %bb.3885:                             ;   in Loop: Header=BB2_3533 Depth=2
	v_mov_b64_e32 v[10:11], v[32:33]
	v_bfe_u32 v82, v32, 23, 1
; %bb.3886:                             ;   in Loop: Header=BB2_3533 Depth=2
	s_or_b32 exec_lo, exec_lo, s7
	s_delay_alu instid0(VALU_DEP_2) | instskip(NEXT) | instid1(VALU_DEP_2)
	v_lshrrev_b64 v[10:11], 20, v[10:11]
	v_cmp_gt_i32_e32 vcc_lo, 16, v82
	v_min_i32_e32 v32, 15, v82
	v_cmp_eq_u32_e64 s7, 0, v82
	s_delay_alu instid0(VALU_DEP_2) | instskip(SKIP_1) | instid1(VALU_DEP_2)
	v_dual_cndmask_b32 v11, 0, v11 :: v_dual_lshlrev_b32 v32, 3, v32
	v_cndmask_b32_e32 v10, 7, v10, vcc_lo
	v_and_b32_e32 v32, 0xf8, v32
	s_delay_alu instid0(VALU_DEP_2) | instskip(NEXT) | instid1(VALU_DEP_2)
	v_cmp_eq_u64_e32 vcc_lo, 0, v[10:11]
	v_and_or_b32 v10, v10, 7, v32
	s_and_b32 s7, s7, vcc_lo
	s_delay_alu instid0(VALU_DEP_1) | instid1(SALU_CYCLE_1)
	v_cndmask_b32_e64 v10, v10, 0, s7
	s_delay_alu instid0(VALU_DEP_1)
	v_or_b32_e32 v42, v10, v84
.LBB2_3887:                             ;   in Loop: Header=BB2_3533 Depth=2
	s_or_b32 exec_lo, exec_lo, s42
                                        ; implicit-def: $vgpr84
.LBB2_3888:                             ;   in Loop: Header=BB2_3533 Depth=2
	s_and_not1_saveexec_b32 s7, s41
; %bb.3889:                             ;   in Loop: Header=BB2_3533 Depth=2
	v_or_b32_e32 v42, 0x7e, v84
; %bb.3890:                             ;   in Loop: Header=BB2_3533 Depth=2
	s_or_b32 exec_lo, exec_lo, s7
                                        ; implicit-def: $vgpr11
.LBB2_3891:                             ;   in Loop: Header=BB2_3533 Depth=2
	s_and_not1_saveexec_b32 s7, s40
; %bb.3892:                             ;   in Loop: Header=BB2_3533 Depth=2
	v_or_b32_e32 v42, 0x7f, v11
; %bb.3893:                             ;   in Loop: Header=BB2_3533 Depth=2
	s_or_b32 exec_lo, exec_lo, s7
	v_mov_b32_e32 v11, 0
	s_mov_b32 s7, exec_lo
	v_cmpx_lt_u64_e64 s[12:13], v[12:13]
	s_cbranch_execz .LBB2_3901
; %bb.3894:                             ;   in Loop: Header=BB2_3533 Depth=2
	v_lshrrev_b32_e32 v10, 24, v13
	v_bfrev_b32_e32 v11, 1
	s_mov_b32 s40, exec_lo
	s_delay_alu instid0(VALU_DEP_2)
	v_cmpx_ne_u32_e32 0x80, v10
	s_cbranch_execz .LBB2_3900
; %bb.3895:                             ;   in Loop: Header=BB2_3533 Depth=2
	v_bfe_u32 v12, v13, 24, 7
	v_mov_b32_e32 v11, 0x7f800001
	s_mov_b32 s41, exec_lo
	s_delay_alu instid0(VALU_DEP_2)
	v_cmpx_ne_u32_e32 0x7f, v12
	s_cbranch_execz .LBB2_3899
; %bb.3896:                             ;   in Loop: Header=BB2_3533 Depth=2
	v_dual_lshrrev_b32 v11, 3, v12 :: v_dual_bitop2_b32 v32, 7, v10 bitop3:0x40
	s_mov_b32 s42, exec_lo
	v_cmpx_gt_u32_e32 8, v12
; %bb.3897:                             ;   in Loop: Header=BB2_3533 Depth=2
	s_delay_alu instid0(VALU_DEP_2) | instskip(NEXT) | instid1(VALU_DEP_1)
	v_clz_i32_u32_e32 v11, v32
	v_min_u32_e32 v11, 32, v11
	s_delay_alu instid0(VALU_DEP_1) | instskip(NEXT) | instid1(VALU_DEP_1)
	v_subrev_nc_u32_e32 v12, 28, v11
	v_lshlrev_b64_e32 v[12:13], v12, v[32:33]
	s_delay_alu instid0(VALU_DEP_1)
	v_dual_sub_nc_u32 v11, 29, v11 :: v_dual_bitop2_b32 v32, 7, v12 bitop3:0x40
; %bb.3898:                             ;   in Loop: Header=BB2_3533 Depth=2
	s_or_b32 exec_lo, exec_lo, s42
	s_delay_alu instid0(VALU_DEP_1) | instskip(NEXT) | instid1(VALU_DEP_2)
	v_dual_lshlrev_b32 v10, 24, v10 :: v_dual_lshlrev_b32 v12, 20, v32
	v_lshl_add_u32 v11, v11, 23, 0x3c000000
	s_delay_alu instid0(VALU_DEP_2) | instskip(NEXT) | instid1(VALU_DEP_1)
	v_and_b32_e32 v10, 0x80000000, v10
	v_or3_b32 v11, v12, v10, v11
.LBB2_3899:                             ;   in Loop: Header=BB2_3533 Depth=2
	s_or_b32 exec_lo, exec_lo, s41
.LBB2_3900:                             ;   in Loop: Header=BB2_3533 Depth=2
	s_delay_alu instid0(SALU_CYCLE_1)
	s_or_b32 exec_lo, exec_lo, s40
.LBB2_3901:                             ;   in Loop: Header=BB2_3533 Depth=2
	s_delay_alu instid0(SALU_CYCLE_1) | instskip(NEXT) | instid1(VALU_DEP_1)
	s_or_b32 exec_lo, exec_lo, s7
	v_mul_f32_e32 v10, s10, v11
                                        ; implicit-def: $vgpr45
	s_mov_b32 s7, exec_lo
	s_delay_alu instid0(VALU_DEP_1) | instskip(SKIP_1) | instid1(VALU_DEP_2)
	v_and_b32_e32 v32, 0x7f800000, v10
	v_lshrrev_b32_e32 v11, 24, v10
	v_cmpx_ne_u64_e32 0x7f800000, v[32:33]
	s_xor_b32 s10, exec_lo, s7
	s_cbranch_execz .LBB2_3915
; %bb.3902:                             ;   in Loop: Header=BB2_3533 Depth=2
	v_and_b32_e32 v32, 0x7fffffff, v10
	v_and_b32_e32 v82, 0x80, v11
                                        ; implicit-def: $vgpr45
	s_mov_b32 s7, exec_lo
	s_delay_alu instid0(VALU_DEP_2)
	v_cmpx_gt_u64_e32 0x43e00001, v[32:33]
	s_xor_b32 s40, exec_lo, s7
	s_cbranch_execz .LBB2_3912
; %bb.3903:                             ;   in Loop: Header=BB2_3533 Depth=2
	v_mov_b32_e32 v45, 0
	s_mov_b32 s41, exec_lo
	v_cmpx_ne_u32_e32 0, v10
	s_cbranch_execz .LBB2_3911
; %bb.3904:                             ;   in Loop: Header=BB2_3533 Depth=2
	v_bfe_u32 v83, v10, 23, 8
	v_and_b32_e32 v12, 0x7fffff, v10
	s_delay_alu instid0(VALU_DEP_2) | instskip(NEXT) | instid1(VALU_DEP_2)
	v_cmp_gt_u32_e32 vcc_lo, 0x7a, v83
	v_or_b32_e32 v13, 0x800000, v12
	v_sub_nc_u32_e32 v11, 0x79, v83
	s_delay_alu instid0(VALU_DEP_1) | instskip(SKIP_1) | instid1(VALU_DEP_2)
	v_cndmask_b32_e32 v11, 0, v11, vcc_lo
	v_cmp_eq_u32_e32 vcc_lo, 0, v83
	v_cndmask_b32_e64 v84, v11, 0x78, vcc_lo
	v_cndmask_b32_e32 v32, v13, v12, vcc_lo
	s_delay_alu instid0(VALU_DEP_2) | instskip(NEXT) | instid1(VALU_DEP_1)
	v_dual_add_nc_u32 v10, 20, v84 :: v_dual_add_nc_u32 v85, 19, v84
	v_lshlrev_b64_e64 v[10:11], v10, -1
	s_delay_alu instid0(VALU_DEP_2) | instskip(NEXT) | instid1(VALU_DEP_2)
	v_lshlrev_b64_e64 v[12:13], v85, 1
	v_bfi_b32 v45, v11, 0, 0
	s_delay_alu instid0(VALU_DEP_3) | instskip(SKIP_1) | instid1(VALU_DEP_2)
	v_bfi_b32 v44, v10, 0, v32
	v_lshrrev_b64 v[10:11], v84, v[32:33]
	v_cmp_eq_u64_e64 s7, v[44:45], v[12:13]
	s_delay_alu instid0(VALU_DEP_2)
	v_mov_b64_e32 v[12:13], v[10:11]
	s_and_saveexec_b32 s42, s7
; %bb.3905:                             ;   in Loop: Header=BB2_3533 Depth=2
	v_bfe_u32 v32, v10, 20, 1
	s_delay_alu instid0(VALU_DEP_1) | instskip(NEXT) | instid1(VALU_DEP_1)
	v_add_nc_u64_e32 v[12:13], v[10:11], v[32:33]
	v_add_nc_u64_e32 v[12:13], -1, v[12:13]
; %bb.3906:                             ;   in Loop: Header=BB2_3533 Depth=2
	s_or_b32 exec_lo, exec_lo, s42
	v_add_nc_u32_e32 v11, 0xffffff81, v83
	v_lshrrev_b32_e32 v13, 23, v10
	s_mov_b32 s7, exec_lo
	s_delay_alu instid0(VALU_DEP_2) | instskip(NEXT) | instid1(VALU_DEP_1)
	v_cndmask_b32_e64 v11, v11, 0xffffff82, vcc_lo
	v_add3_u32 v13, v84, v11, v13
	v_and_b32_e32 v11, 0xfffff, v12
                                        ; implicit-def: $vgpr12
	s_delay_alu instid0(VALU_DEP_1) | instskip(NEXT) | instid1(VALU_DEP_1)
	v_dual_add_nc_u32 v83, 6, v13 :: v_dual_add_nc_u32 v32, v11, v10
                                        ; implicit-def: $vgpr10_vgpr11
	v_cmpx_ne_u32_e32 0, v83
	s_xor_b32 s7, exec_lo, s7
; %bb.3907:                             ;   in Loop: Header=BB2_3533 Depth=2
	s_delay_alu instid0(VALU_DEP_2) | instskip(SKIP_1) | instid1(VALU_DEP_1)
	v_cmp_lt_u64_e32 vcc_lo, 0xffffff, v[32:33]
	v_add_nc_u32_e32 v10, 7, v13
	v_cndmask_b32_e32 v12, v83, v10, vcc_lo
	v_cndmask_b32_e64 v10, 0, 1, vcc_lo
	s_delay_alu instid0(VALU_DEP_1)
	v_lshrrev_b64 v[10:11], v10, v[32:33]
; %bb.3908:                             ;   in Loop: Header=BB2_3533 Depth=2
	s_and_not1_saveexec_b32 s7, s7
; %bb.3909:                             ;   in Loop: Header=BB2_3533 Depth=2
	v_mov_b64_e32 v[10:11], v[32:33]
	v_bfe_u32 v12, v32, 23, 1
; %bb.3910:                             ;   in Loop: Header=BB2_3533 Depth=2
	s_or_b32 exec_lo, exec_lo, s7
	s_delay_alu instid0(VALU_DEP_2) | instskip(NEXT) | instid1(VALU_DEP_2)
	v_lshrrev_b64 v[10:11], 20, v[10:11]
	v_cmp_gt_i32_e32 vcc_lo, 16, v12
	v_min_i32_e32 v13, 15, v12
	v_cmp_eq_u32_e64 s7, 0, v12
	s_delay_alu instid0(VALU_DEP_2) | instskip(SKIP_1) | instid1(VALU_DEP_2)
	v_dual_cndmask_b32 v11, 0, v11, vcc_lo :: v_dual_lshlrev_b32 v13, 3, v13
	v_cndmask_b32_e32 v10, 7, v10, vcc_lo
	v_and_b32_e32 v13, 0xf8, v13
	s_delay_alu instid0(VALU_DEP_2) | instskip(NEXT) | instid1(VALU_DEP_2)
	v_cmp_eq_u64_e32 vcc_lo, 0, v[10:11]
	v_and_or_b32 v10, v10, 7, v13
	s_and_b32 s7, s7, vcc_lo
	s_delay_alu instid0(VALU_DEP_1) | instid1(SALU_CYCLE_1)
	v_cndmask_b32_e64 v10, v10, 0, s7
	s_delay_alu instid0(VALU_DEP_1)
	v_or_b32_e32 v45, v10, v82
.LBB2_3911:                             ;   in Loop: Header=BB2_3533 Depth=2
	s_or_b32 exec_lo, exec_lo, s41
                                        ; implicit-def: $vgpr82
.LBB2_3912:                             ;   in Loop: Header=BB2_3533 Depth=2
	s_and_not1_saveexec_b32 s7, s40
; %bb.3913:                             ;   in Loop: Header=BB2_3533 Depth=2
	v_or_b32_e32 v45, 0x7e, v82
; %bb.3914:                             ;   in Loop: Header=BB2_3533 Depth=2
	s_or_b32 exec_lo, exec_lo, s7
                                        ; implicit-def: $vgpr11
.LBB2_3915:                             ;   in Loop: Header=BB2_3533 Depth=2
	s_and_not1_saveexec_b32 s7, s10
; %bb.3916:                             ;   in Loop: Header=BB2_3533 Depth=2
	v_or_b32_e32 v45, 0x7f, v11
; %bb.3917:                             ;   in Loop: Header=BB2_3533 Depth=2
	s_or_b32 exec_lo, exec_lo, s7
	global_load_b128 v[10:13], v[80:81], off th:TH_LOAD_NT
	v_lshl_or_b32 v44, v116, 8, v30
	v_dual_lshlrev_b32 v32, 16, v118 :: v_dual_lshlrev_b32 v82, 24, v41
	s_mov_b32 s7, exec_lo
	s_delay_alu instid0(VALU_DEP_1)
	v_or3_b32 v32, v32, v82, v44
	v_mov_b32_e32 v82, 0
	s_wait_xcnt 0x0
	v_cmpx_ne_u32_e32 0, v30
	s_cbranch_execz .LBB2_3923
; %bb.3918:                             ;   in Loop: Header=BB2_3533 Depth=2
	v_bfrev_b32_e32 v82, 1
	s_mov_b32 s10, exec_lo
	v_cmpx_ne_u32_e32 0x80, v30
	s_cbranch_execz .LBB2_3922
; %bb.3919:                             ;   in Loop: Header=BB2_3533 Depth=2
	v_and_b32_e32 v83, 0x7f, v30
	v_mov_b32_e32 v82, 0x7f800001
	s_mov_b32 s40, exec_lo
	s_delay_alu instid0(VALU_DEP_2)
	v_cmpx_ne_u32_e32 0x7f, v83
	s_cbranch_execz .LBB2_3921
; %bb.3920:                             ;   in Loop: Header=BB2_3533 Depth=2
	v_dual_lshrrev_b32 v82, 3, v83 :: v_dual_bitop2_b32 v30, 7, v30 bitop3:0x40
	v_cmp_gt_u32_e32 vcc_lo, 8, v83
	s_delay_alu instid0(VALU_DEP_2) | instskip(NEXT) | instid1(VALU_DEP_1)
	v_clz_i32_u32_e32 v30, v30
	v_min_u32_e32 v30, 32, v30
	s_delay_alu instid0(VALU_DEP_1) | instskip(SKIP_1) | instid1(VALU_DEP_1)
	v_subrev_nc_u32_e32 v84, 28, v30
	v_sub_nc_u32_e32 v30, 29, v30
	v_dual_cndmask_b32 v30, v82, v30, vcc_lo :: v_dual_cndmask_b32 v82, 0, v84, vcc_lo
	s_delay_alu instid0(VALU_DEP_1) | instskip(SKIP_1) | instid1(VALU_DEP_3)
	v_lshlrev_b64_e32 v[82:83], v82, v[32:33]
	v_lshlrev_b32_e32 v83, 24, v32
	v_lshl_add_u32 v30, v30, 23, 0x3c000000
	s_delay_alu instid0(VALU_DEP_2) | instskip(NEXT) | instid1(VALU_DEP_4)
	v_and_b32_e32 v83, 0x80000000, v83
	v_lshlrev_b32_e32 v82, 20, v82
	s_delay_alu instid0(VALU_DEP_1) | instskip(NEXT) | instid1(VALU_DEP_1)
	v_and_b32_e32 v82, 0x700000, v82
	v_or3_b32 v82, v82, v83, v30
.LBB2_3921:                             ;   in Loop: Header=BB2_3533 Depth=2
	s_or_b32 exec_lo, exec_lo, s40
.LBB2_3922:                             ;   in Loop: Header=BB2_3533 Depth=2
	s_delay_alu instid0(SALU_CYCLE_1)
	s_or_b32 exec_lo, exec_lo, s10
.LBB2_3923:                             ;   in Loop: Header=BB2_3533 Depth=2
	s_delay_alu instid0(SALU_CYCLE_1) | instskip(SKIP_4) | instid1(VALU_DEP_1)
	s_or_b32 exec_lo, exec_lo, s7
	s_wait_loadcnt 0x0
	v_and_b32_e32 v83, 0xff, v10
	s_mov_b32 s7, 0
	s_mov_b32 s10, exec_lo
	v_cmpx_lt_i16_e32 0x7f, v83
	s_xor_b32 s10, exec_lo, s10
	s_cbranch_execnz .LBB2_3954
; %bb.3924:                             ;   in Loop: Header=BB2_3533 Depth=2
	s_or_saveexec_b32 s10, s10
	v_bfrev_b32_e32 v30, 1
	s_xor_b32 exec_lo, exec_lo, s10
	s_cbranch_execnz .LBB2_3957
.LBB2_3925:                             ;   in Loop: Header=BB2_3533 Depth=2
	s_or_b32 exec_lo, exec_lo, s10
	s_and_saveexec_b32 s10, s7
	s_cbranch_execz .LBB2_3927
.LBB2_3926:                             ;   in Loop: Header=BB2_3533 Depth=2
	v_and_b32_e32 v83, 0x7f, v10
	v_bfe_u32 v84, v10, 3, 4
	s_delay_alu instid0(VALU_DEP_2) | instskip(SKIP_1) | instid1(VALU_DEP_1)
	v_cmp_gt_u32_e32 vcc_lo, 8, v83
	v_and_b32_e32 v30, 7, v10
	v_clz_i32_u32_e32 v30, v30
	s_delay_alu instid0(VALU_DEP_1) | instskip(NEXT) | instid1(VALU_DEP_1)
	v_min_u32_e32 v30, 32, v30
	v_subrev_nc_u32_e32 v85, 28, v30
	v_sub_nc_u32_e32 v30, 29, v30
	s_delay_alu instid0(VALU_DEP_1) | instskip(SKIP_1) | instid1(VALU_DEP_2)
	v_dual_cndmask_b32 v30, v84, v30, vcc_lo :: v_dual_cndmask_b32 v84, 0, v85, vcc_lo
	v_cmp_ne_u32_e32 vcc_lo, 0x7f, v83
	v_lshl_add_u32 v30, v30, 23, 0x3c000000
	s_delay_alu instid0(VALU_DEP_3) | instskip(SKIP_1) | instid1(VALU_DEP_1)
	v_lshlrev_b64_e32 v[84:85], v84, v[10:11]
	v_lshlrev_b32_e32 v85, 24, v10
	v_and_b32_e32 v85, 0x80000000, v85
	s_delay_alu instid0(VALU_DEP_3) | instskip(NEXT) | instid1(VALU_DEP_1)
	v_lshlrev_b32_e32 v84, 20, v84
	v_and_b32_e32 v84, 0x700000, v84
	s_delay_alu instid0(VALU_DEP_1) | instskip(NEXT) | instid1(VALU_DEP_1)
	v_or3_b32 v30, v84, v85, v30
	v_cndmask_b32_e32 v30, 0x7f800001, v30, vcc_lo
.LBB2_3927:                             ;   in Loop: Header=BB2_3533 Depth=2
	s_or_b32 exec_lo, exec_lo, s10
	s_delay_alu instid0(VALU_DEP_1) | instskip(SKIP_1) | instid1(VALU_DEP_1)
	v_dual_add_f32 v82, v82, v30 :: v_dual_mov_b32 v85, v33
                                        ; implicit-def: $vgpr116
	s_mov_b32 s7, exec_lo
	v_and_b32_e32 v84, 0x7f800000, v82
	v_lshrrev_b32_e32 v30, 24, v82
	s_delay_alu instid0(VALU_DEP_2)
	v_cmpx_ne_u64_e32 0x7f800000, v[84:85]
	s_xor_b32 s10, exec_lo, s7
	s_cbranch_execz .LBB2_3941
; %bb.3928:                             ;   in Loop: Header=BB2_3533 Depth=2
	v_and_b32_e32 v84, 0x7fffffff, v82
	v_mov_b32_e32 v85, v33
	v_and_b32_e32 v30, 0x80, v30
                                        ; implicit-def: $vgpr116
	s_mov_b32 s7, exec_lo
	s_delay_alu instid0(VALU_DEP_2)
	v_cmpx_gt_u64_e32 0x43e00001, v[84:85]
	s_xor_b32 s40, exec_lo, s7
	s_cbranch_execz .LBB2_3938
; %bb.3929:                             ;   in Loop: Header=BB2_3533 Depth=2
	v_mov_b32_e32 v116, 0
	s_mov_b32 s41, exec_lo
	v_cmpx_ne_u32_e32 0, v82
	s_cbranch_execz .LBB2_3937
; %bb.3930:                             ;   in Loop: Header=BB2_3533 Depth=2
	v_bfe_u32 v116, v82, 23, 8
	v_and_b32_e32 v84, 0x7fffff, v82
	s_mov_b32 s42, exec_lo
	s_delay_alu instid0(VALU_DEP_2) | instskip(SKIP_1) | instid1(VALU_DEP_3)
	v_sub_nc_u32_e32 v83, 0x79, v116
	v_cmp_gt_u32_e32 vcc_lo, 0x7a, v116
	v_or_b32_e32 v85, 0x800000, v84
	s_delay_alu instid0(VALU_DEP_3) | instskip(SKIP_1) | instid1(VALU_DEP_2)
	v_cndmask_b32_e32 v83, 0, v83, vcc_lo
	v_cmp_eq_u32_e32 vcc_lo, 0, v116
	v_cndmask_b32_e64 v118, v83, 0x78, vcc_lo
	s_delay_alu instid0(VALU_DEP_4) | instskip(NEXT) | instid1(VALU_DEP_2)
	v_cndmask_b32_e32 v84, v85, v84, vcc_lo
	v_dual_mov_b32 v85, v33 :: v_dual_add_nc_u32 v82, 20, v118
	v_add_nc_u32_e32 v41, 19, v118
	s_delay_alu instid0(VALU_DEP_2) | instskip(NEXT) | instid1(VALU_DEP_2)
	v_lshlrev_b64_e64 v[82:83], v82, -1
	v_lshlrev_b64_e64 v[58:59], v41, 1
	s_delay_alu instid0(VALU_DEP_2) | instskip(NEXT) | instid1(VALU_DEP_3)
	v_bfi_b32 v61, v83, 0, 0
	v_bfi_b32 v60, v82, 0, v84
	v_lshrrev_b64 v[82:83], v118, v[84:85]
	s_delay_alu instid0(VALU_DEP_1) | instskip(NEXT) | instid1(VALU_DEP_3)
	v_mov_b64_e32 v[84:85], v[82:83]
	v_cmpx_eq_u64_e64 v[60:61], v[58:59]
; %bb.3931:                             ;   in Loop: Header=BB2_3533 Depth=2
	v_bfe_u32 v84, v82, 20, 1
	v_mov_b32_e32 v85, v33
	s_delay_alu instid0(VALU_DEP_1) | instskip(NEXT) | instid1(VALU_DEP_1)
	v_add_nc_u64_e32 v[84:85], v[82:83], v[84:85]
	v_add_nc_u64_e32 v[84:85], -1, v[84:85]
; %bb.3932:                             ;   in Loop: Header=BB2_3533 Depth=2
	s_or_b32 exec_lo, exec_lo, s42
	v_add_nc_u32_e32 v83, 0xffffff81, v116
	v_lshrrev_b32_e32 v85, 23, v82
	s_mov_b32 s7, exec_lo
	s_delay_alu instid0(VALU_DEP_2) | instskip(NEXT) | instid1(VALU_DEP_1)
	v_cndmask_b32_e64 v83, v83, 0xffffff82, vcc_lo
	v_add3_u32 v85, v118, v83, v85
	v_and_b32_e32 v83, 0xfffff, v84
                                        ; implicit-def: $vgpr84
	s_delay_alu instid0(VALU_DEP_1) | instskip(SKIP_1) | instid1(VALU_DEP_2)
	v_dual_add_nc_u32 v116, 6, v85 :: v_dual_add_nc_u32 v82, v83, v82
	v_mov_b32_e32 v83, v33
	v_cmpx_ne_u32_e32 0, v116
	s_xor_b32 s7, exec_lo, s7
; %bb.3933:                             ;   in Loop: Header=BB2_3533 Depth=2
	s_delay_alu instid0(VALU_DEP_2) | instskip(SKIP_2) | instid1(VALU_DEP_2)
	v_cmp_lt_u64_e32 vcc_lo, 0xffffff, v[82:83]
	v_add_nc_u32_e32 v84, 7, v85
	v_cndmask_b32_e64 v85, 0, 1, vcc_lo
	v_cndmask_b32_e32 v84, v116, v84, vcc_lo
	s_delay_alu instid0(VALU_DEP_2)
	v_lshrrev_b64 v[82:83], v85, v[82:83]
; %bb.3934:                             ;   in Loop: Header=BB2_3533 Depth=2
	s_and_not1_saveexec_b32 s7, s7
; %bb.3935:                             ;   in Loop: Header=BB2_3533 Depth=2
	s_delay_alu instid0(VALU_DEP_1)
	v_bfe_u32 v84, v82, 23, 1
; %bb.3936:                             ;   in Loop: Header=BB2_3533 Depth=2
	s_or_b32 exec_lo, exec_lo, s7
	s_delay_alu instid0(VALU_DEP_2) | instskip(NEXT) | instid1(VALU_DEP_2)
	v_lshrrev_b64 v[82:83], 20, v[82:83]
	v_cmp_gt_i32_e32 vcc_lo, 16, v84
	v_min_i32_e32 v85, 15, v84
	v_cmp_eq_u32_e64 s7, 0, v84
	s_delay_alu instid0(VALU_DEP_2) | instskip(SKIP_1) | instid1(VALU_DEP_2)
	v_dual_cndmask_b32 v83, 0, v83, vcc_lo :: v_dual_lshlrev_b32 v85, 3, v85
	v_cndmask_b32_e32 v82, 7, v82, vcc_lo
	v_and_b32_e32 v85, 0xf8, v85
	s_delay_alu instid0(VALU_DEP_2) | instskip(NEXT) | instid1(VALU_DEP_2)
	v_cmp_eq_u64_e32 vcc_lo, 0, v[82:83]
	v_and_or_b32 v82, v82, 7, v85
	s_and_b32 s7, s7, vcc_lo
	s_delay_alu instid0(VALU_DEP_1) | instid1(SALU_CYCLE_1)
	v_cndmask_b32_e64 v82, v82, 0, s7
	s_delay_alu instid0(VALU_DEP_1)
	v_or_b32_e32 v116, v82, v30
.LBB2_3937:                             ;   in Loop: Header=BB2_3533 Depth=2
	s_or_b32 exec_lo, exec_lo, s41
                                        ; implicit-def: $vgpr30
.LBB2_3938:                             ;   in Loop: Header=BB2_3533 Depth=2
	s_and_not1_saveexec_b32 s7, s40
; %bb.3939:                             ;   in Loop: Header=BB2_3533 Depth=2
	v_or_b32_e32 v116, 0x7e, v30
; %bb.3940:                             ;   in Loop: Header=BB2_3533 Depth=2
	s_or_b32 exec_lo, exec_lo, s7
                                        ; implicit-def: $vgpr30
.LBB2_3941:                             ;   in Loop: Header=BB2_3533 Depth=2
	s_and_not1_saveexec_b32 s7, s10
; %bb.3942:                             ;   in Loop: Header=BB2_3533 Depth=2
	v_or_b32_e32 v116, 0x7f, v30
; %bb.3943:                             ;   in Loop: Header=BB2_3533 Depth=2
	s_or_b32 exec_lo, exec_lo, s7
	v_lshrrev_b16 v30, 8, v44
	v_mov_b32_e32 v82, 0
	s_mov_b32 s7, exec_lo
	s_delay_alu instid0(VALU_DEP_2)
	v_cmpx_ne_u16_e32 0, v30
	s_cbranch_execz .LBB2_3951
; %bb.3944:                             ;   in Loop: Header=BB2_3533 Depth=2
	v_bfrev_b32_e32 v82, 1
	s_mov_b32 s10, exec_lo
	v_cmpx_ne_u16_e32 0x80, v30
	s_cbranch_execz .LBB2_3950
; %bb.3945:                             ;   in Loop: Header=BB2_3533 Depth=2
	v_and_b32_e32 v30, 0xffff, v30
	v_mov_b32_e32 v82, 0x7f800001
	s_mov_b32 s40, exec_lo
	s_delay_alu instid0(VALU_DEP_2) | instskip(NEXT) | instid1(VALU_DEP_1)
	v_and_b32_e32 v84, 0x7f, v30
	v_cmpx_ne_u32_e32 0x7f, v84
	s_cbranch_execz .LBB2_3949
; %bb.3946:                             ;   in Loop: Header=BB2_3533 Depth=2
	v_dual_mov_b32 v83, v33 :: v_dual_bitop2_b32 v82, 7, v30 bitop3:0x40
	v_lshrrev_b32_e32 v30, 3, v84
	s_mov_b32 s41, exec_lo
	v_cmpx_gt_u32_e32 8, v84
; %bb.3947:                             ;   in Loop: Header=BB2_3533 Depth=2
	s_delay_alu instid0(VALU_DEP_3) | instskip(NEXT) | instid1(VALU_DEP_1)
	v_clz_i32_u32_e32 v30, v82
	v_min_u32_e32 v30, 32, v30
	s_delay_alu instid0(VALU_DEP_1) | instskip(SKIP_1) | instid1(VALU_DEP_2)
	v_subrev_nc_u32_e32 v84, 28, v30
	v_sub_nc_u32_e32 v30, 29, v30
	v_lshlrev_b64_e32 v[82:83], v84, v[82:83]
	s_delay_alu instid0(VALU_DEP_1)
	v_and_b32_e32 v82, 7, v82
; %bb.3948:                             ;   in Loop: Header=BB2_3533 Depth=2
	s_or_b32 exec_lo, exec_lo, s41
	s_delay_alu instid0(VALU_DEP_1) | instskip(SKIP_1) | instid1(VALU_DEP_2)
	v_dual_lshlrev_b32 v83, 16, v44 :: v_dual_lshlrev_b32 v82, 20, v82
	v_lshl_add_u32 v30, v30, 23, 0x3c000000
	v_and_b32_e32 v83, 0x80000000, v83
	s_delay_alu instid0(VALU_DEP_1)
	v_or3_b32 v82, v82, v83, v30
.LBB2_3949:                             ;   in Loop: Header=BB2_3533 Depth=2
	s_or_b32 exec_lo, exec_lo, s40
.LBB2_3950:                             ;   in Loop: Header=BB2_3533 Depth=2
	s_delay_alu instid0(SALU_CYCLE_1)
	s_or_b32 exec_lo, exec_lo, s10
.LBB2_3951:                             ;   in Loop: Header=BB2_3533 Depth=2
	s_delay_alu instid0(SALU_CYCLE_1) | instskip(SKIP_3) | instid1(VALU_DEP_1)
	s_or_b32 exec_lo, exec_lo, s7
	v_lshrrev_b16 v83, 8, v10
	s_mov_b32 s10, 0
	s_mov_b32 s7, exec_lo
	v_cmpx_lt_i16_e32 0x7f, v83
	s_xor_b32 s7, exec_lo, s7
	s_cbranch_execnz .LBB2_3958
; %bb.3952:                             ;   in Loop: Header=BB2_3533 Depth=2
	s_or_saveexec_b32 s7, s7
	v_bfrev_b32_e32 v84, 1
	s_xor_b32 exec_lo, exec_lo, s7
	s_cbranch_execnz .LBB2_3961
.LBB2_3953:                             ;   in Loop: Header=BB2_3533 Depth=2
	s_or_b32 exec_lo, exec_lo, s7
	s_and_saveexec_b32 s7, s10
	s_cbranch_execnz .LBB2_3962
	s_branch .LBB2_3965
.LBB2_3954:                             ;   in Loop: Header=BB2_3533 Depth=2
	s_mov_b32 s7, -1
	s_mov_b32 s40, exec_lo
	v_cmpx_eq_u16_e32 0x80, v83
; %bb.3955:                             ;   in Loop: Header=BB2_3533 Depth=2
	s_xor_b32 s7, exec_lo, -1
; %bb.3956:                             ;   in Loop: Header=BB2_3533 Depth=2
	s_or_b32 exec_lo, exec_lo, s40
	s_delay_alu instid0(SALU_CYCLE_1)
	s_and_b32 s7, s7, exec_lo
                                        ; implicit-def: $vgpr83
	s_or_saveexec_b32 s10, s10
	v_bfrev_b32_e32 v30, 1
	s_xor_b32 exec_lo, exec_lo, s10
	s_cbranch_execz .LBB2_3925
.LBB2_3957:                             ;   in Loop: Header=BB2_3533 Depth=2
	v_cmp_ne_u16_e32 vcc_lo, 0, v83
	v_mov_b32_e32 v30, 0
	s_and_not1_b32 s7, s7, exec_lo
	s_and_b32 s40, vcc_lo, exec_lo
	s_delay_alu instid0(SALU_CYCLE_1)
	s_or_b32 s7, s7, s40
	s_or_b32 exec_lo, exec_lo, s10
	s_and_saveexec_b32 s10, s7
	s_cbranch_execnz .LBB2_3926
	s_branch .LBB2_3927
.LBB2_3958:                             ;   in Loop: Header=BB2_3533 Depth=2
	s_mov_b32 s10, -1
	s_mov_b32 s40, exec_lo
	v_cmpx_eq_u16_e32 0x80, v83
; %bb.3959:                             ;   in Loop: Header=BB2_3533 Depth=2
	s_xor_b32 s10, exec_lo, -1
; %bb.3960:                             ;   in Loop: Header=BB2_3533 Depth=2
	s_or_b32 exec_lo, exec_lo, s40
	s_delay_alu instid0(SALU_CYCLE_1)
	s_and_b32 s10, s10, exec_lo
	s_or_saveexec_b32 s7, s7
	v_bfrev_b32_e32 v84, 1
	s_xor_b32 exec_lo, exec_lo, s7
	s_cbranch_execz .LBB2_3953
.LBB2_3961:                             ;   in Loop: Header=BB2_3533 Depth=2
	v_cmp_ne_u16_e32 vcc_lo, 0, v83
	v_mov_b32_e32 v84, 0
	s_and_not1_b32 s10, s10, exec_lo
	s_and_b32 s40, vcc_lo, exec_lo
	s_delay_alu instid0(SALU_CYCLE_1)
	s_or_b32 s10, s10, s40
	s_or_b32 exec_lo, exec_lo, s7
	s_and_saveexec_b32 s7, s10
	s_cbranch_execz .LBB2_3965
.LBB2_3962:                             ;   in Loop: Header=BB2_3533 Depth=2
	v_and_b32_e32 v30, 0xffff, v83
	v_mov_b32_e32 v84, 0x7f800001
	s_mov_b32 s10, exec_lo
	s_delay_alu instid0(VALU_DEP_2) | instskip(NEXT) | instid1(VALU_DEP_1)
	v_and_b32_e32 v85, 0x7f, v30
	v_cmpx_ne_u32_e32 0x7f, v85
	s_cbranch_execz .LBB2_3964
; %bb.3963:                             ;   in Loop: Header=BB2_3533 Depth=2
	v_and_b32_e32 v84, 7, v30
	v_cmp_gt_u32_e32 vcc_lo, 8, v85
	v_lshlrev_b32_e32 v83, 24, v83
	s_delay_alu instid0(VALU_DEP_3) | instskip(NEXT) | instid1(VALU_DEP_2)
	v_clz_i32_u32_e32 v118, v84
	v_and_b32_e32 v83, 0x80000000, v83
	s_delay_alu instid0(VALU_DEP_2) | instskip(NEXT) | instid1(VALU_DEP_1)
	v_min_u32_e32 v118, 32, v118
	v_subrev_nc_u32_e32 v41, 28, v118
	v_sub_nc_u32_e32 v118, 29, v118
	s_delay_alu instid0(VALU_DEP_2) | instskip(NEXT) | instid1(VALU_DEP_1)
	v_lshlrev_b64_e32 v[58:59], v41, v[30:31]
	v_dual_lshrrev_b32 v30, 3, v85 :: v_dual_bitop2_b32 v85, 7, v58 bitop3:0x40
	s_delay_alu instid0(VALU_DEP_1) | instskip(NEXT) | instid1(VALU_DEP_1)
	v_dual_cndmask_b32 v30, v30, v118, vcc_lo :: v_dual_cndmask_b32 v84, v84, v85, vcc_lo
	v_lshl_add_u32 v30, v30, 23, 0x3c000000
	s_delay_alu instid0(VALU_DEP_2) | instskip(NEXT) | instid1(VALU_DEP_1)
	v_lshlrev_b32_e32 v84, 20, v84
	v_or3_b32 v84, v84, v83, v30
.LBB2_3964:                             ;   in Loop: Header=BB2_3533 Depth=2
	s_or_b32 exec_lo, exec_lo, s10
.LBB2_3965:                             ;   in Loop: Header=BB2_3533 Depth=2
	s_delay_alu instid0(SALU_CYCLE_1) | instskip(NEXT) | instid1(VALU_DEP_1)
	s_or_b32 exec_lo, exec_lo, s7
	v_dual_add_f32 v82, v82, v84 :: v_dual_mov_b32 v85, v33
                                        ; implicit-def: $vgpr118
	s_mov_b32 s7, exec_lo
	s_delay_alu instid0(VALU_DEP_1) | instskip(SKIP_1) | instid1(VALU_DEP_2)
	v_and_b32_e32 v84, 0x7f800000, v82
	v_lshrrev_b32_e32 v30, 24, v82
	v_cmpx_ne_u64_e32 0x7f800000, v[84:85]
	s_xor_b32 s10, exec_lo, s7
	s_cbranch_execz .LBB2_3979
; %bb.3966:                             ;   in Loop: Header=BB2_3533 Depth=2
	v_and_b32_e32 v84, 0x7fffffff, v82
	v_mov_b32_e32 v85, v33
	v_and_b32_e32 v30, 0x80, v30
                                        ; implicit-def: $vgpr118
	s_mov_b32 s7, exec_lo
	s_delay_alu instid0(VALU_DEP_2)
	v_cmpx_gt_u64_e32 0x43e00001, v[84:85]
	s_xor_b32 s40, exec_lo, s7
	s_cbranch_execz .LBB2_3976
; %bb.3967:                             ;   in Loop: Header=BB2_3533 Depth=2
	v_mov_b32_e32 v118, 0
	s_mov_b32 s41, exec_lo
	v_cmpx_ne_u32_e32 0, v82
	s_cbranch_execz .LBB2_3975
; %bb.3968:                             ;   in Loop: Header=BB2_3533 Depth=2
	v_bfe_u32 v118, v82, 23, 8
	v_and_b32_e32 v84, 0x7fffff, v82
	s_mov_b32 s42, exec_lo
	s_delay_alu instid0(VALU_DEP_2) | instskip(NEXT) | instid1(VALU_DEP_2)
	v_cmp_gt_u32_e32 vcc_lo, 0x7a, v118
	v_or_b32_e32 v85, 0x800000, v84
	v_sub_nc_u32_e32 v83, 0x79, v118
	s_delay_alu instid0(VALU_DEP_1) | instskip(SKIP_1) | instid1(VALU_DEP_2)
	v_cndmask_b32_e32 v83, 0, v83, vcc_lo
	v_cmp_eq_u32_e32 vcc_lo, 0, v118
	v_cndmask_b32_e64 v41, v83, 0x78, vcc_lo
	v_cndmask_b32_e32 v84, v85, v84, vcc_lo
	s_delay_alu instid0(VALU_DEP_2) | instskip(SKIP_1) | instid1(VALU_DEP_2)
	v_dual_mov_b32 v85, v33 :: v_dual_add_nc_u32 v44, 19, v41
	v_add_nc_u32_e32 v82, 20, v41
	v_lshlrev_b64_e64 v[58:59], v44, 1
	s_delay_alu instid0(VALU_DEP_2) | instskip(NEXT) | instid1(VALU_DEP_1)
	v_lshlrev_b64_e64 v[82:83], v82, -1
	v_bfi_b32 v61, v83, 0, 0
	s_delay_alu instid0(VALU_DEP_2) | instskip(SKIP_1) | instid1(VALU_DEP_1)
	v_bfi_b32 v60, v82, 0, v84
	v_lshrrev_b64 v[82:83], v41, v[84:85]
	v_mov_b64_e32 v[84:85], v[82:83]
	s_delay_alu instid0(VALU_DEP_3)
	v_cmpx_eq_u64_e64 v[60:61], v[58:59]
; %bb.3969:                             ;   in Loop: Header=BB2_3533 Depth=2
	v_bfe_u32 v84, v82, 20, 1
	v_mov_b32_e32 v85, v33
	s_delay_alu instid0(VALU_DEP_1) | instskip(NEXT) | instid1(VALU_DEP_1)
	v_add_nc_u64_e32 v[84:85], v[82:83], v[84:85]
	v_add_nc_u64_e32 v[84:85], -1, v[84:85]
; %bb.3970:                             ;   in Loop: Header=BB2_3533 Depth=2
	s_or_b32 exec_lo, exec_lo, s42
	v_add_nc_u32_e32 v83, 0xffffff81, v118
	v_lshrrev_b32_e32 v85, 23, v82
	s_mov_b32 s7, exec_lo
	s_delay_alu instid0(VALU_DEP_2) | instskip(NEXT) | instid1(VALU_DEP_1)
	v_cndmask_b32_e64 v83, v83, 0xffffff82, vcc_lo
	v_add3_u32 v85, v41, v83, v85
	v_and_b32_e32 v83, 0xfffff, v84
                                        ; implicit-def: $vgpr84
	s_delay_alu instid0(VALU_DEP_1) | instskip(SKIP_1) | instid1(VALU_DEP_2)
	v_dual_add_nc_u32 v118, 6, v85 :: v_dual_add_nc_u32 v82, v83, v82
	v_mov_b32_e32 v83, v33
	v_cmpx_ne_u32_e32 0, v118
	s_xor_b32 s7, exec_lo, s7
; %bb.3971:                             ;   in Loop: Header=BB2_3533 Depth=2
	s_delay_alu instid0(VALU_DEP_2) | instskip(SKIP_2) | instid1(VALU_DEP_2)
	v_cmp_lt_u64_e32 vcc_lo, 0xffffff, v[82:83]
	v_add_nc_u32_e32 v84, 7, v85
	v_cndmask_b32_e64 v85, 0, 1, vcc_lo
	v_cndmask_b32_e32 v84, v118, v84, vcc_lo
	s_delay_alu instid0(VALU_DEP_2)
	v_lshrrev_b64 v[82:83], v85, v[82:83]
; %bb.3972:                             ;   in Loop: Header=BB2_3533 Depth=2
	s_and_not1_saveexec_b32 s7, s7
; %bb.3973:                             ;   in Loop: Header=BB2_3533 Depth=2
	s_delay_alu instid0(VALU_DEP_1)
	v_bfe_u32 v84, v82, 23, 1
; %bb.3974:                             ;   in Loop: Header=BB2_3533 Depth=2
	s_or_b32 exec_lo, exec_lo, s7
	s_delay_alu instid0(VALU_DEP_2) | instskip(NEXT) | instid1(VALU_DEP_2)
	v_lshrrev_b64 v[82:83], 20, v[82:83]
	v_cmp_gt_i32_e32 vcc_lo, 16, v84
	v_min_i32_e32 v85, 15, v84
	v_cmp_eq_u32_e64 s7, 0, v84
	s_delay_alu instid0(VALU_DEP_2) | instskip(SKIP_1) | instid1(VALU_DEP_2)
	v_dual_cndmask_b32 v83, 0, v83, vcc_lo :: v_dual_lshlrev_b32 v85, 3, v85
	v_cndmask_b32_e32 v82, 7, v82, vcc_lo
	v_and_b32_e32 v85, 0xf8, v85
	s_delay_alu instid0(VALU_DEP_2) | instskip(NEXT) | instid1(VALU_DEP_2)
	v_cmp_eq_u64_e32 vcc_lo, 0, v[82:83]
	v_and_or_b32 v82, v82, 7, v85
	s_and_b32 s7, s7, vcc_lo
	s_delay_alu instid0(VALU_DEP_1) | instid1(SALU_CYCLE_1)
	v_cndmask_b32_e64 v82, v82, 0, s7
	s_delay_alu instid0(VALU_DEP_1)
	v_or_b32_e32 v118, v82, v30
.LBB2_3975:                             ;   in Loop: Header=BB2_3533 Depth=2
	s_or_b32 exec_lo, exec_lo, s41
                                        ; implicit-def: $vgpr30
.LBB2_3976:                             ;   in Loop: Header=BB2_3533 Depth=2
	s_and_not1_saveexec_b32 s7, s40
; %bb.3977:                             ;   in Loop: Header=BB2_3533 Depth=2
	v_or_b32_e32 v118, 0x7e, v30
; %bb.3978:                             ;   in Loop: Header=BB2_3533 Depth=2
	s_or_b32 exec_lo, exec_lo, s7
                                        ; implicit-def: $vgpr30
.LBB2_3979:                             ;   in Loop: Header=BB2_3533 Depth=2
	s_and_not1_saveexec_b32 s7, s10
; %bb.3980:                             ;   in Loop: Header=BB2_3533 Depth=2
	v_or_b32_e32 v118, 0x7f, v30
; %bb.3981:                             ;   in Loop: Header=BB2_3533 Depth=2
	s_or_b32 exec_lo, exec_lo, s7
	v_dual_lshrrev_b32 v30, 16, v32 :: v_dual_mov_b32 v82, 0
	s_mov_b32 s7, exec_lo
	s_delay_alu instid0(VALU_DEP_1) | instskip(NEXT) | instid1(VALU_DEP_1)
	v_and_b32_e32 v83, 0xff, v30
	v_cmpx_ne_u16_e32 0, v83
	s_cbranch_execz .LBB2_3989
; %bb.3982:                             ;   in Loop: Header=BB2_3533 Depth=2
	v_bfrev_b32_e32 v82, 1
	s_mov_b32 s10, exec_lo
	v_cmpx_ne_u16_e32 0x80, v83
	s_cbranch_execz .LBB2_3988
; %bb.3983:                             ;   in Loop: Header=BB2_3533 Depth=2
	v_bfe_u32 v85, v32, 16, 7
	v_mov_b32_e32 v82, 0x7f800001
	s_mov_b32 s40, exec_lo
	s_delay_alu instid0(VALU_DEP_2)
	v_cmpx_ne_u32_e32 0x7f, v85
	s_cbranch_execz .LBB2_3987
; %bb.3984:                             ;   in Loop: Header=BB2_3533 Depth=2
	v_dual_mov_b32 v83, v33 :: v_dual_bitop2_b32 v82, 7, v30 bitop3:0x40
	v_lshrrev_b32_e32 v84, 3, v85
	s_mov_b32 s41, exec_lo
	v_cmpx_gt_u32_e32 8, v85
; %bb.3985:                             ;   in Loop: Header=BB2_3533 Depth=2
	s_delay_alu instid0(VALU_DEP_3) | instskip(NEXT) | instid1(VALU_DEP_1)
	v_clz_i32_u32_e32 v84, v82
	v_min_u32_e32 v84, 32, v84
	s_delay_alu instid0(VALU_DEP_1) | instskip(NEXT) | instid1(VALU_DEP_1)
	v_subrev_nc_u32_e32 v85, 28, v84
	v_lshlrev_b64_e32 v[82:83], v85, v[82:83]
	s_delay_alu instid0(VALU_DEP_1)
	v_dual_sub_nc_u32 v84, 29, v84 :: v_dual_bitop2_b32 v82, 7, v82 bitop3:0x40
; %bb.3986:                             ;   in Loop: Header=BB2_3533 Depth=2
	s_or_b32 exec_lo, exec_lo, s41
	v_lshlrev_b32_e32 v30, 24, v30
	s_delay_alu instid0(VALU_DEP_2) | instskip(NEXT) | instid1(VALU_DEP_3)
	v_lshlrev_b32_e32 v82, 20, v82
	v_lshl_add_u32 v83, v84, 23, 0x3c000000
	s_delay_alu instid0(VALU_DEP_3) | instskip(NEXT) | instid1(VALU_DEP_1)
	v_and_b32_e32 v30, 0x80000000, v30
	v_or3_b32 v82, v82, v30, v83
.LBB2_3987:                             ;   in Loop: Header=BB2_3533 Depth=2
	s_or_b32 exec_lo, exec_lo, s40
.LBB2_3988:                             ;   in Loop: Header=BB2_3533 Depth=2
	s_delay_alu instid0(SALU_CYCLE_1)
	s_or_b32 exec_lo, exec_lo, s10
.LBB2_3989:                             ;   in Loop: Header=BB2_3533 Depth=2
	s_delay_alu instid0(SALU_CYCLE_1) | instskip(SKIP_3) | instid1(VALU_DEP_1)
	s_or_b32 exec_lo, exec_lo, s7
	v_lshrrev_b32_e32 v30, 16, v10
	s_mov_b32 s10, 0
	s_mov_b32 s7, exec_lo
	v_and_b32_e32 v84, 0xff, v30
	s_delay_alu instid0(VALU_DEP_1)
	v_cmpx_lt_i16_e32 0x7f, v84
	s_xor_b32 s7, exec_lo, s7
	s_cbranch_execnz .LBB2_3992
; %bb.3990:                             ;   in Loop: Header=BB2_3533 Depth=2
	s_or_saveexec_b32 s7, s7
	v_bfrev_b32_e32 v83, 1
	s_xor_b32 exec_lo, exec_lo, s7
	s_cbranch_execnz .LBB2_3995
.LBB2_3991:                             ;   in Loop: Header=BB2_3533 Depth=2
	s_or_b32 exec_lo, exec_lo, s7
	s_and_saveexec_b32 s7, s10
	s_cbranch_execnz .LBB2_3996
	s_branch .LBB2_3999
.LBB2_3992:                             ;   in Loop: Header=BB2_3533 Depth=2
	s_mov_b32 s10, -1
	s_mov_b32 s40, exec_lo
	v_cmpx_eq_u16_e32 0x80, v84
; %bb.3993:                             ;   in Loop: Header=BB2_3533 Depth=2
	s_xor_b32 s10, exec_lo, -1
; %bb.3994:                             ;   in Loop: Header=BB2_3533 Depth=2
	s_or_b32 exec_lo, exec_lo, s40
	s_delay_alu instid0(SALU_CYCLE_1)
	s_and_b32 s10, s10, exec_lo
                                        ; implicit-def: $vgpr84
	s_or_saveexec_b32 s7, s7
	v_bfrev_b32_e32 v83, 1
	s_xor_b32 exec_lo, exec_lo, s7
	s_cbranch_execz .LBB2_3991
.LBB2_3995:                             ;   in Loop: Header=BB2_3533 Depth=2
	v_cmp_ne_u16_e32 vcc_lo, 0, v84
	v_mov_b32_e32 v83, 0
	s_and_not1_b32 s10, s10, exec_lo
	s_and_b32 s40, vcc_lo, exec_lo
	s_delay_alu instid0(SALU_CYCLE_1)
	s_or_b32 s10, s10, s40
	s_or_b32 exec_lo, exec_lo, s7
	s_and_saveexec_b32 s7, s10
	s_cbranch_execz .LBB2_3999
.LBB2_3996:                             ;   in Loop: Header=BB2_3533 Depth=2
	v_and_b32_e32 v84, 0x7f, v30
	v_mov_b32_e32 v83, 0x7f800001
	s_mov_b32 s10, exec_lo
	s_delay_alu instid0(VALU_DEP_2)
	v_cmpx_ne_u32_e32 0x7f, v84
	s_cbranch_execz .LBB2_3998
; %bb.3997:                             ;   in Loop: Header=BB2_3533 Depth=2
	v_and_b32_e32 v83, 7, v30
	v_cmp_gt_u32_e32 vcc_lo, 8, v84
	s_delay_alu instid0(VALU_DEP_2) | instskip(NEXT) | instid1(VALU_DEP_1)
	v_clz_i32_u32_e32 v85, v83
	v_min_u32_e32 v85, 32, v85
	s_delay_alu instid0(VALU_DEP_1) | instskip(NEXT) | instid1(VALU_DEP_1)
	v_subrev_nc_u32_e32 v41, 28, v85
	v_lshlrev_b64_e32 v[58:59], v41, v[30:31]
	v_dual_lshrrev_b32 v41, 3, v84 :: v_dual_sub_nc_u32 v85, 29, v85
	s_delay_alu instid0(VALU_DEP_2) | instskip(NEXT) | instid1(VALU_DEP_2)
	v_and_b32_e32 v84, 7, v58
	v_dual_cndmask_b32 v85, v41, v85 :: v_dual_lshlrev_b32 v30, 24, v30
	s_delay_alu instid0(VALU_DEP_2) | instskip(NEXT) | instid1(VALU_DEP_2)
	v_cndmask_b32_e32 v83, v83, v84, vcc_lo
	v_and_b32_e32 v30, 0x80000000, v30
	s_delay_alu instid0(VALU_DEP_3) | instskip(NEXT) | instid1(VALU_DEP_3)
	v_lshl_add_u32 v84, v85, 23, 0x3c000000
	v_lshlrev_b32_e32 v83, 20, v83
	s_delay_alu instid0(VALU_DEP_1)
	v_or3_b32 v83, v83, v30, v84
.LBB2_3998:                             ;   in Loop: Header=BB2_3533 Depth=2
	s_or_b32 exec_lo, exec_lo, s10
.LBB2_3999:                             ;   in Loop: Header=BB2_3533 Depth=2
	s_delay_alu instid0(SALU_CYCLE_1) | instskip(NEXT) | instid1(VALU_DEP_1)
	s_or_b32 exec_lo, exec_lo, s7
	v_dual_add_f32 v82, v82, v83 :: v_dual_mov_b32 v85, v33
                                        ; implicit-def: $vgpr41
	s_mov_b32 s7, exec_lo
	s_delay_alu instid0(VALU_DEP_1) | instskip(SKIP_1) | instid1(VALU_DEP_2)
	v_and_b32_e32 v84, 0x7f800000, v82
	v_lshrrev_b32_e32 v30, 24, v82
	v_cmpx_ne_u64_e32 0x7f800000, v[84:85]
	s_xor_b32 s10, exec_lo, s7
	s_cbranch_execz .LBB2_4013
; %bb.4000:                             ;   in Loop: Header=BB2_3533 Depth=2
	v_and_b32_e32 v84, 0x7fffffff, v82
	v_mov_b32_e32 v85, v33
	v_and_b32_e32 v30, 0x80, v30
                                        ; implicit-def: $vgpr41
	s_mov_b32 s7, exec_lo
	s_delay_alu instid0(VALU_DEP_2)
	v_cmpx_gt_u64_e32 0x43e00001, v[84:85]
	s_xor_b32 s40, exec_lo, s7
	s_cbranch_execz .LBB2_4010
; %bb.4001:                             ;   in Loop: Header=BB2_3533 Depth=2
	v_mov_b32_e32 v41, 0
	s_mov_b32 s41, exec_lo
	v_cmpx_ne_u32_e32 0, v82
	s_cbranch_execz .LBB2_4009
; %bb.4002:                             ;   in Loop: Header=BB2_3533 Depth=2
	v_bfe_u32 v41, v82, 23, 8
	v_and_b32_e32 v84, 0x7fffff, v82
	s_mov_b32 s42, exec_lo
	s_delay_alu instid0(VALU_DEP_2) | instskip(NEXT) | instid1(VALU_DEP_2)
	v_cmp_gt_u32_e32 vcc_lo, 0x7a, v41
	v_or_b32_e32 v85, 0x800000, v84
	v_sub_nc_u32_e32 v83, 0x79, v41
	s_delay_alu instid0(VALU_DEP_1) | instskip(SKIP_1) | instid1(VALU_DEP_2)
	v_cndmask_b32_e32 v83, 0, v83, vcc_lo
	v_cmp_eq_u32_e32 vcc_lo, 0, v41
	v_cndmask_b32_e64 v44, v83, 0x78, vcc_lo
	v_cndmask_b32_e32 v84, v85, v84, vcc_lo
	s_delay_alu instid0(VALU_DEP_2) | instskip(SKIP_1) | instid1(VALU_DEP_2)
	v_dual_mov_b32 v85, v33 :: v_dual_add_nc_u32 v58, 19, v44
	v_add_nc_u32_e32 v82, 20, v44
	v_lshlrev_b64_e64 v[58:59], v58, 1
	s_delay_alu instid0(VALU_DEP_2) | instskip(NEXT) | instid1(VALU_DEP_1)
	v_lshlrev_b64_e64 v[82:83], v82, -1
	v_bfi_b32 v61, v83, 0, 0
	s_delay_alu instid0(VALU_DEP_2) | instskip(SKIP_1) | instid1(VALU_DEP_1)
	v_bfi_b32 v60, v82, 0, v84
	v_lshrrev_b64 v[82:83], v44, v[84:85]
	v_mov_b64_e32 v[84:85], v[82:83]
	s_delay_alu instid0(VALU_DEP_3)
	v_cmpx_eq_u64_e64 v[60:61], v[58:59]
; %bb.4003:                             ;   in Loop: Header=BB2_3533 Depth=2
	v_bfe_u32 v84, v82, 20, 1
	v_mov_b32_e32 v85, v33
	s_delay_alu instid0(VALU_DEP_1) | instskip(NEXT) | instid1(VALU_DEP_1)
	v_add_nc_u64_e32 v[84:85], v[82:83], v[84:85]
	v_add_nc_u64_e32 v[84:85], -1, v[84:85]
; %bb.4004:                             ;   in Loop: Header=BB2_3533 Depth=2
	s_or_b32 exec_lo, exec_lo, s42
	v_add_nc_u32_e32 v83, 0xffffff81, v41
	v_lshrrev_b32_e32 v85, 23, v82
	s_mov_b32 s7, exec_lo
	s_delay_alu instid0(VALU_DEP_2) | instskip(NEXT) | instid1(VALU_DEP_1)
	v_cndmask_b32_e64 v83, v83, 0xffffff82, vcc_lo
	v_add3_u32 v85, v44, v83, v85
	v_and_b32_e32 v83, 0xfffff, v84
                                        ; implicit-def: $vgpr84
	s_delay_alu instid0(VALU_DEP_1) | instskip(SKIP_1) | instid1(VALU_DEP_2)
	v_dual_add_nc_u32 v41, 6, v85 :: v_dual_add_nc_u32 v82, v83, v82
	v_mov_b32_e32 v83, v33
	v_cmpx_ne_u32_e32 0, v41
	s_xor_b32 s7, exec_lo, s7
; %bb.4005:                             ;   in Loop: Header=BB2_3533 Depth=2
	s_delay_alu instid0(VALU_DEP_2) | instskip(SKIP_2) | instid1(VALU_DEP_2)
	v_cmp_lt_u64_e32 vcc_lo, 0xffffff, v[82:83]
	v_add_nc_u32_e32 v84, 7, v85
	v_cndmask_b32_e64 v85, 0, 1, vcc_lo
	v_cndmask_b32_e32 v84, v41, v84, vcc_lo
	s_delay_alu instid0(VALU_DEP_2)
	v_lshrrev_b64 v[82:83], v85, v[82:83]
; %bb.4006:                             ;   in Loop: Header=BB2_3533 Depth=2
	s_and_not1_saveexec_b32 s7, s7
; %bb.4007:                             ;   in Loop: Header=BB2_3533 Depth=2
	s_delay_alu instid0(VALU_DEP_1)
	v_bfe_u32 v84, v82, 23, 1
; %bb.4008:                             ;   in Loop: Header=BB2_3533 Depth=2
	s_or_b32 exec_lo, exec_lo, s7
	s_delay_alu instid0(VALU_DEP_2) | instskip(NEXT) | instid1(VALU_DEP_2)
	v_lshrrev_b64 v[82:83], 20, v[82:83]
	v_cmp_gt_i32_e32 vcc_lo, 16, v84
	v_min_i32_e32 v85, 15, v84
	v_cmp_eq_u32_e64 s7, 0, v84
	s_delay_alu instid0(VALU_DEP_2) | instskip(SKIP_1) | instid1(VALU_DEP_2)
	v_dual_cndmask_b32 v83, 0, v83, vcc_lo :: v_dual_lshlrev_b32 v85, 3, v85
	v_cndmask_b32_e32 v82, 7, v82, vcc_lo
	v_and_b32_e32 v85, 0xf8, v85
	s_delay_alu instid0(VALU_DEP_2) | instskip(NEXT) | instid1(VALU_DEP_2)
	v_cmp_eq_u64_e32 vcc_lo, 0, v[82:83]
	v_and_or_b32 v82, v82, 7, v85
	s_and_b32 s7, s7, vcc_lo
	s_delay_alu instid0(VALU_DEP_1) | instid1(SALU_CYCLE_1)
	v_cndmask_b32_e64 v82, v82, 0, s7
	s_delay_alu instid0(VALU_DEP_1)
	v_or_b32_e32 v41, v82, v30
.LBB2_4009:                             ;   in Loop: Header=BB2_3533 Depth=2
	s_or_b32 exec_lo, exec_lo, s41
                                        ; implicit-def: $vgpr30
.LBB2_4010:                             ;   in Loop: Header=BB2_3533 Depth=2
	s_and_not1_saveexec_b32 s7, s40
; %bb.4011:                             ;   in Loop: Header=BB2_3533 Depth=2
	v_or_b32_e32 v41, 0x7e, v30
; %bb.4012:                             ;   in Loop: Header=BB2_3533 Depth=2
	s_or_b32 exec_lo, exec_lo, s7
                                        ; implicit-def: $vgpr30
.LBB2_4013:                             ;   in Loop: Header=BB2_3533 Depth=2
	s_and_not1_saveexec_b32 s7, s10
; %bb.4014:                             ;   in Loop: Header=BB2_3533 Depth=2
	v_or_b32_e32 v41, 0x7f, v30
; %bb.4015:                             ;   in Loop: Header=BB2_3533 Depth=2
	s_or_b32 exec_lo, exec_lo, s7
	v_mov_b32_e32 v82, 0
	s_mov_b32 s7, exec_lo
	v_cmpx_lt_u32_e32 0xffffff, v32
	s_cbranch_execz .LBB2_4023
; %bb.4016:                             ;   in Loop: Header=BB2_3533 Depth=2
	v_lshrrev_b32_e32 v30, 24, v32
	v_bfrev_b32_e32 v82, 1
	s_mov_b32 s10, exec_lo
	s_delay_alu instid0(VALU_DEP_2)
	v_cmpx_ne_u32_e32 0x80, v30
	s_cbranch_execz .LBB2_4022
; %bb.4017:                             ;   in Loop: Header=BB2_3533 Depth=2
	v_bfe_u32 v83, v32, 24, 7
	v_mov_b32_e32 v82, 0x7f800001
	s_mov_b32 s40, exec_lo
	s_delay_alu instid0(VALU_DEP_2)
	v_cmpx_ne_u32_e32 0x7f, v83
	s_cbranch_execz .LBB2_4021
; %bb.4018:                             ;   in Loop: Header=BB2_3533 Depth=2
	v_dual_lshrrev_b32 v82, 3, v83 :: v_dual_bitop2_b32 v32, 7, v30 bitop3:0x40
	s_mov_b32 s41, exec_lo
	v_cmpx_gt_u32_e32 8, v83
; %bb.4019:                             ;   in Loop: Header=BB2_3533 Depth=2
	s_delay_alu instid0(VALU_DEP_2) | instskip(NEXT) | instid1(VALU_DEP_1)
	v_clz_i32_u32_e32 v82, v32
	v_min_u32_e32 v82, 32, v82
	s_delay_alu instid0(VALU_DEP_1) | instskip(NEXT) | instid1(VALU_DEP_1)
	v_subrev_nc_u32_e32 v83, 28, v82
	v_lshlrev_b64_e32 v[84:85], v83, v[32:33]
	s_delay_alu instid0(VALU_DEP_1)
	v_dual_sub_nc_u32 v82, 29, v82 :: v_dual_bitop2_b32 v32, 7, v84 bitop3:0x40
; %bb.4020:                             ;   in Loop: Header=BB2_3533 Depth=2
	s_or_b32 exec_lo, exec_lo, s41
	s_delay_alu instid0(VALU_DEP_1) | instskip(NEXT) | instid1(VALU_DEP_2)
	v_dual_lshlrev_b32 v30, 24, v30 :: v_dual_lshlrev_b32 v32, 20, v32
	v_lshl_add_u32 v82, v82, 23, 0x3c000000
	s_delay_alu instid0(VALU_DEP_2) | instskip(NEXT) | instid1(VALU_DEP_1)
	v_and_b32_e32 v30, 0x80000000, v30
	v_or3_b32 v82, v32, v30, v82
.LBB2_4021:                             ;   in Loop: Header=BB2_3533 Depth=2
	s_or_b32 exec_lo, exec_lo, s40
.LBB2_4022:                             ;   in Loop: Header=BB2_3533 Depth=2
	s_delay_alu instid0(SALU_CYCLE_1)
	s_or_b32 exec_lo, exec_lo, s10
.LBB2_4023:                             ;   in Loop: Header=BB2_3533 Depth=2
	s_delay_alu instid0(SALU_CYCLE_1) | instskip(SKIP_3) | instid1(VALU_DEP_3)
	s_or_b32 exec_lo, exec_lo, s7
	v_lshrrev_b32_e32 v30, 24, v10
	v_bfe_u32 v32, v10, 24, 7
	v_cmp_gt_u32_e64 s10, 0x1000000, v10
	v_cmp_eq_u32_e32 vcc_lo, 0x80, v30
	s_delay_alu instid0(VALU_DEP_3) | instskip(SKIP_2) | instid1(VALU_DEP_1)
	v_cmp_eq_u32_e64 s7, 0x7f, v32
	v_cndmask_b32_e32 v83, 0x7f800001, v99, vcc_lo
	s_or_b32 s7, vcc_lo, s7
	v_cndmask_b32_e64 v83, v83, 0, s10
	s_nor_b32 s10, s10, s7
	s_delay_alu instid0(SALU_CYCLE_1)
	s_and_saveexec_b32 s7, s10
	s_cbranch_execz .LBB2_4025
; %bb.4024:                             ;   in Loop: Header=BB2_3533 Depth=2
	v_and_b32_e32 v83, 7, v30
	v_cmp_gt_u32_e32 vcc_lo, 8, v32
	s_delay_alu instid0(VALU_DEP_2) | instskip(NEXT) | instid1(VALU_DEP_1)
	v_clz_i32_u32_e32 v84, v83
	v_min_u32_e32 v44, 32, v84
	s_delay_alu instid0(VALU_DEP_1) | instskip(SKIP_1) | instid1(VALU_DEP_2)
	v_subrev_nc_u32_e32 v84, 28, v44
	v_sub_nc_u32_e32 v44, 29, v44
	v_lshlrev_b64_e32 v[84:85], v84, v[30:31]
	v_dual_lshrrev_b32 v85, 3, v32 :: v_dual_lshlrev_b32 v30, 24, v30
	s_delay_alu instid0(VALU_DEP_1) | instskip(NEXT) | instid1(VALU_DEP_3)
	v_and_b32_e32 v30, 0x80000000, v30
	v_and_b32_e32 v32, 7, v84
	s_delay_alu instid0(VALU_DEP_3) | instskip(NEXT) | instid1(VALU_DEP_2)
	v_cndmask_b32_e32 v84, v85, v44, vcc_lo
	v_cndmask_b32_e32 v32, v83, v32, vcc_lo
	s_delay_alu instid0(VALU_DEP_2) | instskip(NEXT) | instid1(VALU_DEP_2)
	v_lshl_add_u32 v83, v84, 23, 0x3c000000
	v_lshlrev_b32_e32 v32, 20, v32
	s_delay_alu instid0(VALU_DEP_1)
	v_or3_b32 v83, v32, v30, v83
.LBB2_4025:                             ;   in Loop: Header=BB2_3533 Depth=2
	s_or_b32 exec_lo, exec_lo, s7
	s_delay_alu instid0(VALU_DEP_1) | instskip(SKIP_1) | instid1(VALU_DEP_1)
	v_add_f32_e32 v82, v82, v83
                                        ; implicit-def: $vgpr44
	s_mov_b32 s7, exec_lo
	v_and_b32_e32 v32, 0x7f800000, v82
	v_lshrrev_b32_e32 v30, 24, v82
	s_delay_alu instid0(VALU_DEP_2)
	v_cmpx_ne_u64_e32 0x7f800000, v[32:33]
	s_xor_b32 s10, exec_lo, s7
	s_cbranch_execz .LBB2_4039
; %bb.4026:                             ;   in Loop: Header=BB2_3533 Depth=2
	v_and_b32_e32 v32, 0x7fffffff, v82
	v_and_b32_e32 v30, 0x80, v30
                                        ; implicit-def: $vgpr44
	s_mov_b32 s7, exec_lo
	s_delay_alu instid0(VALU_DEP_2)
	v_cmpx_gt_u64_e32 0x43e00001, v[32:33]
	s_xor_b32 s40, exec_lo, s7
	s_cbranch_execz .LBB2_4036
; %bb.4027:                             ;   in Loop: Header=BB2_3533 Depth=2
	v_mov_b32_e32 v44, 0
	s_mov_b32 s41, exec_lo
	v_cmpx_ne_u32_e32 0, v82
	s_cbranch_execz .LBB2_4035
; %bb.4028:                             ;   in Loop: Header=BB2_3533 Depth=2
	v_bfe_u32 v44, v82, 23, 8
	s_delay_alu instid0(VALU_DEP_1) | instskip(SKIP_1) | instid1(VALU_DEP_2)
	v_sub_nc_u32_e32 v32, 0x79, v44
	v_cmp_gt_u32_e32 vcc_lo, 0x7a, v44
	v_cndmask_b32_e32 v32, 0, v32, vcc_lo
	v_cmp_eq_u32_e32 vcc_lo, 0, v44
	s_delay_alu instid0(VALU_DEP_2) | instskip(SKIP_1) | instid1(VALU_DEP_2)
	v_cndmask_b32_e64 v58, v32, 0x78, vcc_lo
	v_and_b32_e32 v32, 0x7fffff, v82
	v_add_nc_u32_e32 v82, 20, v58
	s_delay_alu instid0(VALU_DEP_2) | instskip(SKIP_1) | instid1(VALU_DEP_3)
	v_or_b32_e32 v84, 0x800000, v32
	v_add_nc_u32_e32 v85, 19, v58
	v_lshlrev_b64_e64 v[82:83], v82, -1
	s_delay_alu instid0(VALU_DEP_3) | instskip(NEXT) | instid1(VALU_DEP_3)
	v_cndmask_b32_e32 v32, v84, v32, vcc_lo
	v_lshlrev_b64_e64 v[84:85], v85, 1
	s_delay_alu instid0(VALU_DEP_3) | instskip(NEXT) | instid1(VALU_DEP_3)
	v_bfi_b32 v61, v83, 0, 0
	v_bfi_b32 v60, v82, 0, v32
	v_lshrrev_b64 v[82:83], v58, v[32:33]
	s_delay_alu instid0(VALU_DEP_2) | instskip(NEXT) | instid1(VALU_DEP_2)
	v_cmp_eq_u64_e64 s7, v[60:61], v[84:85]
	v_mov_b64_e32 v[84:85], v[82:83]
	s_and_saveexec_b32 s42, s7
; %bb.4029:                             ;   in Loop: Header=BB2_3533 Depth=2
	v_bfe_u32 v32, v82, 20, 1
	s_delay_alu instid0(VALU_DEP_1) | instskip(NEXT) | instid1(VALU_DEP_1)
	v_add_nc_u64_e32 v[84:85], v[82:83], v[32:33]
	v_add_nc_u64_e32 v[84:85], -1, v[84:85]
; %bb.4030:                             ;   in Loop: Header=BB2_3533 Depth=2
	s_or_b32 exec_lo, exec_lo, s42
	v_add_nc_u32_e32 v32, 0xffffff81, v44
	v_lshrrev_b32_e32 v83, 23, v82
	s_mov_b32 s7, exec_lo
	s_delay_alu instid0(VALU_DEP_2) | instskip(NEXT) | instid1(VALU_DEP_1)
	v_cndmask_b32_e64 v32, v32, 0xffffff82, vcc_lo
	v_add3_u32 v85, v58, v32, v83
	v_and_b32_e32 v32, 0xfffff, v84
                                        ; implicit-def: $vgpr84
	s_delay_alu instid0(VALU_DEP_1) | instskip(NEXT) | instid1(VALU_DEP_1)
	v_dual_add_nc_u32 v44, 6, v85 :: v_dual_add_nc_u32 v32, v32, v82
                                        ; implicit-def: $vgpr82_vgpr83
	v_cmpx_ne_u32_e32 0, v44
	s_xor_b32 s7, exec_lo, s7
; %bb.4031:                             ;   in Loop: Header=BB2_3533 Depth=2
	s_delay_alu instid0(VALU_DEP_2) | instskip(SKIP_1) | instid1(VALU_DEP_1)
	v_cmp_lt_u64_e32 vcc_lo, 0xffffff, v[32:33]
	v_add_nc_u32_e32 v82, 7, v85
	v_cndmask_b32_e32 v84, v44, v82, vcc_lo
	v_cndmask_b32_e64 v82, 0, 1, vcc_lo
	s_delay_alu instid0(VALU_DEP_1)
	v_lshrrev_b64 v[82:83], v82, v[32:33]
; %bb.4032:                             ;   in Loop: Header=BB2_3533 Depth=2
	s_and_not1_saveexec_b32 s7, s7
; %bb.4033:                             ;   in Loop: Header=BB2_3533 Depth=2
	v_mov_b64_e32 v[82:83], v[32:33]
	v_bfe_u32 v84, v32, 23, 1
; %bb.4034:                             ;   in Loop: Header=BB2_3533 Depth=2
	s_or_b32 exec_lo, exec_lo, s7
	s_delay_alu instid0(VALU_DEP_2) | instskip(NEXT) | instid1(VALU_DEP_2)
	v_lshrrev_b64 v[82:83], 20, v[82:83]
	v_cmp_gt_i32_e32 vcc_lo, 16, v84
	v_min_i32_e32 v32, 15, v84
	v_cmp_eq_u32_e64 s7, 0, v84
	s_delay_alu instid0(VALU_DEP_2) | instskip(SKIP_1) | instid1(VALU_DEP_2)
	v_dual_cndmask_b32 v83, 0, v83 :: v_dual_lshlrev_b32 v32, 3, v32
	v_cndmask_b32_e32 v82, 7, v82, vcc_lo
	v_and_b32_e32 v32, 0xf8, v32
	s_delay_alu instid0(VALU_DEP_2) | instskip(NEXT) | instid1(VALU_DEP_2)
	v_cmp_eq_u64_e32 vcc_lo, 0, v[82:83]
	v_and_or_b32 v32, v82, 7, v32
	s_and_b32 s7, s7, vcc_lo
	s_delay_alu instid0(VALU_DEP_1) | instid1(SALU_CYCLE_1)
	v_cndmask_b32_e64 v32, v32, 0, s7
	s_delay_alu instid0(VALU_DEP_1)
	v_or_b32_e32 v44, v32, v30
.LBB2_4035:                             ;   in Loop: Header=BB2_3533 Depth=2
	s_or_b32 exec_lo, exec_lo, s41
                                        ; implicit-def: $vgpr30
.LBB2_4036:                             ;   in Loop: Header=BB2_3533 Depth=2
	s_and_not1_saveexec_b32 s7, s40
; %bb.4037:                             ;   in Loop: Header=BB2_3533 Depth=2
	v_or_b32_e32 v44, 0x7e, v30
; %bb.4038:                             ;   in Loop: Header=BB2_3533 Depth=2
	s_or_b32 exec_lo, exec_lo, s7
                                        ; implicit-def: $vgpr30
.LBB2_4039:                             ;   in Loop: Header=BB2_3533 Depth=2
	s_and_not1_saveexec_b32 s7, s10
; %bb.4040:                             ;   in Loop: Header=BB2_3533 Depth=2
	v_or_b32_e32 v44, 0x7f, v30
; %bb.4041:                             ;   in Loop: Header=BB2_3533 Depth=2
	s_or_b32 exec_lo, exec_lo, s7
	v_lshl_or_b32 v30, v87, 8, v86
	v_dual_lshlrev_b32 v32, 16, v56 :: v_dual_lshlrev_b32 v82, 24, v57
	v_mov_b32_e32 v84, 0
	s_mov_b32 s7, exec_lo
	s_delay_alu instid0(VALU_DEP_2)
	v_or3_b32 v32, v32, v82, v30
	v_cmpx_ne_u32_e32 0, v86
	s_cbranch_execz .LBB2_4047
; %bb.4042:                             ;   in Loop: Header=BB2_3533 Depth=2
	v_bfrev_b32_e32 v84, 1
	s_mov_b32 s10, exec_lo
	v_cmpx_ne_u32_e32 0x80, v86
	s_cbranch_execz .LBB2_4046
; %bb.4043:                             ;   in Loop: Header=BB2_3533 Depth=2
	v_and_b32_e32 v82, 0x7f, v86
	v_mov_b32_e32 v84, 0x7f800001
	s_mov_b32 s40, exec_lo
	s_delay_alu instid0(VALU_DEP_2)
	v_cmpx_ne_u32_e32 0x7f, v82
	s_cbranch_execz .LBB2_4045
; %bb.4044:                             ;   in Loop: Header=BB2_3533 Depth=2
	v_cmp_gt_u32_e32 vcc_lo, 8, v82
	v_and_b32_e32 v83, 7, v86
	s_delay_alu instid0(VALU_DEP_1) | instskip(NEXT) | instid1(VALU_DEP_1)
	v_clz_i32_u32_e32 v83, v83
	v_min_u32_e32 v83, 32, v83
	v_lshrrev_b32_e32 v84, 3, v82
	s_delay_alu instid0(VALU_DEP_2) | instskip(NEXT) | instid1(VALU_DEP_1)
	v_subrev_nc_u32_e32 v85, 28, v83
	v_dual_cndmask_b32 v82, 0, v85 :: v_dual_sub_nc_u32 v83, 29, v83
	s_delay_alu instid0(VALU_DEP_1) | instskip(NEXT) | instid1(VALU_DEP_2)
	v_cndmask_b32_e32 v84, v84, v83, vcc_lo
	v_lshlrev_b64_e32 v[82:83], v82, v[32:33]
	v_lshlrev_b32_e32 v83, 24, v32
	s_delay_alu instid0(VALU_DEP_3) | instskip(NEXT) | instid1(VALU_DEP_2)
	v_lshl_add_u32 v84, v84, 23, 0x3c000000
	v_and_b32_e32 v83, 0x80000000, v83
	s_delay_alu instid0(VALU_DEP_4) | instskip(NEXT) | instid1(VALU_DEP_1)
	v_lshlrev_b32_e32 v82, 20, v82
	v_and_b32_e32 v82, 0x700000, v82
	s_delay_alu instid0(VALU_DEP_1)
	v_or3_b32 v84, v82, v83, v84
.LBB2_4045:                             ;   in Loop: Header=BB2_3533 Depth=2
	s_or_b32 exec_lo, exec_lo, s40
.LBB2_4046:                             ;   in Loop: Header=BB2_3533 Depth=2
	s_delay_alu instid0(SALU_CYCLE_1)
	s_or_b32 exec_lo, exec_lo, s10
.LBB2_4047:                             ;   in Loop: Header=BB2_3533 Depth=2
	s_delay_alu instid0(SALU_CYCLE_1) | instskip(SKIP_4) | instid1(VALU_DEP_2)
	s_or_b32 exec_lo, exec_lo, s7
	v_and_b32_e32 v83, 0xff, v11
	v_mov_b32_e32 v82, v11
	s_mov_b32 s7, 0
	s_mov_b32 s10, exec_lo
	v_cmpx_lt_i16_e32 0x7f, v83
	s_xor_b32 s10, exec_lo, s10
	s_cbranch_execnz .LBB2_4078
; %bb.4048:                             ;   in Loop: Header=BB2_3533 Depth=2
	s_or_saveexec_b32 s10, s10
	v_bfrev_b32_e32 v85, 1
	s_xor_b32 exec_lo, exec_lo, s10
	s_cbranch_execnz .LBB2_4081
.LBB2_4049:                             ;   in Loop: Header=BB2_3533 Depth=2
	s_or_b32 exec_lo, exec_lo, s10
	v_mov_b32_e32 v83, v33
	s_and_saveexec_b32 s10, s7
	s_cbranch_execz .LBB2_4051
.LBB2_4050:                             ;   in Loop: Header=BB2_3533 Depth=2
	v_and_b32_e32 v85, 7, v11
	v_and_b32_e32 v56, 0x7f, v11
	v_bfe_u32 v86, v11, 3, 4
	s_delay_alu instid0(VALU_DEP_3) | instskip(NEXT) | instid1(VALU_DEP_3)
	v_clz_i32_u32_e32 v85, v85
	v_cmp_gt_u32_e32 vcc_lo, 8, v56
	s_delay_alu instid0(VALU_DEP_2) | instskip(NEXT) | instid1(VALU_DEP_1)
	v_min_u32_e32 v85, 32, v85
	v_subrev_nc_u32_e32 v87, 28, v85
	v_sub_nc_u32_e32 v85, 29, v85
	s_delay_alu instid0(VALU_DEP_1) | instskip(SKIP_1) | instid1(VALU_DEP_2)
	v_dual_cndmask_b32 v85, v86, v85 :: v_dual_cndmask_b32 v86, 0, v87
	v_cmp_ne_u32_e32 vcc_lo, 0x7f, v56
	v_lshlrev_b64_e32 v[86:87], v86, v[82:83]
	v_lshlrev_b32_e32 v83, 24, v82
	s_delay_alu instid0(VALU_DEP_1) | instskip(NEXT) | instid1(VALU_DEP_3)
	v_and_b32_e32 v83, 0x80000000, v83
	v_lshlrev_b32_e32 v86, 20, v86
	v_lshl_add_u32 v85, v85, 23, 0x3c000000
	s_delay_alu instid0(VALU_DEP_2) | instskip(NEXT) | instid1(VALU_DEP_1)
	v_and_b32_e32 v86, 0x700000, v86
	v_or3_b32 v83, v86, v83, v85
	s_delay_alu instid0(VALU_DEP_1)
	v_cndmask_b32_e32 v85, 0x7f800001, v83, vcc_lo
.LBB2_4051:                             ;   in Loop: Header=BB2_3533 Depth=2
	s_or_b32 exec_lo, exec_lo, s10
	s_delay_alu instid0(VALU_DEP_1) | instskip(NEXT) | instid1(VALU_DEP_1)
	v_dual_add_f32 v84, v84, v85 :: v_dual_mov_b32 v87, v33
	v_and_b32_e32 v86, 0x7f800000, v84
	v_lshrrev_b32_e32 v83, 24, v84
	s_delay_alu instid0(VALU_DEP_2) | instskip(SKIP_1) | instid1(SALU_CYCLE_1)
	v_cmp_ne_u64_e32 vcc_lo, 0x7f800000, v[86:87]
                                        ; implicit-def: $vgpr86
	s_and_saveexec_b32 s7, vcc_lo
	s_xor_b32 s10, exec_lo, s7
	s_cbranch_execz .LBB2_4065
; %bb.4052:                             ;   in Loop: Header=BB2_3533 Depth=2
	v_and_b32_e32 v86, 0x7fffffff, v84
	v_mov_b32_e32 v87, v33
	v_and_b32_e32 v83, 0x80, v83
	s_delay_alu instid0(VALU_DEP_2) | instskip(SKIP_1) | instid1(SALU_CYCLE_1)
	v_cmp_gt_u64_e32 vcc_lo, 0x43e00001, v[86:87]
                                        ; implicit-def: $vgpr86
	s_and_saveexec_b32 s7, vcc_lo
	s_xor_b32 s40, exec_lo, s7
	s_cbranch_execz .LBB2_4062
; %bb.4053:                             ;   in Loop: Header=BB2_3533 Depth=2
	v_mov_b32_e32 v86, 0
	s_mov_b32 s41, exec_lo
	v_cmpx_ne_u32_e32 0, v84
	s_cbranch_execz .LBB2_4061
; %bb.4054:                             ;   in Loop: Header=BB2_3533 Depth=2
	v_bfe_u32 v56, v84, 23, 8
	v_and_b32_e32 v86, 0x7fffff, v84
	s_mov_b32 s42, exec_lo
	s_delay_alu instid0(VALU_DEP_2) | instskip(NEXT) | instid1(VALU_DEP_2)
	v_cmp_gt_u32_e32 vcc_lo, 0x7a, v56
	v_or_b32_e32 v87, 0x800000, v86
	v_sub_nc_u32_e32 v85, 0x79, v56
	s_delay_alu instid0(VALU_DEP_1) | instskip(SKIP_1) | instid1(VALU_DEP_4)
	v_cndmask_b32_e32 v85, 0, v85, vcc_lo
	v_cmp_eq_u32_e32 vcc_lo, 0, v56
	v_dual_cndmask_b32 v86, v87, v86 :: v_dual_mov_b32 v87, v33
	s_delay_alu instid0(VALU_DEP_3) | instskip(NEXT) | instid1(VALU_DEP_1)
	v_cndmask_b32_e64 v57, v85, 0x78, vcc_lo
	v_dual_add_nc_u32 v84, 20, v57 :: v_dual_add_nc_u32 v58, 19, v57
	s_delay_alu instid0(VALU_DEP_1) | instskip(NEXT) | instid1(VALU_DEP_2)
	v_lshlrev_b64_e64 v[84:85], v84, -1
	v_lshlrev_b64_e64 v[58:59], v58, 1
	s_delay_alu instid0(VALU_DEP_2) | instskip(NEXT) | instid1(VALU_DEP_3)
	v_bfi_b32 v61, v85, 0, 0
	v_bfi_b32 v60, v84, 0, v86
	v_lshrrev_b64 v[84:85], v57, v[86:87]
	s_delay_alu instid0(VALU_DEP_1) | instskip(NEXT) | instid1(VALU_DEP_3)
	v_mov_b64_e32 v[86:87], v[84:85]
	v_cmpx_eq_u64_e64 v[60:61], v[58:59]
; %bb.4055:                             ;   in Loop: Header=BB2_3533 Depth=2
	v_bfe_u32 v86, v84, 20, 1
	v_mov_b32_e32 v87, v33
	s_delay_alu instid0(VALU_DEP_1) | instskip(NEXT) | instid1(VALU_DEP_1)
	v_add_nc_u64_e32 v[86:87], v[84:85], v[86:87]
	v_add_nc_u64_e32 v[86:87], -1, v[86:87]
; %bb.4056:                             ;   in Loop: Header=BB2_3533 Depth=2
	s_or_b32 exec_lo, exec_lo, s42
	v_add_nc_u32_e32 v85, 0xffffff81, v56
	v_lshrrev_b32_e32 v87, 23, v84
	s_mov_b32 s7, exec_lo
	s_delay_alu instid0(VALU_DEP_2) | instskip(NEXT) | instid1(VALU_DEP_1)
	v_cndmask_b32_e64 v85, v85, 0xffffff82, vcc_lo
	v_add3_u32 v87, v57, v85, v87
	v_and_b32_e32 v85, 0xfffff, v86
                                        ; implicit-def: $vgpr86
	s_delay_alu instid0(VALU_DEP_1) | instskip(SKIP_1) | instid1(VALU_DEP_2)
	v_dual_add_nc_u32 v56, 6, v87 :: v_dual_add_nc_u32 v84, v85, v84
	v_mov_b32_e32 v85, v33
	v_cmpx_ne_u32_e32 0, v56
	s_xor_b32 s7, exec_lo, s7
; %bb.4057:                             ;   in Loop: Header=BB2_3533 Depth=2
	s_delay_alu instid0(VALU_DEP_2) | instskip(SKIP_2) | instid1(VALU_DEP_2)
	v_cmp_lt_u64_e32 vcc_lo, 0xffffff, v[84:85]
	v_add_nc_u32_e32 v86, 7, v87
	v_cndmask_b32_e64 v87, 0, 1, vcc_lo
	v_cndmask_b32_e32 v86, v56, v86, vcc_lo
	s_delay_alu instid0(VALU_DEP_2)
	v_lshrrev_b64 v[84:85], v87, v[84:85]
; %bb.4058:                             ;   in Loop: Header=BB2_3533 Depth=2
	s_and_not1_saveexec_b32 s7, s7
; %bb.4059:                             ;   in Loop: Header=BB2_3533 Depth=2
	s_delay_alu instid0(VALU_DEP_1)
	v_bfe_u32 v86, v84, 23, 1
; %bb.4060:                             ;   in Loop: Header=BB2_3533 Depth=2
	s_or_b32 exec_lo, exec_lo, s7
	s_delay_alu instid0(VALU_DEP_2) | instskip(NEXT) | instid1(VALU_DEP_2)
	v_lshrrev_b64 v[84:85], 20, v[84:85]
	v_cmp_gt_i32_e32 vcc_lo, 16, v86
	v_min_i32_e32 v87, 15, v86
	v_cmp_eq_u32_e64 s7, 0, v86
	s_delay_alu instid0(VALU_DEP_2) | instskip(SKIP_1) | instid1(VALU_DEP_2)
	v_dual_cndmask_b32 v85, 0, v85, vcc_lo :: v_dual_lshlrev_b32 v87, 3, v87
	v_cndmask_b32_e32 v84, 7, v84, vcc_lo
	v_and_b32_e32 v87, 0xf8, v87
	s_delay_alu instid0(VALU_DEP_2) | instskip(NEXT) | instid1(VALU_DEP_2)
	v_cmp_eq_u64_e32 vcc_lo, 0, v[84:85]
	v_and_or_b32 v84, v84, 7, v87
	s_and_b32 s7, s7, vcc_lo
	s_delay_alu instid0(VALU_DEP_1) | instid1(SALU_CYCLE_1)
	v_cndmask_b32_e64 v84, v84, 0, s7
	s_delay_alu instid0(VALU_DEP_1)
	v_or_b32_e32 v86, v84, v83
.LBB2_4061:                             ;   in Loop: Header=BB2_3533 Depth=2
	s_or_b32 exec_lo, exec_lo, s41
                                        ; implicit-def: $vgpr83
.LBB2_4062:                             ;   in Loop: Header=BB2_3533 Depth=2
	s_and_not1_saveexec_b32 s7, s40
; %bb.4063:                             ;   in Loop: Header=BB2_3533 Depth=2
	v_or_b32_e32 v86, 0x7e, v83
; %bb.4064:                             ;   in Loop: Header=BB2_3533 Depth=2
	s_or_b32 exec_lo, exec_lo, s7
                                        ; implicit-def: $vgpr83
.LBB2_4065:                             ;   in Loop: Header=BB2_3533 Depth=2
	s_and_not1_saveexec_b32 s7, s10
; %bb.4066:                             ;   in Loop: Header=BB2_3533 Depth=2
	v_or_b32_e32 v86, 0x7f, v83
; %bb.4067:                             ;   in Loop: Header=BB2_3533 Depth=2
	s_or_b32 exec_lo, exec_lo, s7
	v_lshrrev_b16 v84, 8, v30
	v_mov_b32_e32 v83, 0
	s_mov_b32 s7, exec_lo
	s_delay_alu instid0(VALU_DEP_2)
	v_cmpx_ne_u16_e32 0, v84
	s_cbranch_execz .LBB2_4075
; %bb.4068:                             ;   in Loop: Header=BB2_3533 Depth=2
	v_bfrev_b32_e32 v83, 1
	s_mov_b32 s10, exec_lo
	v_cmpx_ne_u16_e32 0x80, v84
	s_cbranch_execz .LBB2_4074
; %bb.4069:                             ;   in Loop: Header=BB2_3533 Depth=2
	v_and_b32_e32 v84, 0xffff, v84
	v_mov_b32_e32 v83, 0x7f800001
	s_mov_b32 s40, exec_lo
	s_delay_alu instid0(VALU_DEP_2) | instskip(NEXT) | instid1(VALU_DEP_1)
	v_and_b32_e32 v87, 0x7f, v84
	v_cmpx_ne_u32_e32 0x7f, v87
	s_cbranch_execz .LBB2_4073
; %bb.4070:                             ;   in Loop: Header=BB2_3533 Depth=2
	v_dual_mov_b32 v85, v33 :: v_dual_bitop2_b32 v84, 7, v84 bitop3:0x40
	v_lshrrev_b32_e32 v83, 3, v87
	s_mov_b32 s41, exec_lo
	v_cmpx_gt_u32_e32 8, v87
; %bb.4071:                             ;   in Loop: Header=BB2_3533 Depth=2
	s_delay_alu instid0(VALU_DEP_3) | instskip(NEXT) | instid1(VALU_DEP_1)
	v_clz_i32_u32_e32 v83, v84
	v_min_u32_e32 v83, 32, v83
	s_delay_alu instid0(VALU_DEP_1) | instskip(NEXT) | instid1(VALU_DEP_1)
	v_subrev_nc_u32_e32 v87, 28, v83
	v_lshlrev_b64_e32 v[84:85], v87, v[84:85]
	s_delay_alu instid0(VALU_DEP_1)
	v_dual_sub_nc_u32 v83, 29, v83 :: v_dual_bitop2_b32 v84, 7, v84 bitop3:0x40
; %bb.4072:                             ;   in Loop: Header=BB2_3533 Depth=2
	s_or_b32 exec_lo, exec_lo, s41
	s_delay_alu instid0(VALU_DEP_1) | instskip(NEXT) | instid1(VALU_DEP_2)
	v_dual_lshlrev_b32 v30, 16, v30 :: v_dual_lshlrev_b32 v84, 20, v84
	v_lshl_add_u32 v83, v83, 23, 0x3c000000
	s_delay_alu instid0(VALU_DEP_2) | instskip(NEXT) | instid1(VALU_DEP_1)
	v_and_b32_e32 v30, 0x80000000, v30
	v_or3_b32 v83, v84, v30, v83
.LBB2_4073:                             ;   in Loop: Header=BB2_3533 Depth=2
	s_or_b32 exec_lo, exec_lo, s40
.LBB2_4074:                             ;   in Loop: Header=BB2_3533 Depth=2
	s_delay_alu instid0(SALU_CYCLE_1)
	s_or_b32 exec_lo, exec_lo, s10
.LBB2_4075:                             ;   in Loop: Header=BB2_3533 Depth=2
	s_delay_alu instid0(SALU_CYCLE_1) | instskip(SKIP_3) | instid1(VALU_DEP_1)
	s_or_b32 exec_lo, exec_lo, s7
	v_lshrrev_b16 v82, 8, v82
	s_mov_b32 s10, 0
	s_mov_b32 s7, exec_lo
	v_cmpx_lt_i16_e32 0x7f, v82
	s_xor_b32 s7, exec_lo, s7
	s_cbranch_execnz .LBB2_4082
; %bb.4076:                             ;   in Loop: Header=BB2_3533 Depth=2
	s_or_saveexec_b32 s7, s7
	v_bfrev_b32_e32 v84, 1
	s_xor_b32 exec_lo, exec_lo, s7
	s_cbranch_execnz .LBB2_4085
.LBB2_4077:                             ;   in Loop: Header=BB2_3533 Depth=2
	s_or_b32 exec_lo, exec_lo, s7
	s_and_saveexec_b32 s7, s10
	s_cbranch_execnz .LBB2_4086
	s_branch .LBB2_4089
.LBB2_4078:                             ;   in Loop: Header=BB2_3533 Depth=2
	s_mov_b32 s7, -1
	s_mov_b32 s40, exec_lo
	v_cmpx_eq_u16_e32 0x80, v83
; %bb.4079:                             ;   in Loop: Header=BB2_3533 Depth=2
	s_xor_b32 s7, exec_lo, -1
; %bb.4080:                             ;   in Loop: Header=BB2_3533 Depth=2
	s_or_b32 exec_lo, exec_lo, s40
	s_delay_alu instid0(SALU_CYCLE_1)
	s_and_b32 s7, s7, exec_lo
                                        ; implicit-def: $vgpr83
	s_or_saveexec_b32 s10, s10
	v_bfrev_b32_e32 v85, 1
	s_xor_b32 exec_lo, exec_lo, s10
	s_cbranch_execz .LBB2_4049
.LBB2_4081:                             ;   in Loop: Header=BB2_3533 Depth=2
	v_cmp_ne_u16_e32 vcc_lo, 0, v83
	v_mov_b32_e32 v85, 0
	s_and_not1_b32 s7, s7, exec_lo
	s_and_b32 s40, vcc_lo, exec_lo
	s_delay_alu instid0(SALU_CYCLE_1)
	s_or_b32 s7, s7, s40
	s_or_b32 exec_lo, exec_lo, s10
	v_mov_b32_e32 v83, v33
	s_and_saveexec_b32 s10, s7
	s_cbranch_execnz .LBB2_4050
	s_branch .LBB2_4051
.LBB2_4082:                             ;   in Loop: Header=BB2_3533 Depth=2
	s_mov_b32 s10, -1
	s_mov_b32 s40, exec_lo
	v_cmpx_eq_u16_e32 0x80, v82
; %bb.4083:                             ;   in Loop: Header=BB2_3533 Depth=2
	s_xor_b32 s10, exec_lo, -1
; %bb.4084:                             ;   in Loop: Header=BB2_3533 Depth=2
	s_or_b32 exec_lo, exec_lo, s40
	s_delay_alu instid0(SALU_CYCLE_1)
	s_and_b32 s10, s10, exec_lo
	s_or_saveexec_b32 s7, s7
	v_bfrev_b32_e32 v84, 1
	s_xor_b32 exec_lo, exec_lo, s7
	s_cbranch_execz .LBB2_4077
.LBB2_4085:                             ;   in Loop: Header=BB2_3533 Depth=2
	v_cmp_ne_u16_e32 vcc_lo, 0, v82
	v_mov_b32_e32 v84, 0
	s_and_not1_b32 s10, s10, exec_lo
	s_and_b32 s40, vcc_lo, exec_lo
	s_delay_alu instid0(SALU_CYCLE_1)
	s_or_b32 s10, s10, s40
	s_or_b32 exec_lo, exec_lo, s7
	s_and_saveexec_b32 s7, s10
	s_cbranch_execz .LBB2_4089
.LBB2_4086:                             ;   in Loop: Header=BB2_3533 Depth=2
	v_and_b32_e32 v30, 0xffff, v82
	v_mov_b32_e32 v84, 0x7f800001
	s_mov_b32 s10, exec_lo
	s_delay_alu instid0(VALU_DEP_2) | instskip(NEXT) | instid1(VALU_DEP_1)
	v_and_b32_e32 v85, 0x7f, v30
	v_cmpx_ne_u32_e32 0x7f, v85
	s_cbranch_execz .LBB2_4088
; %bb.4087:                             ;   in Loop: Header=BB2_3533 Depth=2
	v_and_b32_e32 v84, 7, v30
	v_cmp_gt_u32_e32 vcc_lo, 8, v85
	s_delay_alu instid0(VALU_DEP_2) | instskip(NEXT) | instid1(VALU_DEP_1)
	v_clz_i32_u32_e32 v87, v84
	v_min_u32_e32 v87, 32, v87
	s_delay_alu instid0(VALU_DEP_1) | instskip(NEXT) | instid1(VALU_DEP_1)
	v_subrev_nc_u32_e32 v56, 28, v87
	v_lshlrev_b64_e32 v[56:57], v56, v[30:31]
	v_dual_lshrrev_b32 v30, 3, v85 :: v_dual_sub_nc_u32 v87, 29, v87
	s_delay_alu instid0(VALU_DEP_2) | instskip(NEXT) | instid1(VALU_DEP_1)
	v_dual_lshlrev_b32 v82, 24, v82 :: v_dual_bitop2_b32 v85, 7, v56 bitop3:0x40
	v_dual_cndmask_b32 v30, v30, v87, vcc_lo :: v_dual_cndmask_b32 v84, v84, v85, vcc_lo
	s_delay_alu instid0(VALU_DEP_2) | instskip(NEXT) | instid1(VALU_DEP_2)
	v_and_b32_e32 v82, 0x80000000, v82
	v_lshl_add_u32 v30, v30, 23, 0x3c000000
	s_delay_alu instid0(VALU_DEP_3) | instskip(NEXT) | instid1(VALU_DEP_1)
	v_lshlrev_b32_e32 v84, 20, v84
	v_or3_b32 v84, v84, v82, v30
.LBB2_4088:                             ;   in Loop: Header=BB2_3533 Depth=2
	s_or_b32 exec_lo, exec_lo, s10
.LBB2_4089:                             ;   in Loop: Header=BB2_3533 Depth=2
	s_delay_alu instid0(SALU_CYCLE_1) | instskip(NEXT) | instid1(VALU_DEP_1)
	s_or_b32 exec_lo, exec_lo, s7
	v_dual_add_f32 v82, v83, v84 :: v_dual_mov_b32 v85, v33
                                        ; implicit-def: $vgpr87
	s_mov_b32 s7, exec_lo
	s_delay_alu instid0(VALU_DEP_1) | instskip(SKIP_1) | instid1(VALU_DEP_2)
	v_and_b32_e32 v84, 0x7f800000, v82
	v_lshrrev_b32_e32 v30, 24, v82
	v_cmpx_ne_u64_e32 0x7f800000, v[84:85]
	s_xor_b32 s10, exec_lo, s7
	s_cbranch_execz .LBB2_4103
; %bb.4090:                             ;   in Loop: Header=BB2_3533 Depth=2
	v_and_b32_e32 v84, 0x7fffffff, v82
	v_mov_b32_e32 v85, v33
	v_and_b32_e32 v30, 0x80, v30
                                        ; implicit-def: $vgpr87
	s_mov_b32 s7, exec_lo
	s_delay_alu instid0(VALU_DEP_2)
	v_cmpx_gt_u64_e32 0x43e00001, v[84:85]
	s_xor_b32 s40, exec_lo, s7
	s_cbranch_execz .LBB2_4100
; %bb.4091:                             ;   in Loop: Header=BB2_3533 Depth=2
	v_mov_b32_e32 v87, 0
	s_mov_b32 s41, exec_lo
	v_cmpx_ne_u32_e32 0, v82
	s_cbranch_execz .LBB2_4099
; %bb.4092:                             ;   in Loop: Header=BB2_3533 Depth=2
	v_bfe_u32 v87, v82, 23, 8
	v_and_b32_e32 v84, 0x7fffff, v82
	s_mov_b32 s42, exec_lo
	s_delay_alu instid0(VALU_DEP_2) | instskip(NEXT) | instid1(VALU_DEP_2)
	v_cmp_gt_u32_e32 vcc_lo, 0x7a, v87
	v_or_b32_e32 v85, 0x800000, v84
	v_sub_nc_u32_e32 v83, 0x79, v87
	s_delay_alu instid0(VALU_DEP_1) | instskip(SKIP_1) | instid1(VALU_DEP_2)
	v_cndmask_b32_e32 v83, 0, v83, vcc_lo
	v_cmp_eq_u32_e32 vcc_lo, 0, v87
	v_cndmask_b32_e64 v56, v83, 0x78, vcc_lo
	v_cndmask_b32_e32 v84, v85, v84, vcc_lo
	s_delay_alu instid0(VALU_DEP_2) | instskip(SKIP_1) | instid1(VALU_DEP_2)
	v_dual_mov_b32 v85, v33 :: v_dual_add_nc_u32 v57, 19, v56
	v_add_nc_u32_e32 v82, 20, v56
	v_lshlrev_b64_e64 v[58:59], v57, 1
	s_delay_alu instid0(VALU_DEP_2) | instskip(NEXT) | instid1(VALU_DEP_1)
	v_lshlrev_b64_e64 v[82:83], v82, -1
	v_bfi_b32 v61, v83, 0, 0
	s_delay_alu instid0(VALU_DEP_2) | instskip(SKIP_1) | instid1(VALU_DEP_1)
	v_bfi_b32 v60, v82, 0, v84
	v_lshrrev_b64 v[82:83], v56, v[84:85]
	v_mov_b64_e32 v[84:85], v[82:83]
	s_delay_alu instid0(VALU_DEP_3)
	v_cmpx_eq_u64_e64 v[60:61], v[58:59]
; %bb.4093:                             ;   in Loop: Header=BB2_3533 Depth=2
	v_bfe_u32 v84, v82, 20, 1
	v_mov_b32_e32 v85, v33
	s_delay_alu instid0(VALU_DEP_1) | instskip(NEXT) | instid1(VALU_DEP_1)
	v_add_nc_u64_e32 v[84:85], v[82:83], v[84:85]
	v_add_nc_u64_e32 v[84:85], -1, v[84:85]
; %bb.4094:                             ;   in Loop: Header=BB2_3533 Depth=2
	s_or_b32 exec_lo, exec_lo, s42
	v_add_nc_u32_e32 v83, 0xffffff81, v87
	v_lshrrev_b32_e32 v85, 23, v82
	s_mov_b32 s7, exec_lo
	s_delay_alu instid0(VALU_DEP_2) | instskip(NEXT) | instid1(VALU_DEP_1)
	v_cndmask_b32_e64 v83, v83, 0xffffff82, vcc_lo
	v_add3_u32 v85, v56, v83, v85
	v_and_b32_e32 v83, 0xfffff, v84
                                        ; implicit-def: $vgpr84
	s_delay_alu instid0(VALU_DEP_1) | instskip(SKIP_1) | instid1(VALU_DEP_2)
	v_dual_add_nc_u32 v87, 6, v85 :: v_dual_add_nc_u32 v82, v83, v82
	v_mov_b32_e32 v83, v33
	v_cmpx_ne_u32_e32 0, v87
	s_xor_b32 s7, exec_lo, s7
; %bb.4095:                             ;   in Loop: Header=BB2_3533 Depth=2
	s_delay_alu instid0(VALU_DEP_2) | instskip(SKIP_2) | instid1(VALU_DEP_2)
	v_cmp_lt_u64_e32 vcc_lo, 0xffffff, v[82:83]
	v_add_nc_u32_e32 v84, 7, v85
	v_cndmask_b32_e64 v85, 0, 1, vcc_lo
	v_cndmask_b32_e32 v84, v87, v84, vcc_lo
	s_delay_alu instid0(VALU_DEP_2)
	v_lshrrev_b64 v[82:83], v85, v[82:83]
; %bb.4096:                             ;   in Loop: Header=BB2_3533 Depth=2
	s_and_not1_saveexec_b32 s7, s7
; %bb.4097:                             ;   in Loop: Header=BB2_3533 Depth=2
	s_delay_alu instid0(VALU_DEP_1)
	v_bfe_u32 v84, v82, 23, 1
; %bb.4098:                             ;   in Loop: Header=BB2_3533 Depth=2
	s_or_b32 exec_lo, exec_lo, s7
	s_delay_alu instid0(VALU_DEP_2) | instskip(NEXT) | instid1(VALU_DEP_2)
	v_lshrrev_b64 v[82:83], 20, v[82:83]
	v_cmp_gt_i32_e32 vcc_lo, 16, v84
	v_min_i32_e32 v85, 15, v84
	v_cmp_eq_u32_e64 s7, 0, v84
	s_delay_alu instid0(VALU_DEP_2) | instskip(SKIP_1) | instid1(VALU_DEP_2)
	v_dual_cndmask_b32 v83, 0, v83, vcc_lo :: v_dual_lshlrev_b32 v85, 3, v85
	v_cndmask_b32_e32 v82, 7, v82, vcc_lo
	v_and_b32_e32 v85, 0xf8, v85
	s_delay_alu instid0(VALU_DEP_2) | instskip(NEXT) | instid1(VALU_DEP_2)
	v_cmp_eq_u64_e32 vcc_lo, 0, v[82:83]
	v_and_or_b32 v82, v82, 7, v85
	s_and_b32 s7, s7, vcc_lo
	s_delay_alu instid0(VALU_DEP_1) | instid1(SALU_CYCLE_1)
	v_cndmask_b32_e64 v82, v82, 0, s7
	s_delay_alu instid0(VALU_DEP_1)
	v_or_b32_e32 v87, v82, v30
.LBB2_4099:                             ;   in Loop: Header=BB2_3533 Depth=2
	s_or_b32 exec_lo, exec_lo, s41
                                        ; implicit-def: $vgpr30
.LBB2_4100:                             ;   in Loop: Header=BB2_3533 Depth=2
	s_and_not1_saveexec_b32 s7, s40
; %bb.4101:                             ;   in Loop: Header=BB2_3533 Depth=2
	v_or_b32_e32 v87, 0x7e, v30
; %bb.4102:                             ;   in Loop: Header=BB2_3533 Depth=2
	s_or_b32 exec_lo, exec_lo, s7
                                        ; implicit-def: $vgpr30
.LBB2_4103:                             ;   in Loop: Header=BB2_3533 Depth=2
	s_and_not1_saveexec_b32 s7, s10
; %bb.4104:                             ;   in Loop: Header=BB2_3533 Depth=2
	v_or_b32_e32 v87, 0x7f, v30
; %bb.4105:                             ;   in Loop: Header=BB2_3533 Depth=2
	s_or_b32 exec_lo, exec_lo, s7
	v_dual_lshrrev_b32 v30, 16, v32 :: v_dual_mov_b32 v82, 0
	s_mov_b32 s7, exec_lo
	s_delay_alu instid0(VALU_DEP_1) | instskip(NEXT) | instid1(VALU_DEP_1)
	v_and_b32_e32 v83, 0xff, v30
	v_cmpx_ne_u16_e32 0, v83
	s_cbranch_execz .LBB2_4113
; %bb.4106:                             ;   in Loop: Header=BB2_3533 Depth=2
	v_bfrev_b32_e32 v82, 1
	s_mov_b32 s10, exec_lo
	v_cmpx_ne_u16_e32 0x80, v83
	s_cbranch_execz .LBB2_4112
; %bb.4107:                             ;   in Loop: Header=BB2_3533 Depth=2
	v_bfe_u32 v85, v32, 16, 7
	v_mov_b32_e32 v82, 0x7f800001
	s_mov_b32 s40, exec_lo
	s_delay_alu instid0(VALU_DEP_2)
	v_cmpx_ne_u32_e32 0x7f, v85
	s_cbranch_execz .LBB2_4111
; %bb.4108:                             ;   in Loop: Header=BB2_3533 Depth=2
	v_dual_mov_b32 v83, v33 :: v_dual_bitop2_b32 v82, 7, v30 bitop3:0x40
	v_lshrrev_b32_e32 v84, 3, v85
	s_mov_b32 s41, exec_lo
	v_cmpx_gt_u32_e32 8, v85
; %bb.4109:                             ;   in Loop: Header=BB2_3533 Depth=2
	s_delay_alu instid0(VALU_DEP_3) | instskip(NEXT) | instid1(VALU_DEP_1)
	v_clz_i32_u32_e32 v84, v82
	v_min_u32_e32 v84, 32, v84
	s_delay_alu instid0(VALU_DEP_1) | instskip(NEXT) | instid1(VALU_DEP_1)
	v_subrev_nc_u32_e32 v85, 28, v84
	v_lshlrev_b64_e32 v[82:83], v85, v[82:83]
	s_delay_alu instid0(VALU_DEP_1)
	v_dual_sub_nc_u32 v84, 29, v84 :: v_dual_bitop2_b32 v82, 7, v82 bitop3:0x40
; %bb.4110:                             ;   in Loop: Header=BB2_3533 Depth=2
	s_or_b32 exec_lo, exec_lo, s41
	v_lshlrev_b32_e32 v30, 24, v30
	s_delay_alu instid0(VALU_DEP_2) | instskip(NEXT) | instid1(VALU_DEP_3)
	v_lshlrev_b32_e32 v82, 20, v82
	v_lshl_add_u32 v83, v84, 23, 0x3c000000
	s_delay_alu instid0(VALU_DEP_3) | instskip(NEXT) | instid1(VALU_DEP_1)
	v_and_b32_e32 v30, 0x80000000, v30
	v_or3_b32 v82, v82, v30, v83
.LBB2_4111:                             ;   in Loop: Header=BB2_3533 Depth=2
	s_or_b32 exec_lo, exec_lo, s40
.LBB2_4112:                             ;   in Loop: Header=BB2_3533 Depth=2
	s_delay_alu instid0(SALU_CYCLE_1)
	s_or_b32 exec_lo, exec_lo, s10
.LBB2_4113:                             ;   in Loop: Header=BB2_3533 Depth=2
	s_delay_alu instid0(SALU_CYCLE_1) | instskip(SKIP_3) | instid1(VALU_DEP_1)
	s_or_b32 exec_lo, exec_lo, s7
	v_lshrrev_b32_e32 v30, 16, v11
	s_mov_b32 s10, 0
	s_mov_b32 s7, exec_lo
	v_and_b32_e32 v84, 0xff, v30
	s_delay_alu instid0(VALU_DEP_1)
	v_cmpx_lt_i16_e32 0x7f, v84
	s_xor_b32 s7, exec_lo, s7
	s_cbranch_execnz .LBB2_4116
; %bb.4114:                             ;   in Loop: Header=BB2_3533 Depth=2
	s_or_saveexec_b32 s7, s7
	v_bfrev_b32_e32 v83, 1
	s_xor_b32 exec_lo, exec_lo, s7
	s_cbranch_execnz .LBB2_4119
.LBB2_4115:                             ;   in Loop: Header=BB2_3533 Depth=2
	s_or_b32 exec_lo, exec_lo, s7
	s_and_saveexec_b32 s7, s10
	s_cbranch_execnz .LBB2_4120
	s_branch .LBB2_4123
.LBB2_4116:                             ;   in Loop: Header=BB2_3533 Depth=2
	s_mov_b32 s10, -1
	s_mov_b32 s40, exec_lo
	v_cmpx_eq_u16_e32 0x80, v84
; %bb.4117:                             ;   in Loop: Header=BB2_3533 Depth=2
	s_xor_b32 s10, exec_lo, -1
; %bb.4118:                             ;   in Loop: Header=BB2_3533 Depth=2
	s_or_b32 exec_lo, exec_lo, s40
	s_delay_alu instid0(SALU_CYCLE_1)
	s_and_b32 s10, s10, exec_lo
                                        ; implicit-def: $vgpr84
	s_or_saveexec_b32 s7, s7
	v_bfrev_b32_e32 v83, 1
	s_xor_b32 exec_lo, exec_lo, s7
	s_cbranch_execz .LBB2_4115
.LBB2_4119:                             ;   in Loop: Header=BB2_3533 Depth=2
	v_cmp_ne_u16_e32 vcc_lo, 0, v84
	v_mov_b32_e32 v83, 0
	s_and_not1_b32 s10, s10, exec_lo
	s_and_b32 s40, vcc_lo, exec_lo
	s_delay_alu instid0(SALU_CYCLE_1)
	s_or_b32 s10, s10, s40
	s_or_b32 exec_lo, exec_lo, s7
	s_and_saveexec_b32 s7, s10
	s_cbranch_execz .LBB2_4123
.LBB2_4120:                             ;   in Loop: Header=BB2_3533 Depth=2
	v_and_b32_e32 v84, 0x7f, v30
	v_mov_b32_e32 v83, 0x7f800001
	s_mov_b32 s10, exec_lo
	s_delay_alu instid0(VALU_DEP_2)
	v_cmpx_ne_u32_e32 0x7f, v84
	s_cbranch_execz .LBB2_4122
; %bb.4121:                             ;   in Loop: Header=BB2_3533 Depth=2
	v_and_b32_e32 v83, 7, v30
	v_cmp_gt_u32_e32 vcc_lo, 8, v84
	s_delay_alu instid0(VALU_DEP_2) | instskip(NEXT) | instid1(VALU_DEP_1)
	v_clz_i32_u32_e32 v85, v83
	v_min_u32_e32 v85, 32, v85
	s_delay_alu instid0(VALU_DEP_1) | instskip(NEXT) | instid1(VALU_DEP_1)
	v_subrev_nc_u32_e32 v56, 28, v85
	v_lshlrev_b64_e32 v[56:57], v56, v[30:31]
	v_dual_lshrrev_b32 v57, 3, v84 :: v_dual_sub_nc_u32 v85, 29, v85
	s_delay_alu instid0(VALU_DEP_2) | instskip(NEXT) | instid1(VALU_DEP_1)
	v_dual_lshlrev_b32 v30, 24, v30 :: v_dual_bitop2_b32 v84, 7, v56 bitop3:0x40
	v_dual_cndmask_b32 v85, v57, v85, vcc_lo :: v_dual_cndmask_b32 v83, v83, v84, vcc_lo
	s_delay_alu instid0(VALU_DEP_2) | instskip(NEXT) | instid1(VALU_DEP_2)
	v_and_b32_e32 v30, 0x80000000, v30
	v_lshl_add_u32 v84, v85, 23, 0x3c000000
	s_delay_alu instid0(VALU_DEP_3) | instskip(NEXT) | instid1(VALU_DEP_1)
	v_lshlrev_b32_e32 v83, 20, v83
	v_or3_b32 v83, v83, v30, v84
.LBB2_4122:                             ;   in Loop: Header=BB2_3533 Depth=2
	s_or_b32 exec_lo, exec_lo, s10
.LBB2_4123:                             ;   in Loop: Header=BB2_3533 Depth=2
	s_delay_alu instid0(SALU_CYCLE_1) | instskip(NEXT) | instid1(VALU_DEP_1)
	s_or_b32 exec_lo, exec_lo, s7
	v_dual_add_f32 v82, v82, v83 :: v_dual_mov_b32 v85, v33
                                        ; implicit-def: $vgpr56
	s_mov_b32 s7, exec_lo
	s_delay_alu instid0(VALU_DEP_1) | instskip(SKIP_1) | instid1(VALU_DEP_2)
	v_and_b32_e32 v84, 0x7f800000, v82
	v_lshrrev_b32_e32 v30, 24, v82
	v_cmpx_ne_u64_e32 0x7f800000, v[84:85]
	s_xor_b32 s10, exec_lo, s7
	s_cbranch_execz .LBB2_4137
; %bb.4124:                             ;   in Loop: Header=BB2_3533 Depth=2
	v_and_b32_e32 v84, 0x7fffffff, v82
	v_mov_b32_e32 v85, v33
	v_and_b32_e32 v30, 0x80, v30
                                        ; implicit-def: $vgpr56
	s_mov_b32 s7, exec_lo
	s_delay_alu instid0(VALU_DEP_2)
	v_cmpx_gt_u64_e32 0x43e00001, v[84:85]
	s_xor_b32 s40, exec_lo, s7
	s_cbranch_execz .LBB2_4134
; %bb.4125:                             ;   in Loop: Header=BB2_3533 Depth=2
	v_mov_b32_e32 v56, 0
	s_mov_b32 s41, exec_lo
	v_cmpx_ne_u32_e32 0, v82
	s_cbranch_execz .LBB2_4133
; %bb.4126:                             ;   in Loop: Header=BB2_3533 Depth=2
	v_bfe_u32 v56, v82, 23, 8
	v_and_b32_e32 v84, 0x7fffff, v82
	s_mov_b32 s42, exec_lo
	s_delay_alu instid0(VALU_DEP_2) | instskip(SKIP_1) | instid1(VALU_DEP_3)
	v_sub_nc_u32_e32 v83, 0x79, v56
	v_cmp_gt_u32_e32 vcc_lo, 0x7a, v56
	v_or_b32_e32 v85, 0x800000, v84
	s_delay_alu instid0(VALU_DEP_3) | instskip(SKIP_1) | instid1(VALU_DEP_2)
	v_cndmask_b32_e32 v83, 0, v83, vcc_lo
	v_cmp_eq_u32_e32 vcc_lo, 0, v56
	v_cndmask_b32_e64 v57, v83, 0x78, vcc_lo
	s_delay_alu instid0(VALU_DEP_4) | instskip(NEXT) | instid1(VALU_DEP_2)
	v_cndmask_b32_e32 v84, v85, v84, vcc_lo
	v_dual_mov_b32 v85, v33 :: v_dual_add_nc_u32 v82, 20, v57
	v_add_nc_u32_e32 v58, 19, v57
	s_delay_alu instid0(VALU_DEP_2) | instskip(NEXT) | instid1(VALU_DEP_2)
	v_lshlrev_b64_e64 v[82:83], v82, -1
	v_lshlrev_b64_e64 v[58:59], v58, 1
	s_delay_alu instid0(VALU_DEP_2) | instskip(NEXT) | instid1(VALU_DEP_3)
	v_bfi_b32 v61, v83, 0, 0
	v_bfi_b32 v60, v82, 0, v84
	v_lshrrev_b64 v[82:83], v57, v[84:85]
	s_delay_alu instid0(VALU_DEP_1) | instskip(NEXT) | instid1(VALU_DEP_3)
	v_mov_b64_e32 v[84:85], v[82:83]
	v_cmpx_eq_u64_e64 v[60:61], v[58:59]
; %bb.4127:                             ;   in Loop: Header=BB2_3533 Depth=2
	v_bfe_u32 v84, v82, 20, 1
	v_mov_b32_e32 v85, v33
	s_delay_alu instid0(VALU_DEP_1) | instskip(NEXT) | instid1(VALU_DEP_1)
	v_add_nc_u64_e32 v[84:85], v[82:83], v[84:85]
	v_add_nc_u64_e32 v[84:85], -1, v[84:85]
; %bb.4128:                             ;   in Loop: Header=BB2_3533 Depth=2
	s_or_b32 exec_lo, exec_lo, s42
	v_add_nc_u32_e32 v83, 0xffffff81, v56
	v_lshrrev_b32_e32 v85, 23, v82
	s_mov_b32 s7, exec_lo
	s_delay_alu instid0(VALU_DEP_2) | instskip(NEXT) | instid1(VALU_DEP_1)
	v_cndmask_b32_e64 v83, v83, 0xffffff82, vcc_lo
	v_add3_u32 v85, v57, v83, v85
	v_and_b32_e32 v83, 0xfffff, v84
                                        ; implicit-def: $vgpr84
	s_delay_alu instid0(VALU_DEP_1) | instskip(SKIP_1) | instid1(VALU_DEP_2)
	v_dual_add_nc_u32 v56, 6, v85 :: v_dual_add_nc_u32 v82, v83, v82
	v_mov_b32_e32 v83, v33
	v_cmpx_ne_u32_e32 0, v56
	s_xor_b32 s7, exec_lo, s7
; %bb.4129:                             ;   in Loop: Header=BB2_3533 Depth=2
	s_delay_alu instid0(VALU_DEP_2) | instskip(SKIP_2) | instid1(VALU_DEP_2)
	v_cmp_lt_u64_e32 vcc_lo, 0xffffff, v[82:83]
	v_add_nc_u32_e32 v84, 7, v85
	v_cndmask_b32_e64 v85, 0, 1, vcc_lo
	v_cndmask_b32_e32 v84, v56, v84, vcc_lo
	s_delay_alu instid0(VALU_DEP_2)
	v_lshrrev_b64 v[82:83], v85, v[82:83]
; %bb.4130:                             ;   in Loop: Header=BB2_3533 Depth=2
	s_and_not1_saveexec_b32 s7, s7
; %bb.4131:                             ;   in Loop: Header=BB2_3533 Depth=2
	s_delay_alu instid0(VALU_DEP_1)
	v_bfe_u32 v84, v82, 23, 1
; %bb.4132:                             ;   in Loop: Header=BB2_3533 Depth=2
	s_or_b32 exec_lo, exec_lo, s7
	s_delay_alu instid0(VALU_DEP_2) | instskip(NEXT) | instid1(VALU_DEP_2)
	v_lshrrev_b64 v[82:83], 20, v[82:83]
	v_cmp_gt_i32_e32 vcc_lo, 16, v84
	v_min_i32_e32 v85, 15, v84
	v_cmp_eq_u32_e64 s7, 0, v84
	s_delay_alu instid0(VALU_DEP_2) | instskip(SKIP_1) | instid1(VALU_DEP_2)
	v_dual_cndmask_b32 v83, 0, v83, vcc_lo :: v_dual_lshlrev_b32 v85, 3, v85
	v_cndmask_b32_e32 v82, 7, v82, vcc_lo
	v_and_b32_e32 v85, 0xf8, v85
	s_delay_alu instid0(VALU_DEP_2) | instskip(NEXT) | instid1(VALU_DEP_2)
	v_cmp_eq_u64_e32 vcc_lo, 0, v[82:83]
	v_and_or_b32 v82, v82, 7, v85
	s_and_b32 s7, s7, vcc_lo
	s_delay_alu instid0(VALU_DEP_1) | instid1(SALU_CYCLE_1)
	v_cndmask_b32_e64 v82, v82, 0, s7
	s_delay_alu instid0(VALU_DEP_1)
	v_or_b32_e32 v56, v82, v30
.LBB2_4133:                             ;   in Loop: Header=BB2_3533 Depth=2
	s_or_b32 exec_lo, exec_lo, s41
                                        ; implicit-def: $vgpr30
.LBB2_4134:                             ;   in Loop: Header=BB2_3533 Depth=2
	s_and_not1_saveexec_b32 s7, s40
; %bb.4135:                             ;   in Loop: Header=BB2_3533 Depth=2
	v_or_b32_e32 v56, 0x7e, v30
; %bb.4136:                             ;   in Loop: Header=BB2_3533 Depth=2
	s_or_b32 exec_lo, exec_lo, s7
                                        ; implicit-def: $vgpr30
.LBB2_4137:                             ;   in Loop: Header=BB2_3533 Depth=2
	s_and_not1_saveexec_b32 s7, s10
; %bb.4138:                             ;   in Loop: Header=BB2_3533 Depth=2
	v_or_b32_e32 v56, 0x7f, v30
; %bb.4139:                             ;   in Loop: Header=BB2_3533 Depth=2
	s_or_b32 exec_lo, exec_lo, s7
	v_mov_b32_e32 v82, 0
	s_mov_b32 s7, exec_lo
	v_cmpx_lt_u32_e32 0xffffff, v32
	s_cbranch_execz .LBB2_4147
; %bb.4140:                             ;   in Loop: Header=BB2_3533 Depth=2
	v_lshrrev_b32_e32 v30, 24, v32
	v_bfrev_b32_e32 v82, 1
	s_mov_b32 s10, exec_lo
	s_delay_alu instid0(VALU_DEP_2)
	v_cmpx_ne_u32_e32 0x80, v30
	s_cbranch_execz .LBB2_4146
; %bb.4141:                             ;   in Loop: Header=BB2_3533 Depth=2
	v_bfe_u32 v83, v32, 24, 7
	v_mov_b32_e32 v82, 0x7f800001
	s_mov_b32 s40, exec_lo
	s_delay_alu instid0(VALU_DEP_2)
	v_cmpx_ne_u32_e32 0x7f, v83
	s_cbranch_execz .LBB2_4145
; %bb.4142:                             ;   in Loop: Header=BB2_3533 Depth=2
	v_dual_lshrrev_b32 v82, 3, v83 :: v_dual_bitop2_b32 v32, 7, v30 bitop3:0x40
	s_mov_b32 s41, exec_lo
	v_cmpx_gt_u32_e32 8, v83
; %bb.4143:                             ;   in Loop: Header=BB2_3533 Depth=2
	s_delay_alu instid0(VALU_DEP_2) | instskip(NEXT) | instid1(VALU_DEP_1)
	v_clz_i32_u32_e32 v82, v32
	v_min_u32_e32 v82, 32, v82
	s_delay_alu instid0(VALU_DEP_1) | instskip(NEXT) | instid1(VALU_DEP_1)
	v_subrev_nc_u32_e32 v83, 28, v82
	v_lshlrev_b64_e32 v[84:85], v83, v[32:33]
	s_delay_alu instid0(VALU_DEP_1)
	v_dual_sub_nc_u32 v82, 29, v82 :: v_dual_bitop2_b32 v32, 7, v84 bitop3:0x40
; %bb.4144:                             ;   in Loop: Header=BB2_3533 Depth=2
	s_or_b32 exec_lo, exec_lo, s41
	s_delay_alu instid0(VALU_DEP_1) | instskip(NEXT) | instid1(VALU_DEP_2)
	v_dual_lshlrev_b32 v30, 24, v30 :: v_dual_lshlrev_b32 v32, 20, v32
	v_lshl_add_u32 v82, v82, 23, 0x3c000000
	s_delay_alu instid0(VALU_DEP_2) | instskip(NEXT) | instid1(VALU_DEP_1)
	v_and_b32_e32 v30, 0x80000000, v30
	v_or3_b32 v82, v32, v30, v82
.LBB2_4145:                             ;   in Loop: Header=BB2_3533 Depth=2
	s_or_b32 exec_lo, exec_lo, s40
.LBB2_4146:                             ;   in Loop: Header=BB2_3533 Depth=2
	s_delay_alu instid0(SALU_CYCLE_1)
	s_or_b32 exec_lo, exec_lo, s10
.LBB2_4147:                             ;   in Loop: Header=BB2_3533 Depth=2
	s_delay_alu instid0(SALU_CYCLE_1) | instskip(SKIP_3) | instid1(VALU_DEP_3)
	s_or_b32 exec_lo, exec_lo, s7
	v_lshrrev_b32_e32 v30, 24, v11
	v_bfe_u32 v32, v11, 24, 7
	v_cmp_gt_u64_e64 s10, s[14:15], v[10:11]
	v_cmp_eq_u32_e64 s7, 0x80, v30
	s_delay_alu instid0(VALU_DEP_3) | instskip(NEXT) | instid1(VALU_DEP_2)
	v_cmp_eq_u32_e32 vcc_lo, 0x7f, v32
	v_cndmask_b32_e64 v83, 0x7f800001, v99, s7
	s_or_b32 s7, s7, vcc_lo
	s_delay_alu instid0(VALU_DEP_1) | instskip(SKIP_1) | instid1(SALU_CYCLE_1)
	v_cndmask_b32_e64 v10, v83, 0, s10
	s_nor_b32 s10, s10, s7
	s_and_saveexec_b32 s7, s10
	s_cbranch_execz .LBB2_4149
; %bb.4148:                             ;   in Loop: Header=BB2_3533 Depth=2
	v_and_b32_e32 v83, 7, v30
	v_cmp_gt_u32_e32 vcc_lo, 8, v32
	s_delay_alu instid0(VALU_DEP_2) | instskip(NEXT) | instid1(VALU_DEP_1)
	v_clz_i32_u32_e32 v10, v83
	v_min_u32_e32 v84, 32, v10
	s_delay_alu instid0(VALU_DEP_1) | instskip(NEXT) | instid1(VALU_DEP_1)
	v_subrev_nc_u32_e32 v10, 28, v84
	v_lshlrev_b64_e32 v[10:11], v10, v[30:31]
	v_lshrrev_b32_e32 v11, 3, v32
	s_delay_alu instid0(VALU_DEP_2) | instskip(NEXT) | instid1(VALU_DEP_1)
	v_dual_sub_nc_u32 v84, 29, v84 :: v_dual_bitop2_b32 v10, 7, v10 bitop3:0x40
	v_dual_cndmask_b32 v11, v11, v84 :: v_dual_lshlrev_b32 v30, 24, v30
	s_delay_alu instid0(VALU_DEP_2) | instskip(NEXT) | instid1(VALU_DEP_2)
	v_cndmask_b32_e32 v10, v83, v10, vcc_lo
	v_and_b32_e32 v30, 0x80000000, v30
	s_delay_alu instid0(VALU_DEP_3) | instskip(NEXT) | instid1(VALU_DEP_3)
	v_lshl_add_u32 v11, v11, 23, 0x3c000000
	v_lshlrev_b32_e32 v10, 20, v10
	s_delay_alu instid0(VALU_DEP_1)
	v_or3_b32 v10, v10, v30, v11
.LBB2_4149:                             ;   in Loop: Header=BB2_3533 Depth=2
	s_or_b32 exec_lo, exec_lo, s7
	s_delay_alu instid0(VALU_DEP_1) | instskip(SKIP_1) | instid1(VALU_DEP_1)
	v_add_f32_e32 v10, v82, v10
                                        ; implicit-def: $vgpr30
	s_mov_b32 s7, exec_lo
	v_and_b32_e32 v32, 0x7f800000, v10
	v_lshrrev_b32_e32 v11, 24, v10
	s_delay_alu instid0(VALU_DEP_2)
	v_cmpx_ne_u64_e32 0x7f800000, v[32:33]
	s_xor_b32 s10, exec_lo, s7
	s_cbranch_execz .LBB2_4163
; %bb.4150:                             ;   in Loop: Header=BB2_3533 Depth=2
	v_and_b32_e32 v32, 0x7fffffff, v10
	v_and_b32_e32 v84, 0x80, v11
                                        ; implicit-def: $vgpr30
	s_mov_b32 s7, exec_lo
	s_delay_alu instid0(VALU_DEP_2)
	v_cmpx_gt_u64_e32 0x43e00001, v[32:33]
	s_xor_b32 s40, exec_lo, s7
	s_cbranch_execz .LBB2_4160
; %bb.4151:                             ;   in Loop: Header=BB2_3533 Depth=2
	v_mov_b32_e32 v30, 0
	s_mov_b32 s41, exec_lo
	v_cmpx_ne_u32_e32 0, v10
	s_cbranch_execz .LBB2_4159
; %bb.4152:                             ;   in Loop: Header=BB2_3533 Depth=2
	v_bfe_u32 v30, v10, 23, 8
	v_and_b32_e32 v32, 0x7fffff, v10
	s_delay_alu instid0(VALU_DEP_2) | instskip(NEXT) | instid1(VALU_DEP_2)
	v_cmp_gt_u32_e32 vcc_lo, 0x7a, v30
	v_or_b32_e32 v82, 0x800000, v32
	v_sub_nc_u32_e32 v11, 0x79, v30
	s_delay_alu instid0(VALU_DEP_1) | instskip(SKIP_1) | instid1(VALU_DEP_2)
	v_cndmask_b32_e32 v11, 0, v11, vcc_lo
	v_cmp_eq_u32_e32 vcc_lo, 0, v30
	v_cndmask_b32_e64 v85, v11, 0x78, vcc_lo
	s_delay_alu instid0(VALU_DEP_1) | instskip(SKIP_1) | instid1(VALU_DEP_2)
	v_dual_cndmask_b32 v32, v82, v32, vcc_lo :: v_dual_add_nc_u32 v10, 20, v85
	v_add_nc_u32_e32 v83, 19, v85
	v_lshlrev_b64_e64 v[10:11], v10, -1
	s_delay_alu instid0(VALU_DEP_2) | instskip(NEXT) | instid1(VALU_DEP_2)
	v_lshlrev_b64_e64 v[82:83], v83, 1
	v_bfi_b32 v59, v11, 0, 0
	s_delay_alu instid0(VALU_DEP_3) | instskip(SKIP_1) | instid1(VALU_DEP_2)
	v_bfi_b32 v58, v10, 0, v32
	v_lshrrev_b64 v[10:11], v85, v[32:33]
	v_cmp_eq_u64_e64 s7, v[58:59], v[82:83]
	s_delay_alu instid0(VALU_DEP_2)
	v_mov_b64_e32 v[82:83], v[10:11]
	s_and_saveexec_b32 s42, s7
; %bb.4153:                             ;   in Loop: Header=BB2_3533 Depth=2
	v_bfe_u32 v32, v10, 20, 1
	s_delay_alu instid0(VALU_DEP_1) | instskip(NEXT) | instid1(VALU_DEP_1)
	v_add_nc_u64_e32 v[82:83], v[10:11], v[32:33]
	v_add_nc_u64_e32 v[82:83], -1, v[82:83]
; %bb.4154:                             ;   in Loop: Header=BB2_3533 Depth=2
	s_or_b32 exec_lo, exec_lo, s42
	v_add_nc_u32_e32 v11, 0xffffff81, v30
	v_lshrrev_b32_e32 v30, 23, v10
	s_mov_b32 s7, exec_lo
	s_delay_alu instid0(VALU_DEP_2) | instskip(NEXT) | instid1(VALU_DEP_1)
	v_cndmask_b32_e64 v11, v11, 0xffffff82, vcc_lo
	v_add3_u32 v83, v85, v11, v30
	v_and_b32_e32 v11, 0xfffff, v82
                                        ; implicit-def: $vgpr30
	s_delay_alu instid0(VALU_DEP_1) | instskip(NEXT) | instid1(VALU_DEP_1)
	v_dual_add_nc_u32 v82, 6, v83 :: v_dual_add_nc_u32 v32, v11, v10
                                        ; implicit-def: $vgpr10_vgpr11
	v_cmpx_ne_u32_e32 0, v82
	s_xor_b32 s7, exec_lo, s7
; %bb.4155:                             ;   in Loop: Header=BB2_3533 Depth=2
	s_delay_alu instid0(VALU_DEP_2) | instskip(SKIP_1) | instid1(VALU_DEP_1)
	v_cmp_lt_u64_e32 vcc_lo, 0xffffff, v[32:33]
	v_add_nc_u32_e32 v10, 7, v83
	v_cndmask_b32_e32 v30, v82, v10, vcc_lo
	v_cndmask_b32_e64 v10, 0, 1, vcc_lo
	s_delay_alu instid0(VALU_DEP_1)
	v_lshrrev_b64 v[10:11], v10, v[32:33]
; %bb.4156:                             ;   in Loop: Header=BB2_3533 Depth=2
	s_and_not1_saveexec_b32 s7, s7
; %bb.4157:                             ;   in Loop: Header=BB2_3533 Depth=2
	v_mov_b64_e32 v[10:11], v[32:33]
	v_bfe_u32 v30, v32, 23, 1
; %bb.4158:                             ;   in Loop: Header=BB2_3533 Depth=2
	s_or_b32 exec_lo, exec_lo, s7
	s_delay_alu instid0(VALU_DEP_2) | instskip(NEXT) | instid1(VALU_DEP_2)
	v_lshrrev_b64 v[10:11], 20, v[10:11]
	v_cmp_gt_i32_e32 vcc_lo, 16, v30
	v_min_i32_e32 v32, 15, v30
	v_cmp_eq_u32_e64 s7, 0, v30
	s_delay_alu instid0(VALU_DEP_2) | instskip(SKIP_1) | instid1(VALU_DEP_2)
	v_dual_cndmask_b32 v11, 0, v11 :: v_dual_lshlrev_b32 v32, 3, v32
	v_cndmask_b32_e32 v10, 7, v10, vcc_lo
	v_and_b32_e32 v32, 0xf8, v32
	s_delay_alu instid0(VALU_DEP_2) | instskip(NEXT) | instid1(VALU_DEP_2)
	v_cmp_eq_u64_e32 vcc_lo, 0, v[10:11]
	v_and_or_b32 v10, v10, 7, v32
	s_and_b32 s7, s7, vcc_lo
	s_delay_alu instid0(VALU_DEP_1) | instid1(SALU_CYCLE_1)
	v_cndmask_b32_e64 v10, v10, 0, s7
	s_delay_alu instid0(VALU_DEP_1)
	v_or_b32_e32 v30, v10, v84
.LBB2_4159:                             ;   in Loop: Header=BB2_3533 Depth=2
	s_or_b32 exec_lo, exec_lo, s41
                                        ; implicit-def: $vgpr84
.LBB2_4160:                             ;   in Loop: Header=BB2_3533 Depth=2
	s_and_not1_saveexec_b32 s7, s40
; %bb.4161:                             ;   in Loop: Header=BB2_3533 Depth=2
	v_or_b32_e32 v30, 0x7e, v84
; %bb.4162:                             ;   in Loop: Header=BB2_3533 Depth=2
	s_or_b32 exec_lo, exec_lo, s7
                                        ; implicit-def: $vgpr11
.LBB2_4163:                             ;   in Loop: Header=BB2_3533 Depth=2
	s_and_not1_saveexec_b32 s7, s10
; %bb.4164:                             ;   in Loop: Header=BB2_3533 Depth=2
	v_or_b32_e32 v30, 0x7f, v11
; %bb.4165:                             ;   in Loop: Header=BB2_3533 Depth=2
	s_or_b32 exec_lo, exec_lo, s7
	v_lshl_or_b32 v84, v43, 8, v40
	v_dual_lshlrev_b32 v10, 16, v46 :: v_dual_lshlrev_b32 v11, 24, v47
	s_mov_b32 s7, exec_lo
	s_delay_alu instid0(VALU_DEP_1)
	v_or3_b32 v32, v10, v11, v84
	v_mov_b32_e32 v10, 0
	v_cmpx_ne_u32_e32 0, v40
	s_cbranch_execz .LBB2_4171
; %bb.4166:                             ;   in Loop: Header=BB2_3533 Depth=2
	v_bfrev_b32_e32 v10, 1
	s_mov_b32 s10, exec_lo
	v_cmpx_ne_u32_e32 0x80, v40
	s_cbranch_execz .LBB2_4170
; %bb.4167:                             ;   in Loop: Header=BB2_3533 Depth=2
	v_and_b32_e32 v11, 0x7f, v40
	v_mov_b32_e32 v10, 0x7f800001
	s_mov_b32 s40, exec_lo
	s_delay_alu instid0(VALU_DEP_2)
	v_cmpx_ne_u32_e32 0x7f, v11
	s_cbranch_execz .LBB2_4169
; %bb.4168:                             ;   in Loop: Header=BB2_3533 Depth=2
	v_dual_lshrrev_b32 v82, 3, v11 :: v_dual_bitop2_b32 v10, 7, v40 bitop3:0x40
	v_cmp_gt_u32_e32 vcc_lo, 8, v11
	s_delay_alu instid0(VALU_DEP_2) | instskip(NEXT) | instid1(VALU_DEP_1)
	v_clz_i32_u32_e32 v10, v10
	v_min_u32_e32 v10, 32, v10
	s_delay_alu instid0(VALU_DEP_1) | instskip(SKIP_1) | instid1(VALU_DEP_1)
	v_subrev_nc_u32_e32 v83, 28, v10
	v_sub_nc_u32_e32 v10, 29, v10
	v_dual_cndmask_b32 v82, v82, v10, vcc_lo :: v_dual_cndmask_b32 v10, 0, v83, vcc_lo
	s_delay_alu instid0(VALU_DEP_1) | instskip(NEXT) | instid1(VALU_DEP_2)
	v_lshl_add_u32 v82, v82, 23, 0x3c000000
	v_lshlrev_b64_e32 v[10:11], v10, v[32:33]
	v_lshlrev_b32_e32 v11, 24, v32
	s_delay_alu instid0(VALU_DEP_1) | instskip(NEXT) | instid1(VALU_DEP_3)
	v_and_b32_e32 v11, 0x80000000, v11
	v_lshlrev_b32_e32 v10, 20, v10
	s_delay_alu instid0(VALU_DEP_1) | instskip(NEXT) | instid1(VALU_DEP_1)
	v_and_b32_e32 v10, 0x700000, v10
	v_or3_b32 v10, v10, v11, v82
.LBB2_4169:                             ;   in Loop: Header=BB2_3533 Depth=2
	s_or_b32 exec_lo, exec_lo, s40
.LBB2_4170:                             ;   in Loop: Header=BB2_3533 Depth=2
	s_delay_alu instid0(SALU_CYCLE_1)
	s_or_b32 exec_lo, exec_lo, s10
.LBB2_4171:                             ;   in Loop: Header=BB2_3533 Depth=2
	s_delay_alu instid0(SALU_CYCLE_1) | instskip(SKIP_3) | instid1(VALU_DEP_1)
	s_or_b32 exec_lo, exec_lo, s7
	v_and_b32_e32 v82, 0xff, v12
	s_mov_b32 s7, 0
	s_mov_b32 s10, exec_lo
	v_cmpx_lt_i16_e32 0x7f, v82
	s_xor_b32 s10, exec_lo, s10
	s_cbranch_execnz .LBB2_4202
; %bb.4172:                             ;   in Loop: Header=BB2_3533 Depth=2
	s_or_saveexec_b32 s10, s10
	v_bfrev_b32_e32 v11, 1
	s_xor_b32 exec_lo, exec_lo, s10
	s_cbranch_execnz .LBB2_4205
.LBB2_4173:                             ;   in Loop: Header=BB2_3533 Depth=2
	s_or_b32 exec_lo, exec_lo, s10
	s_and_saveexec_b32 s10, s7
	s_cbranch_execz .LBB2_4175
.LBB2_4174:                             ;   in Loop: Header=BB2_3533 Depth=2
	v_and_b32_e32 v85, 0x7f, v12
	v_bfe_u32 v82, v12, 3, 4
	s_delay_alu instid0(VALU_DEP_2) | instskip(SKIP_1) | instid1(VALU_DEP_1)
	v_cmp_gt_u32_e32 vcc_lo, 8, v85
	v_and_b32_e32 v11, 7, v12
	v_clz_i32_u32_e32 v11, v11
	s_delay_alu instid0(VALU_DEP_1) | instskip(NEXT) | instid1(VALU_DEP_1)
	v_min_u32_e32 v11, 32, v11
	v_subrev_nc_u32_e32 v83, 28, v11
	v_sub_nc_u32_e32 v11, 29, v11
	s_delay_alu instid0(VALU_DEP_1) | instskip(NEXT) | instid1(VALU_DEP_3)
	v_cndmask_b32_e32 v11, v82, v11, vcc_lo
	v_cndmask_b32_e32 v82, 0, v83, vcc_lo
	v_cmp_ne_u32_e32 vcc_lo, 0x7f, v85
	s_delay_alu instid0(VALU_DEP_2) | instskip(SKIP_1) | instid1(VALU_DEP_1)
	v_lshlrev_b64_e32 v[82:83], v82, v[12:13]
	v_lshlrev_b32_e32 v83, 24, v12
	v_and_b32_e32 v83, 0x80000000, v83
	s_delay_alu instid0(VALU_DEP_3) | instskip(SKIP_1) | instid1(VALU_DEP_2)
	v_lshlrev_b32_e32 v82, 20, v82
	v_lshl_add_u32 v11, v11, 23, 0x3c000000
	v_and_b32_e32 v82, 0x700000, v82
	s_delay_alu instid0(VALU_DEP_1) | instskip(NEXT) | instid1(VALU_DEP_1)
	v_or3_b32 v11, v82, v83, v11
	v_cndmask_b32_e32 v11, 0x7f800001, v11, vcc_lo
.LBB2_4175:                             ;   in Loop: Header=BB2_3533 Depth=2
	s_or_b32 exec_lo, exec_lo, s10
	s_delay_alu instid0(VALU_DEP_1) | instskip(SKIP_1) | instid1(VALU_DEP_1)
	v_dual_add_f32 v10, v10, v11 :: v_dual_mov_b32 v83, v33
                                        ; implicit-def: $vgpr40
	s_mov_b32 s7, exec_lo
	v_and_b32_e32 v82, 0x7f800000, v10
	v_lshrrev_b32_e32 v11, 24, v10
	s_delay_alu instid0(VALU_DEP_2)
	v_cmpx_ne_u64_e32 0x7f800000, v[82:83]
	s_xor_b32 s10, exec_lo, s7
	s_cbranch_execz .LBB2_4189
; %bb.4176:                             ;   in Loop: Header=BB2_3533 Depth=2
	v_and_b32_e32 v82, 0x7fffffff, v10
	v_mov_b32_e32 v83, v33
	v_and_b32_e32 v85, 0x80, v11
                                        ; implicit-def: $vgpr40
	s_mov_b32 s7, exec_lo
	s_delay_alu instid0(VALU_DEP_2)
	v_cmpx_gt_u64_e32 0x43e00001, v[82:83]
	s_xor_b32 s40, exec_lo, s7
	s_cbranch_execz .LBB2_4186
; %bb.4177:                             ;   in Loop: Header=BB2_3533 Depth=2
	v_mov_b32_e32 v40, 0
	s_mov_b32 s41, exec_lo
	v_cmpx_ne_u32_e32 0, v10
	s_cbranch_execz .LBB2_4185
; %bb.4178:                             ;   in Loop: Header=BB2_3533 Depth=2
	v_bfe_u32 v40, v10, 23, 8
	v_and_b32_e32 v82, 0x7fffff, v10
	s_mov_b32 s42, exec_lo
	s_delay_alu instid0(VALU_DEP_2) | instskip(NEXT) | instid1(VALU_DEP_2)
	v_cmp_gt_u32_e32 vcc_lo, 0x7a, v40
	v_or_b32_e32 v83, 0x800000, v82
	v_sub_nc_u32_e32 v11, 0x79, v40
	s_delay_alu instid0(VALU_DEP_1) | instskip(SKIP_1) | instid1(VALU_DEP_4)
	v_cndmask_b32_e32 v11, 0, v11, vcc_lo
	v_cmp_eq_u32_e32 vcc_lo, 0, v40
	v_dual_cndmask_b32 v82, v83, v82 :: v_dual_mov_b32 v83, v33
	s_delay_alu instid0(VALU_DEP_3) | instskip(NEXT) | instid1(VALU_DEP_1)
	v_cndmask_b32_e64 v43, v11, 0x78, vcc_lo
	v_dual_add_nc_u32 v10, 20, v43 :: v_dual_add_nc_u32 v46, 19, v43
	s_delay_alu instid0(VALU_DEP_1) | instskip(NEXT) | instid1(VALU_DEP_2)
	v_lshlrev_b64_e64 v[10:11], v10, -1
	v_lshlrev_b64_e64 v[46:47], v46, 1
	s_delay_alu instid0(VALU_DEP_2) | instskip(NEXT) | instid1(VALU_DEP_3)
	v_bfi_b32 v59, v11, 0, 0
	v_bfi_b32 v58, v10, 0, v82
	v_lshrrev_b64 v[10:11], v43, v[82:83]
	s_delay_alu instid0(VALU_DEP_1) | instskip(NEXT) | instid1(VALU_DEP_3)
	v_mov_b64_e32 v[82:83], v[10:11]
	v_cmpx_eq_u64_e64 v[58:59], v[46:47]
; %bb.4179:                             ;   in Loop: Header=BB2_3533 Depth=2
	v_bfe_u32 v82, v10, 20, 1
	v_mov_b32_e32 v83, v33
	s_delay_alu instid0(VALU_DEP_1) | instskip(NEXT) | instid1(VALU_DEP_1)
	v_add_nc_u64_e32 v[82:83], v[10:11], v[82:83]
	v_add_nc_u64_e32 v[82:83], -1, v[82:83]
; %bb.4180:                             ;   in Loop: Header=BB2_3533 Depth=2
	s_or_b32 exec_lo, exec_lo, s42
	v_add_nc_u32_e32 v11, 0xffffff81, v40
	v_lshrrev_b32_e32 v83, 23, v10
	s_mov_b32 s7, exec_lo
	s_delay_alu instid0(VALU_DEP_2) | instskip(NEXT) | instid1(VALU_DEP_1)
	v_cndmask_b32_e64 v11, v11, 0xffffff82, vcc_lo
	v_add3_u32 v83, v43, v11, v83
	v_and_b32_e32 v11, 0xfffff, v82
                                        ; implicit-def: $vgpr82
	s_delay_alu instid0(VALU_DEP_1) | instskip(SKIP_1) | instid1(VALU_DEP_2)
	v_dual_add_nc_u32 v40, 6, v83 :: v_dual_add_nc_u32 v10, v11, v10
	v_mov_b32_e32 v11, v33
	v_cmpx_ne_u32_e32 0, v40
	s_xor_b32 s7, exec_lo, s7
; %bb.4181:                             ;   in Loop: Header=BB2_3533 Depth=2
	s_delay_alu instid0(VALU_DEP_2) | instskip(SKIP_2) | instid1(VALU_DEP_2)
	v_cmp_lt_u64_e32 vcc_lo, 0xffffff, v[10:11]
	v_add_nc_u32_e32 v82, 7, v83
	v_cndmask_b32_e64 v83, 0, 1, vcc_lo
	v_cndmask_b32_e32 v82, v40, v82, vcc_lo
	s_delay_alu instid0(VALU_DEP_2)
	v_lshrrev_b64 v[10:11], v83, v[10:11]
; %bb.4182:                             ;   in Loop: Header=BB2_3533 Depth=2
	s_and_not1_saveexec_b32 s7, s7
; %bb.4183:                             ;   in Loop: Header=BB2_3533 Depth=2
	s_delay_alu instid0(VALU_DEP_1)
	v_bfe_u32 v82, v10, 23, 1
; %bb.4184:                             ;   in Loop: Header=BB2_3533 Depth=2
	s_or_b32 exec_lo, exec_lo, s7
	s_delay_alu instid0(VALU_DEP_2) | instskip(NEXT) | instid1(VALU_DEP_2)
	v_lshrrev_b64 v[10:11], 20, v[10:11]
	v_cmp_gt_i32_e32 vcc_lo, 16, v82
	v_min_i32_e32 v83, 15, v82
	v_cmp_eq_u32_e64 s7, 0, v82
	s_delay_alu instid0(VALU_DEP_4) | instskip(NEXT) | instid1(VALU_DEP_3)
	v_cndmask_b32_e32 v11, 0, v11, vcc_lo
	v_dual_cndmask_b32 v10, 7, v10 :: v_dual_lshlrev_b32 v83, 3, v83
	s_delay_alu instid0(VALU_DEP_1) | instskip(NEXT) | instid1(VALU_DEP_2)
	v_and_b32_e32 v83, 0xf8, v83
	v_cmp_eq_u64_e32 vcc_lo, 0, v[10:11]
	s_delay_alu instid0(VALU_DEP_2)
	v_and_or_b32 v10, v10, 7, v83
	s_and_b32 s7, s7, vcc_lo
	s_delay_alu instid0(VALU_DEP_1) | instid1(SALU_CYCLE_1)
	v_cndmask_b32_e64 v10, v10, 0, s7
	s_delay_alu instid0(VALU_DEP_1)
	v_or_b32_e32 v40, v10, v85
.LBB2_4185:                             ;   in Loop: Header=BB2_3533 Depth=2
	s_or_b32 exec_lo, exec_lo, s41
                                        ; implicit-def: $vgpr85
.LBB2_4186:                             ;   in Loop: Header=BB2_3533 Depth=2
	s_and_not1_saveexec_b32 s7, s40
; %bb.4187:                             ;   in Loop: Header=BB2_3533 Depth=2
	v_or_b32_e32 v40, 0x7e, v85
; %bb.4188:                             ;   in Loop: Header=BB2_3533 Depth=2
	s_or_b32 exec_lo, exec_lo, s7
                                        ; implicit-def: $vgpr11
.LBB2_4189:                             ;   in Loop: Header=BB2_3533 Depth=2
	s_and_not1_saveexec_b32 s7, s10
; %bb.4190:                             ;   in Loop: Header=BB2_3533 Depth=2
	v_or_b32_e32 v40, 0x7f, v11
; %bb.4191:                             ;   in Loop: Header=BB2_3533 Depth=2
	s_or_b32 exec_lo, exec_lo, s7
	v_lshrrev_b16 v10, 8, v84
	v_mov_b32_e32 v11, 0
	s_mov_b32 s7, exec_lo
	s_delay_alu instid0(VALU_DEP_2)
	v_cmpx_ne_u16_e32 0, v10
	s_cbranch_execz .LBB2_4199
; %bb.4192:                             ;   in Loop: Header=BB2_3533 Depth=2
	v_bfrev_b32_e32 v11, 1
	s_mov_b32 s10, exec_lo
	v_cmpx_ne_u16_e32 0x80, v10
	s_cbranch_execz .LBB2_4198
; %bb.4193:                             ;   in Loop: Header=BB2_3533 Depth=2
	v_and_b32_e32 v10, 0xffff, v10
	v_mov_b32_e32 v11, 0x7f800001
	s_mov_b32 s40, exec_lo
	s_delay_alu instid0(VALU_DEP_2) | instskip(NEXT) | instid1(VALU_DEP_1)
	v_and_b32_e32 v83, 0x7f, v10
	v_cmpx_ne_u32_e32 0x7f, v83
	s_cbranch_execz .LBB2_4197
; %bb.4194:                             ;   in Loop: Header=BB2_3533 Depth=2
	v_dual_mov_b32 v11, v33 :: v_dual_bitop2_b32 v10, 7, v10 bitop3:0x40
	v_lshrrev_b32_e32 v82, 3, v83
	s_mov_b32 s41, exec_lo
	v_cmpx_gt_u32_e32 8, v83
; %bb.4195:                             ;   in Loop: Header=BB2_3533 Depth=2
	s_delay_alu instid0(VALU_DEP_3) | instskip(NEXT) | instid1(VALU_DEP_1)
	v_clz_i32_u32_e32 v82, v10
	v_min_u32_e32 v82, 32, v82
	s_delay_alu instid0(VALU_DEP_1) | instskip(SKIP_1) | instid1(VALU_DEP_2)
	v_subrev_nc_u32_e32 v83, 28, v82
	v_sub_nc_u32_e32 v82, 29, v82
	v_lshlrev_b64_e32 v[10:11], v83, v[10:11]
	s_delay_alu instid0(VALU_DEP_1)
	v_and_b32_e32 v10, 7, v10
; %bb.4196:                             ;   in Loop: Header=BB2_3533 Depth=2
	s_or_b32 exec_lo, exec_lo, s41
	s_delay_alu instid0(VALU_DEP_1) | instskip(SKIP_1) | instid1(VALU_DEP_2)
	v_dual_lshlrev_b32 v11, 16, v84 :: v_dual_lshlrev_b32 v10, 20, v10
	v_lshl_add_u32 v82, v82, 23, 0x3c000000
	v_and_b32_e32 v11, 0x80000000, v11
	s_delay_alu instid0(VALU_DEP_1)
	v_or3_b32 v11, v10, v11, v82
.LBB2_4197:                             ;   in Loop: Header=BB2_3533 Depth=2
	s_or_b32 exec_lo, exec_lo, s40
.LBB2_4198:                             ;   in Loop: Header=BB2_3533 Depth=2
	s_delay_alu instid0(SALU_CYCLE_1)
	s_or_b32 exec_lo, exec_lo, s10
.LBB2_4199:                             ;   in Loop: Header=BB2_3533 Depth=2
	s_delay_alu instid0(SALU_CYCLE_1) | instskip(SKIP_3) | instid1(VALU_DEP_1)
	s_or_b32 exec_lo, exec_lo, s7
	v_lshrrev_b16 v82, 8, v12
	s_mov_b32 s10, 0
	s_mov_b32 s7, exec_lo
	v_cmpx_lt_i16_e32 0x7f, v82
	s_xor_b32 s7, exec_lo, s7
	s_cbranch_execnz .LBB2_4206
; %bb.4200:                             ;   in Loop: Header=BB2_3533 Depth=2
	s_or_saveexec_b32 s7, s7
	v_bfrev_b32_e32 v83, 1
	s_xor_b32 exec_lo, exec_lo, s7
	s_cbranch_execnz .LBB2_4209
.LBB2_4201:                             ;   in Loop: Header=BB2_3533 Depth=2
	s_or_b32 exec_lo, exec_lo, s7
	s_and_saveexec_b32 s7, s10
	s_cbranch_execnz .LBB2_4210
	s_branch .LBB2_4213
.LBB2_4202:                             ;   in Loop: Header=BB2_3533 Depth=2
	s_mov_b32 s7, -1
	s_mov_b32 s40, exec_lo
	v_cmpx_eq_u16_e32 0x80, v82
; %bb.4203:                             ;   in Loop: Header=BB2_3533 Depth=2
	s_xor_b32 s7, exec_lo, -1
; %bb.4204:                             ;   in Loop: Header=BB2_3533 Depth=2
	s_or_b32 exec_lo, exec_lo, s40
	s_delay_alu instid0(SALU_CYCLE_1)
	s_and_b32 s7, s7, exec_lo
                                        ; implicit-def: $vgpr82
	s_or_saveexec_b32 s10, s10
	v_bfrev_b32_e32 v11, 1
	s_xor_b32 exec_lo, exec_lo, s10
	s_cbranch_execz .LBB2_4173
.LBB2_4205:                             ;   in Loop: Header=BB2_3533 Depth=2
	v_cmp_ne_u16_e32 vcc_lo, 0, v82
	v_mov_b32_e32 v11, 0
	s_and_not1_b32 s7, s7, exec_lo
	s_and_b32 s40, vcc_lo, exec_lo
	s_delay_alu instid0(SALU_CYCLE_1)
	s_or_b32 s7, s7, s40
	s_or_b32 exec_lo, exec_lo, s10
	s_and_saveexec_b32 s10, s7
	s_cbranch_execnz .LBB2_4174
	s_branch .LBB2_4175
.LBB2_4206:                             ;   in Loop: Header=BB2_3533 Depth=2
	s_mov_b32 s10, -1
	s_mov_b32 s40, exec_lo
	v_cmpx_eq_u16_e32 0x80, v82
; %bb.4207:                             ;   in Loop: Header=BB2_3533 Depth=2
	s_xor_b32 s10, exec_lo, -1
; %bb.4208:                             ;   in Loop: Header=BB2_3533 Depth=2
	s_or_b32 exec_lo, exec_lo, s40
	s_delay_alu instid0(SALU_CYCLE_1)
	s_and_b32 s10, s10, exec_lo
	s_or_saveexec_b32 s7, s7
	v_bfrev_b32_e32 v83, 1
	s_xor_b32 exec_lo, exec_lo, s7
	s_cbranch_execz .LBB2_4201
.LBB2_4209:                             ;   in Loop: Header=BB2_3533 Depth=2
	v_cmp_ne_u16_e32 vcc_lo, 0, v82
	v_mov_b32_e32 v83, 0
	s_and_not1_b32 s10, s10, exec_lo
	s_and_b32 s40, vcc_lo, exec_lo
	s_delay_alu instid0(SALU_CYCLE_1)
	s_or_b32 s10, s10, s40
	s_or_b32 exec_lo, exec_lo, s7
	s_and_saveexec_b32 s7, s10
	s_cbranch_execz .LBB2_4213
.LBB2_4210:                             ;   in Loop: Header=BB2_3533 Depth=2
	v_and_b32_e32 v10, 0xffff, v82
	v_mov_b32_e32 v83, 0x7f800001
	s_mov_b32 s10, exec_lo
	s_delay_alu instid0(VALU_DEP_2) | instskip(NEXT) | instid1(VALU_DEP_1)
	v_and_b32_e32 v84, 0x7f, v10
	v_cmpx_ne_u32_e32 0x7f, v84
	s_cbranch_execz .LBB2_4212
; %bb.4211:                             ;   in Loop: Header=BB2_3533 Depth=2
	v_and_b32_e32 v83, 7, v10
	v_cmp_gt_u32_e32 vcc_lo, 8, v84
	s_delay_alu instid0(VALU_DEP_2) | instskip(NEXT) | instid1(VALU_DEP_1)
	v_clz_i32_u32_e32 v85, v83
	v_min_u32_e32 v85, 32, v85
	s_delay_alu instid0(VALU_DEP_1) | instskip(NEXT) | instid1(VALU_DEP_1)
	v_subrev_nc_u32_e32 v43, 28, v85
	v_lshlrev_b64_e32 v[46:47], v43, v[10:11]
	v_dual_lshrrev_b32 v10, 3, v84 :: v_dual_sub_nc_u32 v85, 29, v85
	s_delay_alu instid0(VALU_DEP_2) | instskip(NEXT) | instid1(VALU_DEP_2)
	v_and_b32_e32 v84, 7, v46
	v_dual_lshlrev_b32 v82, 24, v82 :: v_dual_cndmask_b32 v10, v10, v85, vcc_lo
	s_delay_alu instid0(VALU_DEP_2) | instskip(NEXT) | instid1(VALU_DEP_2)
	v_cndmask_b32_e32 v83, v83, v84, vcc_lo
	v_and_b32_e32 v82, 0x80000000, v82
	s_delay_alu instid0(VALU_DEP_3) | instskip(NEXT) | instid1(VALU_DEP_3)
	v_lshl_add_u32 v10, v10, 23, 0x3c000000
	v_lshlrev_b32_e32 v83, 20, v83
	s_delay_alu instid0(VALU_DEP_1)
	v_or3_b32 v83, v83, v82, v10
.LBB2_4212:                             ;   in Loop: Header=BB2_3533 Depth=2
	s_or_b32 exec_lo, exec_lo, s10
.LBB2_4213:                             ;   in Loop: Header=BB2_3533 Depth=2
	s_delay_alu instid0(SALU_CYCLE_1) | instskip(NEXT) | instid1(VALU_DEP_1)
	s_or_b32 exec_lo, exec_lo, s7
	v_dual_add_f32 v10, v11, v83 :: v_dual_mov_b32 v83, v33
                                        ; implicit-def: $vgpr43
	s_mov_b32 s7, exec_lo
	s_delay_alu instid0(VALU_DEP_1) | instskip(SKIP_1) | instid1(VALU_DEP_2)
	v_and_b32_e32 v82, 0x7f800000, v10
	v_lshrrev_b32_e32 v11, 24, v10
	v_cmpx_ne_u64_e32 0x7f800000, v[82:83]
	s_xor_b32 s10, exec_lo, s7
	s_cbranch_execz .LBB2_4227
; %bb.4214:                             ;   in Loop: Header=BB2_3533 Depth=2
	v_and_b32_e32 v82, 0x7fffffff, v10
	v_mov_b32_e32 v83, v33
	v_and_b32_e32 v84, 0x80, v11
                                        ; implicit-def: $vgpr43
	s_mov_b32 s7, exec_lo
	s_delay_alu instid0(VALU_DEP_2)
	v_cmpx_gt_u64_e32 0x43e00001, v[82:83]
	s_xor_b32 s40, exec_lo, s7
	s_cbranch_execz .LBB2_4224
; %bb.4215:                             ;   in Loop: Header=BB2_3533 Depth=2
	v_mov_b32_e32 v43, 0
	s_mov_b32 s41, exec_lo
	v_cmpx_ne_u32_e32 0, v10
	s_cbranch_execz .LBB2_4223
; %bb.4216:                             ;   in Loop: Header=BB2_3533 Depth=2
	v_bfe_u32 v85, v10, 23, 8
	v_and_b32_e32 v82, 0x7fffff, v10
	s_mov_b32 s42, exec_lo
	s_delay_alu instid0(VALU_DEP_2) | instskip(NEXT) | instid1(VALU_DEP_2)
	v_cmp_gt_u32_e32 vcc_lo, 0x7a, v85
	v_or_b32_e32 v83, 0x800000, v82
	v_sub_nc_u32_e32 v11, 0x79, v85
	s_delay_alu instid0(VALU_DEP_1) | instskip(SKIP_1) | instid1(VALU_DEP_4)
	v_cndmask_b32_e32 v11, 0, v11, vcc_lo
	v_cmp_eq_u32_e32 vcc_lo, 0, v85
	v_dual_cndmask_b32 v82, v83, v82 :: v_dual_mov_b32 v83, v33
	s_delay_alu instid0(VALU_DEP_3) | instskip(NEXT) | instid1(VALU_DEP_1)
	v_cndmask_b32_e64 v43, v11, 0x78, vcc_lo
	v_dual_add_nc_u32 v10, 20, v43 :: v_dual_add_nc_u32 v46, 19, v43
	s_delay_alu instid0(VALU_DEP_1) | instskip(NEXT) | instid1(VALU_DEP_2)
	v_lshlrev_b64_e64 v[10:11], v10, -1
	v_lshlrev_b64_e64 v[46:47], v46, 1
	s_delay_alu instid0(VALU_DEP_2) | instskip(NEXT) | instid1(VALU_DEP_3)
	v_bfi_b32 v59, v11, 0, 0
	v_bfi_b32 v58, v10, 0, v82
	v_lshrrev_b64 v[10:11], v43, v[82:83]
	s_delay_alu instid0(VALU_DEP_1) | instskip(NEXT) | instid1(VALU_DEP_3)
	v_mov_b64_e32 v[82:83], v[10:11]
	v_cmpx_eq_u64_e64 v[58:59], v[46:47]
; %bb.4217:                             ;   in Loop: Header=BB2_3533 Depth=2
	v_bfe_u32 v82, v10, 20, 1
	v_mov_b32_e32 v83, v33
	s_delay_alu instid0(VALU_DEP_1) | instskip(NEXT) | instid1(VALU_DEP_1)
	v_add_nc_u64_e32 v[82:83], v[10:11], v[82:83]
	v_add_nc_u64_e32 v[82:83], -1, v[82:83]
; %bb.4218:                             ;   in Loop: Header=BB2_3533 Depth=2
	s_or_b32 exec_lo, exec_lo, s42
	v_add_nc_u32_e32 v11, 0xffffff81, v85
	v_lshrrev_b32_e32 v83, 23, v10
	s_mov_b32 s7, exec_lo
	s_delay_alu instid0(VALU_DEP_2) | instskip(NEXT) | instid1(VALU_DEP_1)
	v_cndmask_b32_e64 v11, v11, 0xffffff82, vcc_lo
	v_add3_u32 v83, v43, v11, v83
	v_and_b32_e32 v11, 0xfffff, v82
                                        ; implicit-def: $vgpr82
	s_delay_alu instid0(VALU_DEP_1) | instskip(SKIP_1) | instid1(VALU_DEP_2)
	v_dual_add_nc_u32 v85, 6, v83 :: v_dual_add_nc_u32 v10, v11, v10
	v_mov_b32_e32 v11, v33
	v_cmpx_ne_u32_e32 0, v85
	s_xor_b32 s7, exec_lo, s7
; %bb.4219:                             ;   in Loop: Header=BB2_3533 Depth=2
	s_delay_alu instid0(VALU_DEP_2) | instskip(SKIP_2) | instid1(VALU_DEP_2)
	v_cmp_lt_u64_e32 vcc_lo, 0xffffff, v[10:11]
	v_add_nc_u32_e32 v82, 7, v83
	v_cndmask_b32_e64 v83, 0, 1, vcc_lo
	v_cndmask_b32_e32 v82, v85, v82, vcc_lo
	s_delay_alu instid0(VALU_DEP_2)
	v_lshrrev_b64 v[10:11], v83, v[10:11]
; %bb.4220:                             ;   in Loop: Header=BB2_3533 Depth=2
	s_and_not1_saveexec_b32 s7, s7
; %bb.4221:                             ;   in Loop: Header=BB2_3533 Depth=2
	s_delay_alu instid0(VALU_DEP_1)
	v_bfe_u32 v82, v10, 23, 1
; %bb.4222:                             ;   in Loop: Header=BB2_3533 Depth=2
	s_or_b32 exec_lo, exec_lo, s7
	s_delay_alu instid0(VALU_DEP_2) | instskip(NEXT) | instid1(VALU_DEP_2)
	v_lshrrev_b64 v[10:11], 20, v[10:11]
	v_cmp_gt_i32_e32 vcc_lo, 16, v82
	v_min_i32_e32 v83, 15, v82
	v_cmp_eq_u32_e64 s7, 0, v82
	s_delay_alu instid0(VALU_DEP_4) | instskip(NEXT) | instid1(VALU_DEP_3)
	v_cndmask_b32_e32 v11, 0, v11, vcc_lo
	v_dual_cndmask_b32 v10, 7, v10 :: v_dual_lshlrev_b32 v83, 3, v83
	s_delay_alu instid0(VALU_DEP_1) | instskip(NEXT) | instid1(VALU_DEP_2)
	v_and_b32_e32 v83, 0xf8, v83
	v_cmp_eq_u64_e32 vcc_lo, 0, v[10:11]
	s_delay_alu instid0(VALU_DEP_2)
	v_and_or_b32 v10, v10, 7, v83
	s_and_b32 s7, s7, vcc_lo
	s_delay_alu instid0(VALU_DEP_1) | instid1(SALU_CYCLE_1)
	v_cndmask_b32_e64 v10, v10, 0, s7
	s_delay_alu instid0(VALU_DEP_1)
	v_or_b32_e32 v43, v10, v84
.LBB2_4223:                             ;   in Loop: Header=BB2_3533 Depth=2
	s_or_b32 exec_lo, exec_lo, s41
                                        ; implicit-def: $vgpr84
.LBB2_4224:                             ;   in Loop: Header=BB2_3533 Depth=2
	s_and_not1_saveexec_b32 s7, s40
; %bb.4225:                             ;   in Loop: Header=BB2_3533 Depth=2
	v_or_b32_e32 v43, 0x7e, v84
; %bb.4226:                             ;   in Loop: Header=BB2_3533 Depth=2
	s_or_b32 exec_lo, exec_lo, s7
                                        ; implicit-def: $vgpr11
.LBB2_4227:                             ;   in Loop: Header=BB2_3533 Depth=2
	s_and_not1_saveexec_b32 s7, s10
; %bb.4228:                             ;   in Loop: Header=BB2_3533 Depth=2
	v_or_b32_e32 v43, 0x7f, v11
; %bb.4229:                             ;   in Loop: Header=BB2_3533 Depth=2
	s_or_b32 exec_lo, exec_lo, s7
	v_dual_mov_b32 v11, 0 :: v_dual_lshrrev_b32 v82, 16, v32
	s_mov_b32 s7, exec_lo
	s_delay_alu instid0(VALU_DEP_1) | instskip(NEXT) | instid1(VALU_DEP_1)
	v_and_b32_e32 v10, 0xff, v82
	v_cmpx_ne_u16_e32 0, v10
	s_cbranch_execz .LBB2_4237
; %bb.4230:                             ;   in Loop: Header=BB2_3533 Depth=2
	v_bfrev_b32_e32 v11, 1
	s_mov_b32 s10, exec_lo
	v_cmpx_ne_u16_e32 0x80, v10
	s_cbranch_execz .LBB2_4236
; %bb.4231:                             ;   in Loop: Header=BB2_3533 Depth=2
	v_bfe_u32 v84, v32, 16, 7
	v_mov_b32_e32 v11, 0x7f800001
	s_mov_b32 s40, exec_lo
	s_delay_alu instid0(VALU_DEP_2)
	v_cmpx_ne_u32_e32 0x7f, v84
	s_cbranch_execz .LBB2_4235
; %bb.4232:                             ;   in Loop: Header=BB2_3533 Depth=2
	v_dual_mov_b32 v11, v33 :: v_dual_bitop2_b32 v10, 7, v82 bitop3:0x40
	v_lshrrev_b32_e32 v83, 3, v84
	s_mov_b32 s41, exec_lo
	v_cmpx_gt_u32_e32 8, v84
; %bb.4233:                             ;   in Loop: Header=BB2_3533 Depth=2
	s_delay_alu instid0(VALU_DEP_3) | instskip(NEXT) | instid1(VALU_DEP_1)
	v_clz_i32_u32_e32 v83, v10
	v_min_u32_e32 v83, 32, v83
	s_delay_alu instid0(VALU_DEP_1) | instskip(NEXT) | instid1(VALU_DEP_1)
	v_subrev_nc_u32_e32 v84, 28, v83
	v_lshlrev_b64_e32 v[10:11], v84, v[10:11]
	s_delay_alu instid0(VALU_DEP_1)
	v_dual_sub_nc_u32 v83, 29, v83 :: v_dual_bitop2_b32 v10, 7, v10 bitop3:0x40
; %bb.4234:                             ;   in Loop: Header=BB2_3533 Depth=2
	s_or_b32 exec_lo, exec_lo, s41
	v_lshlrev_b32_e32 v11, 24, v82
	s_delay_alu instid0(VALU_DEP_2) | instskip(NEXT) | instid1(VALU_DEP_3)
	v_lshlrev_b32_e32 v10, 20, v10
	v_lshl_add_u32 v82, v83, 23, 0x3c000000
	s_delay_alu instid0(VALU_DEP_3) | instskip(NEXT) | instid1(VALU_DEP_1)
	v_and_b32_e32 v11, 0x80000000, v11
	v_or3_b32 v11, v10, v11, v82
.LBB2_4235:                             ;   in Loop: Header=BB2_3533 Depth=2
	s_or_b32 exec_lo, exec_lo, s40
.LBB2_4236:                             ;   in Loop: Header=BB2_3533 Depth=2
	s_delay_alu instid0(SALU_CYCLE_1)
	s_or_b32 exec_lo, exec_lo, s10
.LBB2_4237:                             ;   in Loop: Header=BB2_3533 Depth=2
	s_delay_alu instid0(SALU_CYCLE_1) | instskip(SKIP_3) | instid1(VALU_DEP_1)
	s_or_b32 exec_lo, exec_lo, s7
	v_lshrrev_b32_e32 v10, 16, v12
	s_mov_b32 s10, 0
	s_mov_b32 s7, exec_lo
	v_and_b32_e32 v83, 0xff, v10
	s_delay_alu instid0(VALU_DEP_1)
	v_cmpx_lt_i16_e32 0x7f, v83
	s_xor_b32 s7, exec_lo, s7
	s_cbranch_execnz .LBB2_4240
; %bb.4238:                             ;   in Loop: Header=BB2_3533 Depth=2
	s_or_saveexec_b32 s7, s7
	v_bfrev_b32_e32 v82, 1
	s_xor_b32 exec_lo, exec_lo, s7
	s_cbranch_execnz .LBB2_4243
.LBB2_4239:                             ;   in Loop: Header=BB2_3533 Depth=2
	s_or_b32 exec_lo, exec_lo, s7
	s_and_saveexec_b32 s7, s10
	s_cbranch_execnz .LBB2_4244
	s_branch .LBB2_4247
.LBB2_4240:                             ;   in Loop: Header=BB2_3533 Depth=2
	s_mov_b32 s10, -1
	s_mov_b32 s40, exec_lo
	v_cmpx_eq_u16_e32 0x80, v83
; %bb.4241:                             ;   in Loop: Header=BB2_3533 Depth=2
	s_xor_b32 s10, exec_lo, -1
; %bb.4242:                             ;   in Loop: Header=BB2_3533 Depth=2
	s_or_b32 exec_lo, exec_lo, s40
	s_delay_alu instid0(SALU_CYCLE_1)
	s_and_b32 s10, s10, exec_lo
                                        ; implicit-def: $vgpr83
	s_or_saveexec_b32 s7, s7
	v_bfrev_b32_e32 v82, 1
	s_xor_b32 exec_lo, exec_lo, s7
	s_cbranch_execz .LBB2_4239
.LBB2_4243:                             ;   in Loop: Header=BB2_3533 Depth=2
	v_cmp_ne_u16_e32 vcc_lo, 0, v83
	v_mov_b32_e32 v82, 0
	s_and_not1_b32 s10, s10, exec_lo
	s_and_b32 s40, vcc_lo, exec_lo
	s_delay_alu instid0(SALU_CYCLE_1)
	s_or_b32 s10, s10, s40
	s_or_b32 exec_lo, exec_lo, s7
	s_and_saveexec_b32 s7, s10
	s_cbranch_execz .LBB2_4247
.LBB2_4244:                             ;   in Loop: Header=BB2_3533 Depth=2
	v_and_b32_e32 v83, 0x7f, v10
	v_mov_b32_e32 v82, 0x7f800001
	s_mov_b32 s10, exec_lo
	s_delay_alu instid0(VALU_DEP_2)
	v_cmpx_ne_u32_e32 0x7f, v83
	s_cbranch_execz .LBB2_4246
; %bb.4245:                             ;   in Loop: Header=BB2_3533 Depth=2
	v_and_b32_e32 v82, 7, v10
	v_cmp_gt_u32_e32 vcc_lo, 8, v83
	s_delay_alu instid0(VALU_DEP_2) | instskip(NEXT) | instid1(VALU_DEP_1)
	v_clz_i32_u32_e32 v84, v82
	v_min_u32_e32 v46, 32, v84
	s_delay_alu instid0(VALU_DEP_1) | instskip(NEXT) | instid1(VALU_DEP_1)
	v_subrev_nc_u32_e32 v84, 28, v46
	v_lshlrev_b64_e32 v[84:85], v84, v[10:11]
	v_dual_lshrrev_b32 v85, 3, v83 :: v_dual_sub_nc_u32 v46, 29, v46
	s_delay_alu instid0(VALU_DEP_2) | instskip(NEXT) | instid1(VALU_DEP_1)
	v_dual_lshlrev_b32 v10, 24, v10 :: v_dual_bitop2_b32 v83, 7, v84 bitop3:0x40
	v_dual_cndmask_b32 v84, v85, v46, vcc_lo :: v_dual_cndmask_b32 v82, v82, v83, vcc_lo
	s_delay_alu instid0(VALU_DEP_2) | instskip(NEXT) | instid1(VALU_DEP_2)
	v_and_b32_e32 v10, 0x80000000, v10
	v_lshl_add_u32 v83, v84, 23, 0x3c000000
	s_delay_alu instid0(VALU_DEP_3) | instskip(NEXT) | instid1(VALU_DEP_1)
	v_lshlrev_b32_e32 v82, 20, v82
	v_or3_b32 v82, v82, v10, v83
.LBB2_4246:                             ;   in Loop: Header=BB2_3533 Depth=2
	s_or_b32 exec_lo, exec_lo, s10
.LBB2_4247:                             ;   in Loop: Header=BB2_3533 Depth=2
	s_delay_alu instid0(SALU_CYCLE_1) | instskip(NEXT) | instid1(VALU_DEP_1)
	s_or_b32 exec_lo, exec_lo, s7
	v_dual_add_f32 v10, v11, v82 :: v_dual_mov_b32 v83, v33
                                        ; implicit-def: $vgpr46
	s_mov_b32 s7, exec_lo
	s_delay_alu instid0(VALU_DEP_1) | instskip(SKIP_1) | instid1(VALU_DEP_2)
	v_and_b32_e32 v82, 0x7f800000, v10
	v_lshrrev_b32_e32 v11, 24, v10
	v_cmpx_ne_u64_e32 0x7f800000, v[82:83]
	s_xor_b32 s10, exec_lo, s7
	s_cbranch_execz .LBB2_4261
; %bb.4248:                             ;   in Loop: Header=BB2_3533 Depth=2
	v_and_b32_e32 v82, 0x7fffffff, v10
	v_mov_b32_e32 v83, v33
	v_and_b32_e32 v84, 0x80, v11
                                        ; implicit-def: $vgpr46
	s_mov_b32 s7, exec_lo
	s_delay_alu instid0(VALU_DEP_2)
	v_cmpx_gt_u64_e32 0x43e00001, v[82:83]
	s_xor_b32 s40, exec_lo, s7
	s_cbranch_execz .LBB2_4258
; %bb.4249:                             ;   in Loop: Header=BB2_3533 Depth=2
	v_mov_b32_e32 v46, 0
	s_mov_b32 s41, exec_lo
	v_cmpx_ne_u32_e32 0, v10
	s_cbranch_execz .LBB2_4257
; %bb.4250:                             ;   in Loop: Header=BB2_3533 Depth=2
	v_bfe_u32 v85, v10, 23, 8
	v_and_b32_e32 v82, 0x7fffff, v10
	s_mov_b32 s42, exec_lo
	s_delay_alu instid0(VALU_DEP_2) | instskip(NEXT) | instid1(VALU_DEP_2)
	v_cmp_gt_u32_e32 vcc_lo, 0x7a, v85
	v_or_b32_e32 v83, 0x800000, v82
	v_sub_nc_u32_e32 v11, 0x79, v85
	s_delay_alu instid0(VALU_DEP_1) | instskip(SKIP_1) | instid1(VALU_DEP_2)
	v_cndmask_b32_e32 v11, 0, v11, vcc_lo
	v_cmp_eq_u32_e32 vcc_lo, 0, v85
	v_cndmask_b32_e64 v46, v11, 0x78, vcc_lo
	v_dual_cndmask_b32 v82, v83, v82 :: v_dual_mov_b32 v83, v33
	s_delay_alu instid0(VALU_DEP_2) | instskip(NEXT) | instid1(VALU_DEP_1)
	v_dual_add_nc_u32 v47, 19, v46 :: v_dual_add_nc_u32 v10, 20, v46
	v_lshlrev_b64_e64 v[58:59], v47, 1
	s_delay_alu instid0(VALU_DEP_2) | instskip(NEXT) | instid1(VALU_DEP_1)
	v_lshlrev_b64_e64 v[10:11], v10, -1
	v_bfi_b32 v61, v11, 0, 0
	s_delay_alu instid0(VALU_DEP_2) | instskip(SKIP_1) | instid1(VALU_DEP_1)
	v_bfi_b32 v60, v10, 0, v82
	v_lshrrev_b64 v[10:11], v46, v[82:83]
	v_mov_b64_e32 v[82:83], v[10:11]
	s_delay_alu instid0(VALU_DEP_3)
	v_cmpx_eq_u64_e64 v[60:61], v[58:59]
; %bb.4251:                             ;   in Loop: Header=BB2_3533 Depth=2
	v_bfe_u32 v82, v10, 20, 1
	v_mov_b32_e32 v83, v33
	s_delay_alu instid0(VALU_DEP_1) | instskip(NEXT) | instid1(VALU_DEP_1)
	v_add_nc_u64_e32 v[82:83], v[10:11], v[82:83]
	v_add_nc_u64_e32 v[82:83], -1, v[82:83]
; %bb.4252:                             ;   in Loop: Header=BB2_3533 Depth=2
	s_or_b32 exec_lo, exec_lo, s42
	v_add_nc_u32_e32 v11, 0xffffff81, v85
	v_lshrrev_b32_e32 v83, 23, v10
	s_mov_b32 s7, exec_lo
	s_delay_alu instid0(VALU_DEP_2) | instskip(NEXT) | instid1(VALU_DEP_1)
	v_cndmask_b32_e64 v11, v11, 0xffffff82, vcc_lo
	v_add3_u32 v83, v46, v11, v83
	v_and_b32_e32 v11, 0xfffff, v82
                                        ; implicit-def: $vgpr82
	s_delay_alu instid0(VALU_DEP_1) | instskip(SKIP_1) | instid1(VALU_DEP_2)
	v_dual_add_nc_u32 v85, 6, v83 :: v_dual_add_nc_u32 v10, v11, v10
	v_mov_b32_e32 v11, v33
	v_cmpx_ne_u32_e32 0, v85
	s_xor_b32 s7, exec_lo, s7
; %bb.4253:                             ;   in Loop: Header=BB2_3533 Depth=2
	s_delay_alu instid0(VALU_DEP_2) | instskip(SKIP_2) | instid1(VALU_DEP_2)
	v_cmp_lt_u64_e32 vcc_lo, 0xffffff, v[10:11]
	v_add_nc_u32_e32 v82, 7, v83
	v_cndmask_b32_e64 v83, 0, 1, vcc_lo
	v_cndmask_b32_e32 v82, v85, v82, vcc_lo
	s_delay_alu instid0(VALU_DEP_2)
	v_lshrrev_b64 v[10:11], v83, v[10:11]
; %bb.4254:                             ;   in Loop: Header=BB2_3533 Depth=2
	s_and_not1_saveexec_b32 s7, s7
; %bb.4255:                             ;   in Loop: Header=BB2_3533 Depth=2
	s_delay_alu instid0(VALU_DEP_1)
	v_bfe_u32 v82, v10, 23, 1
; %bb.4256:                             ;   in Loop: Header=BB2_3533 Depth=2
	s_or_b32 exec_lo, exec_lo, s7
	s_delay_alu instid0(VALU_DEP_2) | instskip(NEXT) | instid1(VALU_DEP_2)
	v_lshrrev_b64 v[10:11], 20, v[10:11]
	v_cmp_gt_i32_e32 vcc_lo, 16, v82
	v_min_i32_e32 v83, 15, v82
	v_cmp_eq_u32_e64 s7, 0, v82
	s_delay_alu instid0(VALU_DEP_4) | instskip(NEXT) | instid1(VALU_DEP_3)
	v_cndmask_b32_e32 v11, 0, v11, vcc_lo
	v_dual_cndmask_b32 v10, 7, v10 :: v_dual_lshlrev_b32 v83, 3, v83
	s_delay_alu instid0(VALU_DEP_1) | instskip(NEXT) | instid1(VALU_DEP_2)
	v_and_b32_e32 v83, 0xf8, v83
	v_cmp_eq_u64_e32 vcc_lo, 0, v[10:11]
	s_delay_alu instid0(VALU_DEP_2)
	v_and_or_b32 v10, v10, 7, v83
	s_and_b32 s7, s7, vcc_lo
	s_delay_alu instid0(VALU_DEP_1) | instid1(SALU_CYCLE_1)
	v_cndmask_b32_e64 v10, v10, 0, s7
	s_delay_alu instid0(VALU_DEP_1)
	v_or_b32_e32 v46, v10, v84
.LBB2_4257:                             ;   in Loop: Header=BB2_3533 Depth=2
	s_or_b32 exec_lo, exec_lo, s41
                                        ; implicit-def: $vgpr84
.LBB2_4258:                             ;   in Loop: Header=BB2_3533 Depth=2
	s_and_not1_saveexec_b32 s7, s40
; %bb.4259:                             ;   in Loop: Header=BB2_3533 Depth=2
	v_or_b32_e32 v46, 0x7e, v84
; %bb.4260:                             ;   in Loop: Header=BB2_3533 Depth=2
	s_or_b32 exec_lo, exec_lo, s7
                                        ; implicit-def: $vgpr11
.LBB2_4261:                             ;   in Loop: Header=BB2_3533 Depth=2
	s_and_not1_saveexec_b32 s7, s10
; %bb.4262:                             ;   in Loop: Header=BB2_3533 Depth=2
	v_or_b32_e32 v46, 0x7f, v11
; %bb.4263:                             ;   in Loop: Header=BB2_3533 Depth=2
	s_or_b32 exec_lo, exec_lo, s7
	v_mov_b32_e32 v11, 0
	s_mov_b32 s7, exec_lo
	v_cmpx_lt_u32_e32 0xffffff, v32
	s_cbranch_execz .LBB2_4271
; %bb.4264:                             ;   in Loop: Header=BB2_3533 Depth=2
	v_lshrrev_b32_e32 v10, 24, v32
	v_bfrev_b32_e32 v11, 1
	s_mov_b32 s10, exec_lo
	s_delay_alu instid0(VALU_DEP_2)
	v_cmpx_ne_u32_e32 0x80, v10
	s_cbranch_execz .LBB2_4270
; %bb.4265:                             ;   in Loop: Header=BB2_3533 Depth=2
	v_bfe_u32 v82, v32, 24, 7
	v_mov_b32_e32 v11, 0x7f800001
	s_mov_b32 s40, exec_lo
	s_delay_alu instid0(VALU_DEP_2)
	v_cmpx_ne_u32_e32 0x7f, v82
	s_cbranch_execz .LBB2_4269
; %bb.4266:                             ;   in Loop: Header=BB2_3533 Depth=2
	v_and_b32_e32 v32, 7, v10
	v_lshrrev_b32_e32 v11, 3, v82
	s_mov_b32 s41, exec_lo
	v_cmpx_gt_u32_e32 8, v82
; %bb.4267:                             ;   in Loop: Header=BB2_3533 Depth=2
	s_delay_alu instid0(VALU_DEP_3) | instskip(NEXT) | instid1(VALU_DEP_1)
	v_clz_i32_u32_e32 v11, v32
	v_min_u32_e32 v11, 32, v11
	s_delay_alu instid0(VALU_DEP_1) | instskip(NEXT) | instid1(VALU_DEP_1)
	v_subrev_nc_u32_e32 v82, 28, v11
	v_lshlrev_b64_e32 v[82:83], v82, v[32:33]
	s_delay_alu instid0(VALU_DEP_1)
	v_dual_sub_nc_u32 v11, 29, v11 :: v_dual_bitop2_b32 v32, 7, v82 bitop3:0x40
; %bb.4268:                             ;   in Loop: Header=BB2_3533 Depth=2
	s_or_b32 exec_lo, exec_lo, s41
	s_delay_alu instid0(VALU_DEP_1) | instskip(NEXT) | instid1(VALU_DEP_2)
	v_dual_lshlrev_b32 v10, 24, v10 :: v_dual_lshlrev_b32 v32, 20, v32
	v_lshl_add_u32 v11, v11, 23, 0x3c000000
	s_delay_alu instid0(VALU_DEP_2) | instskip(NEXT) | instid1(VALU_DEP_1)
	v_and_b32_e32 v10, 0x80000000, v10
	v_or3_b32 v11, v32, v10, v11
.LBB2_4269:                             ;   in Loop: Header=BB2_3533 Depth=2
	s_or_b32 exec_lo, exec_lo, s40
.LBB2_4270:                             ;   in Loop: Header=BB2_3533 Depth=2
	s_delay_alu instid0(SALU_CYCLE_1)
	s_or_b32 exec_lo, exec_lo, s10
.LBB2_4271:                             ;   in Loop: Header=BB2_3533 Depth=2
	s_delay_alu instid0(SALU_CYCLE_1) | instskip(SKIP_3) | instid1(VALU_DEP_3)
	s_or_b32 exec_lo, exec_lo, s7
	v_lshrrev_b32_e32 v10, 24, v12
	v_bfe_u32 v32, v12, 24, 7
	v_cmp_gt_u32_e64 s10, 0x1000000, v12
	v_cmp_eq_u32_e32 vcc_lo, 0x80, v10
	s_delay_alu instid0(VALU_DEP_3) | instskip(SKIP_2) | instid1(VALU_DEP_1)
	v_cmp_eq_u32_e64 s7, 0x7f, v32
	v_cndmask_b32_e32 v82, 0x7f800001, v99, vcc_lo
	s_or_b32 s7, vcc_lo, s7
	v_cndmask_b32_e64 v82, v82, 0, s10
	s_nor_b32 s10, s10, s7
	s_delay_alu instid0(SALU_CYCLE_1)
	s_and_saveexec_b32 s7, s10
	s_cbranch_execz .LBB2_4273
; %bb.4272:                             ;   in Loop: Header=BB2_3533 Depth=2
	v_and_b32_e32 v84, 7, v10
	v_cmp_gt_u32_e32 vcc_lo, 8, v32
	s_delay_alu instid0(VALU_DEP_2) | instskip(NEXT) | instid1(VALU_DEP_1)
	v_clz_i32_u32_e32 v82, v84
	v_min_u32_e32 v85, 32, v82
	s_delay_alu instid0(VALU_DEP_1) | instskip(NEXT) | instid1(VALU_DEP_1)
	v_subrev_nc_u32_e32 v82, 28, v85
	v_lshlrev_b64_e32 v[82:83], v82, v[10:11]
	v_dual_lshrrev_b32 v83, 3, v32 :: v_dual_sub_nc_u32 v85, 29, v85
	v_lshlrev_b32_e32 v10, 24, v10
	s_delay_alu instid0(VALU_DEP_2) | instskip(NEXT) | instid1(VALU_DEP_2)
	v_dual_cndmask_b32 v82, v83, v85, vcc_lo :: v_dual_bitop2_b32 v32, 7, v82 bitop3:0x40
	v_and_b32_e32 v10, 0x80000000, v10
	s_delay_alu instid0(VALU_DEP_2) | instskip(NEXT) | instid1(VALU_DEP_3)
	v_cndmask_b32_e32 v32, v84, v32, vcc_lo
	v_lshl_add_u32 v82, v82, 23, 0x3c000000
	s_delay_alu instid0(VALU_DEP_2) | instskip(NEXT) | instid1(VALU_DEP_1)
	v_lshlrev_b32_e32 v32, 20, v32
	v_or3_b32 v82, v32, v10, v82
.LBB2_4273:                             ;   in Loop: Header=BB2_3533 Depth=2
	s_or_b32 exec_lo, exec_lo, s7
	s_delay_alu instid0(VALU_DEP_1) | instskip(SKIP_1) | instid1(VALU_DEP_1)
	v_add_f32_e32 v10, v11, v82
                                        ; implicit-def: $vgpr47
	s_mov_b32 s7, exec_lo
	v_and_b32_e32 v32, 0x7f800000, v10
	v_lshrrev_b32_e32 v11, 24, v10
	s_delay_alu instid0(VALU_DEP_2)
	v_cmpx_ne_u64_e32 0x7f800000, v[32:33]
	s_xor_b32 s10, exec_lo, s7
	s_cbranch_execz .LBB2_4287
; %bb.4274:                             ;   in Loop: Header=BB2_3533 Depth=2
	v_and_b32_e32 v32, 0x7fffffff, v10
	v_and_b32_e32 v84, 0x80, v11
                                        ; implicit-def: $vgpr47
	s_mov_b32 s7, exec_lo
	s_delay_alu instid0(VALU_DEP_2)
	v_cmpx_gt_u64_e32 0x43e00001, v[32:33]
	s_xor_b32 s40, exec_lo, s7
	s_cbranch_execz .LBB2_4284
; %bb.4275:                             ;   in Loop: Header=BB2_3533 Depth=2
	v_mov_b32_e32 v47, 0
	s_mov_b32 s41, exec_lo
	v_cmpx_ne_u32_e32 0, v10
	s_cbranch_execz .LBB2_4283
; %bb.4276:                             ;   in Loop: Header=BB2_3533 Depth=2
	v_bfe_u32 v85, v10, 23, 8
	v_and_b32_e32 v32, 0x7fffff, v10
	s_delay_alu instid0(VALU_DEP_2) | instskip(NEXT) | instid1(VALU_DEP_2)
	v_cmp_gt_u32_e32 vcc_lo, 0x7a, v85
	v_or_b32_e32 v82, 0x800000, v32
	v_sub_nc_u32_e32 v11, 0x79, v85
	s_delay_alu instid0(VALU_DEP_1) | instskip(SKIP_1) | instid1(VALU_DEP_2)
	v_cndmask_b32_e32 v11, 0, v11, vcc_lo
	v_cmp_eq_u32_e32 vcc_lo, 0, v85
	v_cndmask_b32_e64 v47, v11, 0x78, vcc_lo
	s_delay_alu instid0(VALU_DEP_1) | instskip(SKIP_1) | instid1(VALU_DEP_2)
	v_dual_cndmask_b32 v32, v82, v32, vcc_lo :: v_dual_add_nc_u32 v10, 20, v47
	v_add_nc_u32_e32 v83, 19, v47
	v_lshlrev_b64_e64 v[10:11], v10, -1
	s_delay_alu instid0(VALU_DEP_2) | instskip(NEXT) | instid1(VALU_DEP_2)
	v_lshlrev_b64_e64 v[82:83], v83, 1
	v_bfi_b32 v59, v11, 0, 0
	s_delay_alu instid0(VALU_DEP_3) | instskip(SKIP_1) | instid1(VALU_DEP_2)
	v_bfi_b32 v58, v10, 0, v32
	v_lshrrev_b64 v[10:11], v47, v[32:33]
	v_cmp_eq_u64_e64 s7, v[58:59], v[82:83]
	s_delay_alu instid0(VALU_DEP_2)
	v_mov_b64_e32 v[82:83], v[10:11]
	s_and_saveexec_b32 s42, s7
; %bb.4277:                             ;   in Loop: Header=BB2_3533 Depth=2
	v_bfe_u32 v32, v10, 20, 1
	s_delay_alu instid0(VALU_DEP_1) | instskip(NEXT) | instid1(VALU_DEP_1)
	v_add_nc_u64_e32 v[82:83], v[10:11], v[32:33]
	v_add_nc_u64_e32 v[82:83], -1, v[82:83]
; %bb.4278:                             ;   in Loop: Header=BB2_3533 Depth=2
	s_or_b32 exec_lo, exec_lo, s42
	v_add_nc_u32_e32 v11, 0xffffff81, v85
	v_lshrrev_b32_e32 v32, 23, v10
	s_mov_b32 s7, exec_lo
	s_delay_alu instid0(VALU_DEP_2) | instskip(NEXT) | instid1(VALU_DEP_1)
	v_cndmask_b32_e64 v11, v11, 0xffffff82, vcc_lo
	v_add3_u32 v83, v47, v11, v32
	v_and_b32_e32 v11, 0xfffff, v82
                                        ; implicit-def: $vgpr82
	s_delay_alu instid0(VALU_DEP_1) | instskip(NEXT) | instid1(VALU_DEP_1)
	v_dual_add_nc_u32 v85, 6, v83 :: v_dual_add_nc_u32 v32, v11, v10
                                        ; implicit-def: $vgpr10_vgpr11
	v_cmpx_ne_u32_e32 0, v85
	s_xor_b32 s7, exec_lo, s7
; %bb.4279:                             ;   in Loop: Header=BB2_3533 Depth=2
	s_delay_alu instid0(VALU_DEP_2) | instskip(SKIP_1) | instid1(VALU_DEP_1)
	v_cmp_lt_u64_e32 vcc_lo, 0xffffff, v[32:33]
	v_add_nc_u32_e32 v10, 7, v83
	v_cndmask_b32_e32 v82, v85, v10, vcc_lo
	v_cndmask_b32_e64 v10, 0, 1, vcc_lo
	s_delay_alu instid0(VALU_DEP_1)
	v_lshrrev_b64 v[10:11], v10, v[32:33]
; %bb.4280:                             ;   in Loop: Header=BB2_3533 Depth=2
	s_and_not1_saveexec_b32 s7, s7
; %bb.4281:                             ;   in Loop: Header=BB2_3533 Depth=2
	v_mov_b64_e32 v[10:11], v[32:33]
	v_bfe_u32 v82, v32, 23, 1
; %bb.4282:                             ;   in Loop: Header=BB2_3533 Depth=2
	s_or_b32 exec_lo, exec_lo, s7
	s_delay_alu instid0(VALU_DEP_2) | instskip(NEXT) | instid1(VALU_DEP_2)
	v_lshrrev_b64 v[10:11], 20, v[10:11]
	v_cmp_gt_i32_e32 vcc_lo, 16, v82
	v_min_i32_e32 v32, 15, v82
	v_cmp_eq_u32_e64 s7, 0, v82
	s_delay_alu instid0(VALU_DEP_2) | instskip(SKIP_1) | instid1(VALU_DEP_2)
	v_dual_cndmask_b32 v11, 0, v11 :: v_dual_lshlrev_b32 v32, 3, v32
	v_cndmask_b32_e32 v10, 7, v10, vcc_lo
	v_and_b32_e32 v32, 0xf8, v32
	s_delay_alu instid0(VALU_DEP_2) | instskip(NEXT) | instid1(VALU_DEP_2)
	v_cmp_eq_u64_e32 vcc_lo, 0, v[10:11]
	v_and_or_b32 v10, v10, 7, v32
	s_and_b32 s7, s7, vcc_lo
	s_delay_alu instid0(VALU_DEP_1) | instid1(SALU_CYCLE_1)
	v_cndmask_b32_e64 v10, v10, 0, s7
	s_delay_alu instid0(VALU_DEP_1)
	v_or_b32_e32 v47, v10, v84
.LBB2_4283:                             ;   in Loop: Header=BB2_3533 Depth=2
	s_or_b32 exec_lo, exec_lo, s41
                                        ; implicit-def: $vgpr84
.LBB2_4284:                             ;   in Loop: Header=BB2_3533 Depth=2
	s_and_not1_saveexec_b32 s7, s40
; %bb.4285:                             ;   in Loop: Header=BB2_3533 Depth=2
	v_or_b32_e32 v47, 0x7e, v84
; %bb.4286:                             ;   in Loop: Header=BB2_3533 Depth=2
	s_or_b32 exec_lo, exec_lo, s7
                                        ; implicit-def: $vgpr11
.LBB2_4287:                             ;   in Loop: Header=BB2_3533 Depth=2
	s_and_not1_saveexec_b32 s7, s10
; %bb.4288:                             ;   in Loop: Header=BB2_3533 Depth=2
	v_or_b32_e32 v47, 0x7f, v11
; %bb.4289:                             ;   in Loop: Header=BB2_3533 Depth=2
	s_or_b32 exec_lo, exec_lo, s7
	v_dual_lshlrev_b32 v10, 24, v45 :: v_dual_lshlrev_b32 v11, 16, v42
	v_lshl_or_b32 v119, v119, 8, v117
	v_mov_b32_e32 v82, 0
	s_mov_b32 s7, exec_lo
	s_delay_alu instid0(VALU_DEP_2)
	v_or3_b32 v32, v11, v10, v119
	v_cmpx_ne_u32_e32 0, v117
	s_cbranch_execz .LBB2_4295
; %bb.4290:                             ;   in Loop: Header=BB2_3533 Depth=2
	v_bfrev_b32_e32 v82, 1
	s_mov_b32 s10, exec_lo
	v_cmpx_ne_u32_e32 0x80, v117
	s_cbranch_execz .LBB2_4294
; %bb.4291:                             ;   in Loop: Header=BB2_3533 Depth=2
	v_and_b32_e32 v10, 0x7f, v117
	v_mov_b32_e32 v82, 0x7f800001
	s_mov_b32 s40, exec_lo
	s_delay_alu instid0(VALU_DEP_2)
	v_cmpx_ne_u32_e32 0x7f, v10
	s_cbranch_execz .LBB2_4293
; %bb.4292:                             ;   in Loop: Header=BB2_3533 Depth=2
	v_dual_lshrrev_b32 v82, 3, v10 :: v_dual_bitop2_b32 v11, 7, v117 bitop3:0x40
	v_cmp_gt_u32_e32 vcc_lo, 8, v10
	s_delay_alu instid0(VALU_DEP_2) | instskip(NEXT) | instid1(VALU_DEP_1)
	v_clz_i32_u32_e32 v11, v11
	v_min_u32_e32 v11, 32, v11
	s_delay_alu instid0(VALU_DEP_1) | instskip(SKIP_1) | instid1(VALU_DEP_2)
	v_subrev_nc_u32_e32 v83, 28, v11
	v_sub_nc_u32_e32 v11, 29, v11
	v_cndmask_b32_e32 v10, 0, v83, vcc_lo
	s_delay_alu instid0(VALU_DEP_2) | instskip(NEXT) | instid1(VALU_DEP_2)
	v_cndmask_b32_e32 v82, v82, v11, vcc_lo
	v_lshlrev_b64_e32 v[10:11], v10, v[32:33]
	v_lshlrev_b32_e32 v11, 24, v32
	s_delay_alu instid0(VALU_DEP_3) | instskip(NEXT) | instid1(VALU_DEP_2)
	v_lshl_add_u32 v82, v82, 23, 0x3c000000
	v_and_b32_e32 v11, 0x80000000, v11
	s_delay_alu instid0(VALU_DEP_4) | instskip(NEXT) | instid1(VALU_DEP_1)
	v_lshlrev_b32_e32 v10, 20, v10
	v_and_b32_e32 v10, 0x700000, v10
	s_delay_alu instid0(VALU_DEP_1)
	v_or3_b32 v82, v10, v11, v82
.LBB2_4293:                             ;   in Loop: Header=BB2_3533 Depth=2
	s_or_b32 exec_lo, exec_lo, s40
.LBB2_4294:                             ;   in Loop: Header=BB2_3533 Depth=2
	s_delay_alu instid0(SALU_CYCLE_1)
	s_or_b32 exec_lo, exec_lo, s10
.LBB2_4295:                             ;   in Loop: Header=BB2_3533 Depth=2
	s_delay_alu instid0(SALU_CYCLE_1) | instskip(SKIP_4) | instid1(VALU_DEP_2)
	s_or_b32 exec_lo, exec_lo, s7
	v_and_b32_e32 v11, 0xff, v13
	v_mov_b32_e32 v10, v13
	s_mov_b32 s7, 0
	s_mov_b32 s10, exec_lo
	v_cmpx_lt_i16_e32 0x7f, v11
	s_xor_b32 s10, exec_lo, s10
	s_cbranch_execnz .LBB2_4326
; %bb.4296:                             ;   in Loop: Header=BB2_3533 Depth=2
	s_or_saveexec_b32 s10, s10
	v_bfrev_b32_e32 v83, 1
	s_xor_b32 exec_lo, exec_lo, s10
	s_cbranch_execnz .LBB2_4329
.LBB2_4297:                             ;   in Loop: Header=BB2_3533 Depth=2
	s_or_b32 exec_lo, exec_lo, s10
	v_mov_b32_e32 v11, v33
	s_and_saveexec_b32 s10, s7
	s_cbranch_execz .LBB2_4299
.LBB2_4298:                             ;   in Loop: Header=BB2_3533 Depth=2
	v_and_b32_e32 v83, 7, v13
	v_and_b32_e32 v117, 0x7f, v13
	v_bfe_u32 v84, v13, 3, 4
	s_delay_alu instid0(VALU_DEP_3) | instskip(NEXT) | instid1(VALU_DEP_3)
	v_clz_i32_u32_e32 v83, v83
	v_cmp_gt_u32_e32 vcc_lo, 8, v117
	s_delay_alu instid0(VALU_DEP_2) | instskip(NEXT) | instid1(VALU_DEP_1)
	v_min_u32_e32 v83, 32, v83
	v_subrev_nc_u32_e32 v85, 28, v83
	v_sub_nc_u32_e32 v83, 29, v83
	s_delay_alu instid0(VALU_DEP_1) | instskip(SKIP_1) | instid1(VALU_DEP_2)
	v_dual_cndmask_b32 v83, v84, v83 :: v_dual_cndmask_b32 v84, 0, v85
	v_cmp_ne_u32_e32 vcc_lo, 0x7f, v117
	v_lshlrev_b64_e32 v[84:85], v84, v[10:11]
	v_lshlrev_b32_e32 v11, 24, v10
	s_delay_alu instid0(VALU_DEP_1) | instskip(NEXT) | instid1(VALU_DEP_3)
	v_and_b32_e32 v11, 0x80000000, v11
	v_lshlrev_b32_e32 v84, 20, v84
	v_lshl_add_u32 v83, v83, 23, 0x3c000000
	s_delay_alu instid0(VALU_DEP_2) | instskip(NEXT) | instid1(VALU_DEP_1)
	v_and_b32_e32 v84, 0x700000, v84
	v_or3_b32 v11, v84, v11, v83
	s_delay_alu instid0(VALU_DEP_1)
	v_cndmask_b32_e32 v83, 0x7f800001, v11, vcc_lo
.LBB2_4299:                             ;   in Loop: Header=BB2_3533 Depth=2
	s_or_b32 exec_lo, exec_lo, s10
	s_delay_alu instid0(VALU_DEP_1) | instskip(NEXT) | instid1(VALU_DEP_1)
	v_dual_add_f32 v82, v82, v83 :: v_dual_mov_b32 v85, v33
	v_and_b32_e32 v84, 0x7f800000, v82
	v_lshrrev_b32_e32 v11, 24, v82
	s_delay_alu instid0(VALU_DEP_2) | instskip(SKIP_1) | instid1(SALU_CYCLE_1)
	v_cmp_ne_u64_e32 vcc_lo, 0x7f800000, v[84:85]
                                        ; implicit-def: $vgpr84
	s_and_saveexec_b32 s7, vcc_lo
	s_xor_b32 s10, exec_lo, s7
	s_cbranch_execz .LBB2_4313
; %bb.4300:                             ;   in Loop: Header=BB2_3533 Depth=2
	v_and_b32_e32 v84, 0x7fffffff, v82
	v_mov_b32_e32 v85, v33
	v_and_b32_e32 v11, 0x80, v11
	s_delay_alu instid0(VALU_DEP_2) | instskip(SKIP_1) | instid1(SALU_CYCLE_1)
	v_cmp_gt_u64_e32 vcc_lo, 0x43e00001, v[84:85]
                                        ; implicit-def: $vgpr84
	s_and_saveexec_b32 s7, vcc_lo
	s_xor_b32 s40, exec_lo, s7
	s_cbranch_execz .LBB2_4310
; %bb.4301:                             ;   in Loop: Header=BB2_3533 Depth=2
	v_mov_b32_e32 v84, 0
	s_mov_b32 s41, exec_lo
	v_cmpx_ne_u32_e32 0, v82
	s_cbranch_execz .LBB2_4309
; %bb.4302:                             ;   in Loop: Header=BB2_3533 Depth=2
	v_bfe_u32 v117, v82, 23, 8
	v_and_b32_e32 v84, 0x7fffff, v82
	s_mov_b32 s42, exec_lo
	s_delay_alu instid0(VALU_DEP_2) | instskip(NEXT) | instid1(VALU_DEP_2)
	v_cmp_gt_u32_e32 vcc_lo, 0x7a, v117
	v_or_b32_e32 v85, 0x800000, v84
	v_sub_nc_u32_e32 v83, 0x79, v117
	s_delay_alu instid0(VALU_DEP_1) | instskip(SKIP_1) | instid1(VALU_DEP_2)
	v_cndmask_b32_e32 v83, 0, v83, vcc_lo
	v_cmp_eq_u32_e32 vcc_lo, 0, v117
	v_cndmask_b32_e64 v42, v83, 0x78, vcc_lo
	v_cndmask_b32_e32 v84, v85, v84, vcc_lo
	s_delay_alu instid0(VALU_DEP_2) | instskip(SKIP_1) | instid1(VALU_DEP_2)
	v_dual_mov_b32 v85, v33 :: v_dual_add_nc_u32 v45, 19, v42
	v_add_nc_u32_e32 v82, 20, v42
	v_lshlrev_b64_e64 v[58:59], v45, 1
	s_delay_alu instid0(VALU_DEP_2) | instskip(NEXT) | instid1(VALU_DEP_1)
	v_lshlrev_b64_e64 v[82:83], v82, -1
	v_bfi_b32 v61, v83, 0, 0
	s_delay_alu instid0(VALU_DEP_2) | instskip(SKIP_1) | instid1(VALU_DEP_1)
	v_bfi_b32 v60, v82, 0, v84
	v_lshrrev_b64 v[82:83], v42, v[84:85]
	v_mov_b64_e32 v[84:85], v[82:83]
	s_delay_alu instid0(VALU_DEP_3)
	v_cmpx_eq_u64_e64 v[60:61], v[58:59]
; %bb.4303:                             ;   in Loop: Header=BB2_3533 Depth=2
	v_bfe_u32 v84, v82, 20, 1
	v_mov_b32_e32 v85, v33
	s_delay_alu instid0(VALU_DEP_1) | instskip(NEXT) | instid1(VALU_DEP_1)
	v_add_nc_u64_e32 v[84:85], v[82:83], v[84:85]
	v_add_nc_u64_e32 v[84:85], -1, v[84:85]
; %bb.4304:                             ;   in Loop: Header=BB2_3533 Depth=2
	s_or_b32 exec_lo, exec_lo, s42
	v_add_nc_u32_e32 v83, 0xffffff81, v117
	v_lshrrev_b32_e32 v85, 23, v82
	s_mov_b32 s7, exec_lo
	s_delay_alu instid0(VALU_DEP_2) | instskip(NEXT) | instid1(VALU_DEP_1)
	v_cndmask_b32_e64 v83, v83, 0xffffff82, vcc_lo
	v_add3_u32 v85, v42, v83, v85
	v_and_b32_e32 v83, 0xfffff, v84
                                        ; implicit-def: $vgpr84
	s_delay_alu instid0(VALU_DEP_1) | instskip(SKIP_1) | instid1(VALU_DEP_2)
	v_dual_add_nc_u32 v117, 6, v85 :: v_dual_add_nc_u32 v82, v83, v82
	v_mov_b32_e32 v83, v33
	v_cmpx_ne_u32_e32 0, v117
	s_xor_b32 s7, exec_lo, s7
; %bb.4305:                             ;   in Loop: Header=BB2_3533 Depth=2
	s_delay_alu instid0(VALU_DEP_2) | instskip(SKIP_2) | instid1(VALU_DEP_2)
	v_cmp_lt_u64_e32 vcc_lo, 0xffffff, v[82:83]
	v_add_nc_u32_e32 v84, 7, v85
	v_cndmask_b32_e64 v85, 0, 1, vcc_lo
	v_cndmask_b32_e32 v84, v117, v84, vcc_lo
	s_delay_alu instid0(VALU_DEP_2)
	v_lshrrev_b64 v[82:83], v85, v[82:83]
; %bb.4306:                             ;   in Loop: Header=BB2_3533 Depth=2
	s_and_not1_saveexec_b32 s7, s7
; %bb.4307:                             ;   in Loop: Header=BB2_3533 Depth=2
	s_delay_alu instid0(VALU_DEP_1)
	v_bfe_u32 v84, v82, 23, 1
; %bb.4308:                             ;   in Loop: Header=BB2_3533 Depth=2
	s_or_b32 exec_lo, exec_lo, s7
	s_delay_alu instid0(VALU_DEP_2) | instskip(NEXT) | instid1(VALU_DEP_2)
	v_lshrrev_b64 v[82:83], 20, v[82:83]
	v_cmp_gt_i32_e32 vcc_lo, 16, v84
	v_min_i32_e32 v85, 15, v84
	v_cmp_eq_u32_e64 s7, 0, v84
	s_delay_alu instid0(VALU_DEP_2) | instskip(SKIP_1) | instid1(VALU_DEP_2)
	v_dual_cndmask_b32 v83, 0, v83, vcc_lo :: v_dual_lshlrev_b32 v85, 3, v85
	v_cndmask_b32_e32 v82, 7, v82, vcc_lo
	v_and_b32_e32 v85, 0xf8, v85
	s_delay_alu instid0(VALU_DEP_2) | instskip(NEXT) | instid1(VALU_DEP_2)
	v_cmp_eq_u64_e32 vcc_lo, 0, v[82:83]
	v_and_or_b32 v82, v82, 7, v85
	s_and_b32 s7, s7, vcc_lo
	s_delay_alu instid0(VALU_DEP_1) | instid1(SALU_CYCLE_1)
	v_cndmask_b32_e64 v82, v82, 0, s7
	s_delay_alu instid0(VALU_DEP_1)
	v_or_b32_e32 v84, v82, v11
.LBB2_4309:                             ;   in Loop: Header=BB2_3533 Depth=2
	s_or_b32 exec_lo, exec_lo, s41
                                        ; implicit-def: $vgpr11
.LBB2_4310:                             ;   in Loop: Header=BB2_3533 Depth=2
	s_and_not1_saveexec_b32 s7, s40
; %bb.4311:                             ;   in Loop: Header=BB2_3533 Depth=2
	v_or_b32_e32 v84, 0x7e, v11
; %bb.4312:                             ;   in Loop: Header=BB2_3533 Depth=2
	s_or_b32 exec_lo, exec_lo, s7
                                        ; implicit-def: $vgpr11
.LBB2_4313:                             ;   in Loop: Header=BB2_3533 Depth=2
	s_and_not1_saveexec_b32 s7, s10
; %bb.4314:                             ;   in Loop: Header=BB2_3533 Depth=2
	v_or_b32_e32 v84, 0x7f, v11
; %bb.4315:                             ;   in Loop: Header=BB2_3533 Depth=2
	s_or_b32 exec_lo, exec_lo, s7
	v_lshrrev_b16 v82, 8, v119
	v_mov_b32_e32 v11, 0
	s_mov_b32 s7, exec_lo
	s_delay_alu instid0(VALU_DEP_2)
	v_cmpx_ne_u16_e32 0, v82
	s_cbranch_execz .LBB2_4323
; %bb.4316:                             ;   in Loop: Header=BB2_3533 Depth=2
	v_bfrev_b32_e32 v11, 1
	s_mov_b32 s10, exec_lo
	v_cmpx_ne_u16_e32 0x80, v82
	s_cbranch_execz .LBB2_4322
; %bb.4317:                             ;   in Loop: Header=BB2_3533 Depth=2
	v_and_b32_e32 v82, 0xffff, v82
	v_mov_b32_e32 v11, 0x7f800001
	s_mov_b32 s40, exec_lo
	s_delay_alu instid0(VALU_DEP_2) | instskip(NEXT) | instid1(VALU_DEP_1)
	v_and_b32_e32 v85, 0x7f, v82
	v_cmpx_ne_u32_e32 0x7f, v85
	s_cbranch_execz .LBB2_4321
; %bb.4318:                             ;   in Loop: Header=BB2_3533 Depth=2
	v_dual_mov_b32 v83, v33 :: v_dual_bitop2_b32 v82, 7, v82 bitop3:0x40
	v_lshrrev_b32_e32 v11, 3, v85
	s_mov_b32 s41, exec_lo
	v_cmpx_gt_u32_e32 8, v85
; %bb.4319:                             ;   in Loop: Header=BB2_3533 Depth=2
	s_delay_alu instid0(VALU_DEP_3) | instskip(NEXT) | instid1(VALU_DEP_1)
	v_clz_i32_u32_e32 v11, v82
	v_min_u32_e32 v11, 32, v11
	s_delay_alu instid0(VALU_DEP_1) | instskip(NEXT) | instid1(VALU_DEP_1)
	v_subrev_nc_u32_e32 v85, 28, v11
	v_lshlrev_b64_e32 v[82:83], v85, v[82:83]
	s_delay_alu instid0(VALU_DEP_1)
	v_dual_sub_nc_u32 v11, 29, v11 :: v_dual_bitop2_b32 v82, 7, v82 bitop3:0x40
; %bb.4320:                             ;   in Loop: Header=BB2_3533 Depth=2
	s_or_b32 exec_lo, exec_lo, s41
	s_delay_alu instid0(VALU_DEP_1) | instskip(NEXT) | instid1(VALU_DEP_2)
	v_dual_lshlrev_b32 v83, 16, v119 :: v_dual_lshlrev_b32 v82, 20, v82
	v_lshl_add_u32 v11, v11, 23, 0x3c000000
	s_delay_alu instid0(VALU_DEP_2) | instskip(NEXT) | instid1(VALU_DEP_1)
	v_and_b32_e32 v83, 0x80000000, v83
	v_or3_b32 v11, v82, v83, v11
.LBB2_4321:                             ;   in Loop: Header=BB2_3533 Depth=2
	s_or_b32 exec_lo, exec_lo, s40
.LBB2_4322:                             ;   in Loop: Header=BB2_3533 Depth=2
	s_delay_alu instid0(SALU_CYCLE_1)
	s_or_b32 exec_lo, exec_lo, s10
.LBB2_4323:                             ;   in Loop: Header=BB2_3533 Depth=2
	s_delay_alu instid0(SALU_CYCLE_1) | instskip(SKIP_3) | instid1(VALU_DEP_1)
	s_or_b32 exec_lo, exec_lo, s7
	v_lshrrev_b16 v82, 8, v10
	s_mov_b32 s10, 0
	s_mov_b32 s7, exec_lo
	v_cmpx_lt_i16_e32 0x7f, v82
	s_xor_b32 s7, exec_lo, s7
	s_cbranch_execnz .LBB2_4330
; %bb.4324:                             ;   in Loop: Header=BB2_3533 Depth=2
	s_or_saveexec_b32 s7, s7
	v_bfrev_b32_e32 v83, 1
	s_xor_b32 exec_lo, exec_lo, s7
	s_cbranch_execnz .LBB2_4333
.LBB2_4325:                             ;   in Loop: Header=BB2_3533 Depth=2
	s_or_b32 exec_lo, exec_lo, s7
	s_and_saveexec_b32 s7, s10
	s_cbranch_execnz .LBB2_4334
	s_branch .LBB2_4337
.LBB2_4326:                             ;   in Loop: Header=BB2_3533 Depth=2
	s_mov_b32 s7, -1
	s_mov_b32 s40, exec_lo
	v_cmpx_eq_u16_e32 0x80, v11
; %bb.4327:                             ;   in Loop: Header=BB2_3533 Depth=2
	s_xor_b32 s7, exec_lo, -1
; %bb.4328:                             ;   in Loop: Header=BB2_3533 Depth=2
	s_or_b32 exec_lo, exec_lo, s40
	s_delay_alu instid0(SALU_CYCLE_1)
	s_and_b32 s7, s7, exec_lo
                                        ; implicit-def: $vgpr11
	s_or_saveexec_b32 s10, s10
	v_bfrev_b32_e32 v83, 1
	s_xor_b32 exec_lo, exec_lo, s10
	s_cbranch_execz .LBB2_4297
.LBB2_4329:                             ;   in Loop: Header=BB2_3533 Depth=2
	v_cmp_ne_u16_e32 vcc_lo, 0, v11
	v_mov_b32_e32 v83, 0
	s_and_not1_b32 s7, s7, exec_lo
	s_and_b32 s40, vcc_lo, exec_lo
	s_delay_alu instid0(SALU_CYCLE_1)
	s_or_b32 s7, s7, s40
	s_or_b32 exec_lo, exec_lo, s10
	v_mov_b32_e32 v11, v33
	s_and_saveexec_b32 s10, s7
	s_cbranch_execnz .LBB2_4298
	s_branch .LBB2_4299
.LBB2_4330:                             ;   in Loop: Header=BB2_3533 Depth=2
	s_mov_b32 s10, -1
	s_mov_b32 s40, exec_lo
	v_cmpx_eq_u16_e32 0x80, v82
; %bb.4331:                             ;   in Loop: Header=BB2_3533 Depth=2
	s_xor_b32 s10, exec_lo, -1
; %bb.4332:                             ;   in Loop: Header=BB2_3533 Depth=2
	s_or_b32 exec_lo, exec_lo, s40
	s_delay_alu instid0(SALU_CYCLE_1)
	s_and_b32 s10, s10, exec_lo
	s_or_saveexec_b32 s7, s7
	v_bfrev_b32_e32 v83, 1
	s_xor_b32 exec_lo, exec_lo, s7
	s_cbranch_execz .LBB2_4325
.LBB2_4333:                             ;   in Loop: Header=BB2_3533 Depth=2
	v_cmp_ne_u16_e32 vcc_lo, 0, v82
	v_mov_b32_e32 v83, 0
	s_and_not1_b32 s10, s10, exec_lo
	s_and_b32 s40, vcc_lo, exec_lo
	s_delay_alu instid0(SALU_CYCLE_1)
	s_or_b32 s10, s10, s40
	s_or_b32 exec_lo, exec_lo, s7
	s_and_saveexec_b32 s7, s10
	s_cbranch_execz .LBB2_4337
.LBB2_4334:                             ;   in Loop: Header=BB2_3533 Depth=2
	v_and_b32_e32 v10, 0xffff, v82
	v_mov_b32_e32 v83, 0x7f800001
	s_mov_b32 s10, exec_lo
	s_delay_alu instid0(VALU_DEP_2) | instskip(NEXT) | instid1(VALU_DEP_1)
	v_and_b32_e32 v85, 0x7f, v10
	v_cmpx_ne_u32_e32 0x7f, v85
	s_cbranch_execz .LBB2_4336
; %bb.4335:                             ;   in Loop: Header=BB2_3533 Depth=2
	v_and_b32_e32 v83, 7, v10
	v_cmp_gt_u32_e32 vcc_lo, 8, v85
	s_delay_alu instid0(VALU_DEP_2) | instskip(NEXT) | instid1(VALU_DEP_1)
	v_clz_i32_u32_e32 v117, v83
	v_min_u32_e32 v117, 32, v117
	s_delay_alu instid0(VALU_DEP_1) | instskip(NEXT) | instid1(VALU_DEP_1)
	v_subrev_nc_u32_e32 v119, 28, v117
	v_lshlrev_b64_e32 v[58:59], v119, v[10:11]
	v_lshrrev_b32_e32 v10, 3, v85
	s_delay_alu instid0(VALU_DEP_2) | instskip(NEXT) | instid1(VALU_DEP_1)
	v_dual_sub_nc_u32 v117, 29, v117 :: v_dual_bitop2_b32 v85, 7, v58 bitop3:0x40
	v_dual_lshlrev_b32 v82, 24, v82 :: v_dual_cndmask_b32 v10, v10, v117, vcc_lo
	s_delay_alu instid0(VALU_DEP_2) | instskip(NEXT) | instid1(VALU_DEP_2)
	v_cndmask_b32_e32 v83, v83, v85, vcc_lo
	v_and_b32_e32 v82, 0x80000000, v82
	s_delay_alu instid0(VALU_DEP_3) | instskip(NEXT) | instid1(VALU_DEP_3)
	v_lshl_add_u32 v10, v10, 23, 0x3c000000
	v_lshlrev_b32_e32 v83, 20, v83
	s_delay_alu instid0(VALU_DEP_1)
	v_or3_b32 v83, v83, v82, v10
.LBB2_4336:                             ;   in Loop: Header=BB2_3533 Depth=2
	s_or_b32 exec_lo, exec_lo, s10
.LBB2_4337:                             ;   in Loop: Header=BB2_3533 Depth=2
	s_delay_alu instid0(SALU_CYCLE_1) | instskip(NEXT) | instid1(VALU_DEP_1)
	s_or_b32 exec_lo, exec_lo, s7
	v_dual_add_f32 v10, v11, v83 :: v_dual_mov_b32 v83, v33
                                        ; implicit-def: $vgpr85
	s_mov_b32 s7, exec_lo
	s_delay_alu instid0(VALU_DEP_1) | instskip(SKIP_1) | instid1(VALU_DEP_2)
	v_and_b32_e32 v82, 0x7f800000, v10
	v_lshrrev_b32_e32 v11, 24, v10
	v_cmpx_ne_u64_e32 0x7f800000, v[82:83]
	s_xor_b32 s10, exec_lo, s7
	s_cbranch_execz .LBB2_4351
; %bb.4338:                             ;   in Loop: Header=BB2_3533 Depth=2
	v_and_b32_e32 v82, 0x7fffffff, v10
	v_mov_b32_e32 v83, v33
	v_and_b32_e32 v117, 0x80, v11
                                        ; implicit-def: $vgpr85
	s_mov_b32 s7, exec_lo
	s_delay_alu instid0(VALU_DEP_2)
	v_cmpx_gt_u64_e32 0x43e00001, v[82:83]
	s_xor_b32 s40, exec_lo, s7
	s_cbranch_execz .LBB2_4348
; %bb.4339:                             ;   in Loop: Header=BB2_3533 Depth=2
	v_mov_b32_e32 v85, 0
	s_mov_b32 s41, exec_lo
	v_cmpx_ne_u32_e32 0, v10
	s_cbranch_execz .LBB2_4347
; %bb.4340:                             ;   in Loop: Header=BB2_3533 Depth=2
	v_bfe_u32 v85, v10, 23, 8
	v_and_b32_e32 v82, 0x7fffff, v10
	s_mov_b32 s42, exec_lo
	s_delay_alu instid0(VALU_DEP_2) | instskip(NEXT) | instid1(VALU_DEP_2)
	v_cmp_gt_u32_e32 vcc_lo, 0x7a, v85
	v_or_b32_e32 v83, 0x800000, v82
	v_sub_nc_u32_e32 v11, 0x79, v85
	s_delay_alu instid0(VALU_DEP_1) | instskip(SKIP_1) | instid1(VALU_DEP_4)
	v_cndmask_b32_e32 v11, 0, v11, vcc_lo
	v_cmp_eq_u32_e32 vcc_lo, 0, v85
	v_dual_cndmask_b32 v82, v83, v82 :: v_dual_mov_b32 v83, v33
	s_delay_alu instid0(VALU_DEP_3) | instskip(NEXT) | instid1(VALU_DEP_1)
	v_cndmask_b32_e64 v119, v11, 0x78, vcc_lo
	v_dual_add_nc_u32 v10, 20, v119 :: v_dual_add_nc_u32 v42, 19, v119
	s_delay_alu instid0(VALU_DEP_1) | instskip(NEXT) | instid1(VALU_DEP_2)
	v_lshlrev_b64_e64 v[10:11], v10, -1
	v_lshlrev_b64_e64 v[58:59], v42, 1
	s_delay_alu instid0(VALU_DEP_2) | instskip(NEXT) | instid1(VALU_DEP_3)
	v_bfi_b32 v61, v11, 0, 0
	v_bfi_b32 v60, v10, 0, v82
	v_lshrrev_b64 v[10:11], v119, v[82:83]
	s_delay_alu instid0(VALU_DEP_1) | instskip(NEXT) | instid1(VALU_DEP_3)
	v_mov_b64_e32 v[82:83], v[10:11]
	v_cmpx_eq_u64_e64 v[60:61], v[58:59]
; %bb.4341:                             ;   in Loop: Header=BB2_3533 Depth=2
	v_bfe_u32 v82, v10, 20, 1
	v_mov_b32_e32 v83, v33
	s_delay_alu instid0(VALU_DEP_1) | instskip(NEXT) | instid1(VALU_DEP_1)
	v_add_nc_u64_e32 v[82:83], v[10:11], v[82:83]
	v_add_nc_u64_e32 v[82:83], -1, v[82:83]
; %bb.4342:                             ;   in Loop: Header=BB2_3533 Depth=2
	s_or_b32 exec_lo, exec_lo, s42
	v_add_nc_u32_e32 v11, 0xffffff81, v85
	v_lshrrev_b32_e32 v83, 23, v10
	s_mov_b32 s7, exec_lo
	s_delay_alu instid0(VALU_DEP_2) | instskip(NEXT) | instid1(VALU_DEP_1)
	v_cndmask_b32_e64 v11, v11, 0xffffff82, vcc_lo
	v_add3_u32 v83, v119, v11, v83
	v_and_b32_e32 v11, 0xfffff, v82
                                        ; implicit-def: $vgpr82
	s_delay_alu instid0(VALU_DEP_1) | instskip(SKIP_1) | instid1(VALU_DEP_2)
	v_dual_add_nc_u32 v85, 6, v83 :: v_dual_add_nc_u32 v10, v11, v10
	v_mov_b32_e32 v11, v33
	v_cmpx_ne_u32_e32 0, v85
	s_xor_b32 s7, exec_lo, s7
; %bb.4343:                             ;   in Loop: Header=BB2_3533 Depth=2
	s_delay_alu instid0(VALU_DEP_2) | instskip(SKIP_2) | instid1(VALU_DEP_2)
	v_cmp_lt_u64_e32 vcc_lo, 0xffffff, v[10:11]
	v_add_nc_u32_e32 v82, 7, v83
	v_cndmask_b32_e64 v83, 0, 1, vcc_lo
	v_cndmask_b32_e32 v82, v85, v82, vcc_lo
	s_delay_alu instid0(VALU_DEP_2)
	v_lshrrev_b64 v[10:11], v83, v[10:11]
; %bb.4344:                             ;   in Loop: Header=BB2_3533 Depth=2
	s_and_not1_saveexec_b32 s7, s7
; %bb.4345:                             ;   in Loop: Header=BB2_3533 Depth=2
	s_delay_alu instid0(VALU_DEP_1)
	v_bfe_u32 v82, v10, 23, 1
; %bb.4346:                             ;   in Loop: Header=BB2_3533 Depth=2
	s_or_b32 exec_lo, exec_lo, s7
	s_delay_alu instid0(VALU_DEP_2) | instskip(NEXT) | instid1(VALU_DEP_2)
	v_lshrrev_b64 v[10:11], 20, v[10:11]
	v_cmp_gt_i32_e32 vcc_lo, 16, v82
	v_min_i32_e32 v83, 15, v82
	v_cmp_eq_u32_e64 s7, 0, v82
	s_delay_alu instid0(VALU_DEP_4) | instskip(NEXT) | instid1(VALU_DEP_3)
	v_cndmask_b32_e32 v11, 0, v11, vcc_lo
	v_dual_cndmask_b32 v10, 7, v10 :: v_dual_lshlrev_b32 v83, 3, v83
	s_delay_alu instid0(VALU_DEP_1) | instskip(NEXT) | instid1(VALU_DEP_2)
	v_and_b32_e32 v83, 0xf8, v83
	v_cmp_eq_u64_e32 vcc_lo, 0, v[10:11]
	s_delay_alu instid0(VALU_DEP_2)
	v_and_or_b32 v10, v10, 7, v83
	s_and_b32 s7, s7, vcc_lo
	s_delay_alu instid0(VALU_DEP_1) | instid1(SALU_CYCLE_1)
	v_cndmask_b32_e64 v10, v10, 0, s7
	s_delay_alu instid0(VALU_DEP_1)
	v_or_b32_e32 v85, v10, v117
.LBB2_4347:                             ;   in Loop: Header=BB2_3533 Depth=2
	s_or_b32 exec_lo, exec_lo, s41
                                        ; implicit-def: $vgpr117
.LBB2_4348:                             ;   in Loop: Header=BB2_3533 Depth=2
	s_and_not1_saveexec_b32 s7, s40
; %bb.4349:                             ;   in Loop: Header=BB2_3533 Depth=2
	v_or_b32_e32 v85, 0x7e, v117
; %bb.4350:                             ;   in Loop: Header=BB2_3533 Depth=2
	s_or_b32 exec_lo, exec_lo, s7
                                        ; implicit-def: $vgpr11
.LBB2_4351:                             ;   in Loop: Header=BB2_3533 Depth=2
	s_and_not1_saveexec_b32 s7, s10
; %bb.4352:                             ;   in Loop: Header=BB2_3533 Depth=2
	v_or_b32_e32 v85, 0x7f, v11
; %bb.4353:                             ;   in Loop: Header=BB2_3533 Depth=2
	s_or_b32 exec_lo, exec_lo, s7
	v_dual_mov_b32 v11, 0 :: v_dual_lshrrev_b32 v82, 16, v32
	s_mov_b32 s7, exec_lo
	s_delay_alu instid0(VALU_DEP_1) | instskip(NEXT) | instid1(VALU_DEP_1)
	v_and_b32_e32 v10, 0xff, v82
	v_cmpx_ne_u16_e32 0, v10
	s_cbranch_execz .LBB2_4361
; %bb.4354:                             ;   in Loop: Header=BB2_3533 Depth=2
	v_bfrev_b32_e32 v11, 1
	s_mov_b32 s10, exec_lo
	v_cmpx_ne_u16_e32 0x80, v10
	s_cbranch_execz .LBB2_4360
; %bb.4355:                             ;   in Loop: Header=BB2_3533 Depth=2
	v_bfe_u32 v117, v32, 16, 7
	v_mov_b32_e32 v11, 0x7f800001
	s_mov_b32 s40, exec_lo
	s_delay_alu instid0(VALU_DEP_2)
	v_cmpx_ne_u32_e32 0x7f, v117
	s_cbranch_execz .LBB2_4359
; %bb.4356:                             ;   in Loop: Header=BB2_3533 Depth=2
	v_dual_mov_b32 v11, v33 :: v_dual_bitop2_b32 v10, 7, v82 bitop3:0x40
	v_lshrrev_b32_e32 v83, 3, v117
	s_mov_b32 s41, exec_lo
	v_cmpx_gt_u32_e32 8, v117
; %bb.4357:                             ;   in Loop: Header=BB2_3533 Depth=2
	s_delay_alu instid0(VALU_DEP_3) | instskip(NEXT) | instid1(VALU_DEP_1)
	v_clz_i32_u32_e32 v83, v10
	v_min_u32_e32 v83, 32, v83
	s_delay_alu instid0(VALU_DEP_1) | instskip(NEXT) | instid1(VALU_DEP_1)
	v_subrev_nc_u32_e32 v117, 28, v83
	v_lshlrev_b64_e32 v[10:11], v117, v[10:11]
	s_delay_alu instid0(VALU_DEP_1)
	v_dual_sub_nc_u32 v83, 29, v83 :: v_dual_bitop2_b32 v10, 7, v10 bitop3:0x40
; %bb.4358:                             ;   in Loop: Header=BB2_3533 Depth=2
	s_or_b32 exec_lo, exec_lo, s41
	v_lshlrev_b32_e32 v11, 24, v82
	s_delay_alu instid0(VALU_DEP_2) | instskip(NEXT) | instid1(VALU_DEP_3)
	v_lshlrev_b32_e32 v10, 20, v10
	v_lshl_add_u32 v82, v83, 23, 0x3c000000
	s_delay_alu instid0(VALU_DEP_3) | instskip(NEXT) | instid1(VALU_DEP_1)
	v_and_b32_e32 v11, 0x80000000, v11
	v_or3_b32 v11, v10, v11, v82
.LBB2_4359:                             ;   in Loop: Header=BB2_3533 Depth=2
	s_or_b32 exec_lo, exec_lo, s40
.LBB2_4360:                             ;   in Loop: Header=BB2_3533 Depth=2
	s_delay_alu instid0(SALU_CYCLE_1)
	s_or_b32 exec_lo, exec_lo, s10
.LBB2_4361:                             ;   in Loop: Header=BB2_3533 Depth=2
	s_delay_alu instid0(SALU_CYCLE_1) | instskip(SKIP_3) | instid1(VALU_DEP_1)
	s_or_b32 exec_lo, exec_lo, s7
	v_lshrrev_b32_e32 v10, 16, v13
	s_mov_b32 s10, 0
	s_mov_b32 s7, exec_lo
	v_and_b32_e32 v83, 0xff, v10
	s_delay_alu instid0(VALU_DEP_1)
	v_cmpx_lt_i16_e32 0x7f, v83
	s_xor_b32 s7, exec_lo, s7
	s_cbranch_execnz .LBB2_4364
; %bb.4362:                             ;   in Loop: Header=BB2_3533 Depth=2
	s_or_saveexec_b32 s7, s7
	v_bfrev_b32_e32 v82, 1
	s_xor_b32 exec_lo, exec_lo, s7
	s_cbranch_execnz .LBB2_4367
.LBB2_4363:                             ;   in Loop: Header=BB2_3533 Depth=2
	s_or_b32 exec_lo, exec_lo, s7
	s_and_saveexec_b32 s7, s10
	s_cbranch_execnz .LBB2_4368
	s_branch .LBB2_4371
.LBB2_4364:                             ;   in Loop: Header=BB2_3533 Depth=2
	s_mov_b32 s10, -1
	s_mov_b32 s40, exec_lo
	v_cmpx_eq_u16_e32 0x80, v83
; %bb.4365:                             ;   in Loop: Header=BB2_3533 Depth=2
	s_xor_b32 s10, exec_lo, -1
; %bb.4366:                             ;   in Loop: Header=BB2_3533 Depth=2
	s_or_b32 exec_lo, exec_lo, s40
	s_delay_alu instid0(SALU_CYCLE_1)
	s_and_b32 s10, s10, exec_lo
                                        ; implicit-def: $vgpr83
	s_or_saveexec_b32 s7, s7
	v_bfrev_b32_e32 v82, 1
	s_xor_b32 exec_lo, exec_lo, s7
	s_cbranch_execz .LBB2_4363
.LBB2_4367:                             ;   in Loop: Header=BB2_3533 Depth=2
	v_cmp_ne_u16_e32 vcc_lo, 0, v83
	v_mov_b32_e32 v82, 0
	s_and_not1_b32 s10, s10, exec_lo
	s_and_b32 s40, vcc_lo, exec_lo
	s_delay_alu instid0(SALU_CYCLE_1)
	s_or_b32 s10, s10, s40
	s_or_b32 exec_lo, exec_lo, s7
	s_and_saveexec_b32 s7, s10
	s_cbranch_execz .LBB2_4371
.LBB2_4368:                             ;   in Loop: Header=BB2_3533 Depth=2
	v_and_b32_e32 v83, 0x7f, v10
	v_mov_b32_e32 v82, 0x7f800001
	s_mov_b32 s10, exec_lo
	s_delay_alu instid0(VALU_DEP_2)
	v_cmpx_ne_u32_e32 0x7f, v83
	s_cbranch_execz .LBB2_4370
; %bb.4369:                             ;   in Loop: Header=BB2_3533 Depth=2
	v_and_b32_e32 v82, 7, v10
	v_cmp_gt_u32_e32 vcc_lo, 8, v83
	s_delay_alu instid0(VALU_DEP_2) | instskip(NEXT) | instid1(VALU_DEP_1)
	v_clz_i32_u32_e32 v117, v82
	v_min_u32_e32 v117, 32, v117
	s_delay_alu instid0(VALU_DEP_1) | instskip(NEXT) | instid1(VALU_DEP_1)
	v_subrev_nc_u32_e32 v119, 28, v117
	v_lshlrev_b64_e32 v[58:59], v119, v[10:11]
	v_dual_lshrrev_b32 v119, 3, v83 :: v_dual_sub_nc_u32 v117, 29, v117
	s_delay_alu instid0(VALU_DEP_2) | instskip(NEXT) | instid1(VALU_DEP_2)
	v_and_b32_e32 v83, 7, v58
	v_dual_cndmask_b32 v117, v119, v117 :: v_dual_lshlrev_b32 v10, 24, v10
	s_delay_alu instid0(VALU_DEP_2) | instskip(NEXT) | instid1(VALU_DEP_2)
	v_cndmask_b32_e32 v82, v82, v83, vcc_lo
	v_and_b32_e32 v10, 0x80000000, v10
	s_delay_alu instid0(VALU_DEP_3) | instskip(NEXT) | instid1(VALU_DEP_3)
	v_lshl_add_u32 v83, v117, 23, 0x3c000000
	v_lshlrev_b32_e32 v82, 20, v82
	s_delay_alu instid0(VALU_DEP_1)
	v_or3_b32 v82, v82, v10, v83
.LBB2_4370:                             ;   in Loop: Header=BB2_3533 Depth=2
	s_or_b32 exec_lo, exec_lo, s10
.LBB2_4371:                             ;   in Loop: Header=BB2_3533 Depth=2
	s_delay_alu instid0(SALU_CYCLE_1) | instskip(NEXT) | instid1(VALU_DEP_1)
	s_or_b32 exec_lo, exec_lo, s7
	v_dual_add_f32 v10, v11, v82 :: v_dual_mov_b32 v83, v33
	s_delay_alu instid0(VALU_DEP_1) | instskip(SKIP_1) | instid1(VALU_DEP_2)
	v_and_b32_e32 v82, 0x7f800000, v10
	v_lshrrev_b32_e32 v11, 24, v10
	v_cmp_ne_u64_e32 vcc_lo, 0x7f800000, v[82:83]
                                        ; implicit-def: $vgpr82
	s_and_saveexec_b32 s7, vcc_lo
	s_delay_alu instid0(SALU_CYCLE_1)
	s_xor_b32 s10, exec_lo, s7
	s_cbranch_execz .LBB2_4385
; %bb.4372:                             ;   in Loop: Header=BB2_3533 Depth=2
	v_and_b32_e32 v82, 0x7fffffff, v10
	v_mov_b32_e32 v83, v33
	v_and_b32_e32 v117, 0x80, v11
	s_delay_alu instid0(VALU_DEP_2) | instskip(SKIP_1) | instid1(SALU_CYCLE_1)
	v_cmp_gt_u64_e32 vcc_lo, 0x43e00001, v[82:83]
                                        ; implicit-def: $vgpr82
	s_and_saveexec_b32 s7, vcc_lo
	s_xor_b32 s40, exec_lo, s7
	s_cbranch_execz .LBB2_4382
; %bb.4373:                             ;   in Loop: Header=BB2_3533 Depth=2
	v_mov_b32_e32 v82, 0
	s_mov_b32 s41, exec_lo
	v_cmpx_ne_u32_e32 0, v10
	s_cbranch_execz .LBB2_4381
; %bb.4374:                             ;   in Loop: Header=BB2_3533 Depth=2
	v_bfe_u32 v119, v10, 23, 8
	v_and_b32_e32 v82, 0x7fffff, v10
	s_mov_b32 s42, exec_lo
	s_delay_alu instid0(VALU_DEP_2) | instskip(NEXT) | instid1(VALU_DEP_2)
	v_cmp_gt_u32_e32 vcc_lo, 0x7a, v119
	v_or_b32_e32 v83, 0x800000, v82
	v_sub_nc_u32_e32 v11, 0x79, v119
	s_delay_alu instid0(VALU_DEP_1) | instskip(SKIP_1) | instid1(VALU_DEP_2)
	v_cndmask_b32_e32 v11, 0, v11, vcc_lo
	v_cmp_eq_u32_e32 vcc_lo, 0, v119
	v_cndmask_b32_e64 v42, v11, 0x78, vcc_lo
	v_dual_cndmask_b32 v82, v83, v82 :: v_dual_mov_b32 v83, v33
	s_delay_alu instid0(VALU_DEP_2) | instskip(NEXT) | instid1(VALU_DEP_1)
	v_dual_add_nc_u32 v45, 19, v42 :: v_dual_add_nc_u32 v10, 20, v42
	v_lshlrev_b64_e64 v[58:59], v45, 1
	s_delay_alu instid0(VALU_DEP_2) | instskip(NEXT) | instid1(VALU_DEP_1)
	v_lshlrev_b64_e64 v[10:11], v10, -1
	v_bfi_b32 v61, v11, 0, 0
	s_delay_alu instid0(VALU_DEP_2) | instskip(SKIP_1) | instid1(VALU_DEP_1)
	v_bfi_b32 v60, v10, 0, v82
	v_lshrrev_b64 v[10:11], v42, v[82:83]
	v_mov_b64_e32 v[82:83], v[10:11]
	s_delay_alu instid0(VALU_DEP_3)
	v_cmpx_eq_u64_e64 v[60:61], v[58:59]
; %bb.4375:                             ;   in Loop: Header=BB2_3533 Depth=2
	v_bfe_u32 v82, v10, 20, 1
	v_mov_b32_e32 v83, v33
	s_delay_alu instid0(VALU_DEP_1) | instskip(NEXT) | instid1(VALU_DEP_1)
	v_add_nc_u64_e32 v[82:83], v[10:11], v[82:83]
	v_add_nc_u64_e32 v[82:83], -1, v[82:83]
; %bb.4376:                             ;   in Loop: Header=BB2_3533 Depth=2
	s_or_b32 exec_lo, exec_lo, s42
	v_add_nc_u32_e32 v11, 0xffffff81, v119
	v_lshrrev_b32_e32 v83, 23, v10
	s_mov_b32 s7, exec_lo
	s_delay_alu instid0(VALU_DEP_2) | instskip(NEXT) | instid1(VALU_DEP_1)
	v_cndmask_b32_e64 v11, v11, 0xffffff82, vcc_lo
	v_add3_u32 v83, v42, v11, v83
	v_and_b32_e32 v11, 0xfffff, v82
                                        ; implicit-def: $vgpr82
	s_delay_alu instid0(VALU_DEP_1) | instskip(SKIP_1) | instid1(VALU_DEP_2)
	v_dual_add_nc_u32 v119, 6, v83 :: v_dual_add_nc_u32 v10, v11, v10
	v_mov_b32_e32 v11, v33
	v_cmpx_ne_u32_e32 0, v119
	s_xor_b32 s7, exec_lo, s7
; %bb.4377:                             ;   in Loop: Header=BB2_3533 Depth=2
	s_delay_alu instid0(VALU_DEP_2) | instskip(SKIP_2) | instid1(VALU_DEP_2)
	v_cmp_lt_u64_e32 vcc_lo, 0xffffff, v[10:11]
	v_add_nc_u32_e32 v82, 7, v83
	v_cndmask_b32_e64 v83, 0, 1, vcc_lo
	v_cndmask_b32_e32 v82, v119, v82, vcc_lo
	s_delay_alu instid0(VALU_DEP_2)
	v_lshrrev_b64 v[10:11], v83, v[10:11]
; %bb.4378:                             ;   in Loop: Header=BB2_3533 Depth=2
	s_and_not1_saveexec_b32 s7, s7
; %bb.4379:                             ;   in Loop: Header=BB2_3533 Depth=2
	s_delay_alu instid0(VALU_DEP_1)
	v_bfe_u32 v82, v10, 23, 1
; %bb.4380:                             ;   in Loop: Header=BB2_3533 Depth=2
	s_or_b32 exec_lo, exec_lo, s7
	s_delay_alu instid0(VALU_DEP_2) | instskip(NEXT) | instid1(VALU_DEP_2)
	v_lshrrev_b64 v[10:11], 20, v[10:11]
	v_cmp_gt_i32_e32 vcc_lo, 16, v82
	v_min_i32_e32 v83, 15, v82
	v_cmp_eq_u32_e64 s7, 0, v82
	s_delay_alu instid0(VALU_DEP_4) | instskip(NEXT) | instid1(VALU_DEP_3)
	v_cndmask_b32_e32 v11, 0, v11, vcc_lo
	v_dual_cndmask_b32 v10, 7, v10 :: v_dual_lshlrev_b32 v83, 3, v83
	s_delay_alu instid0(VALU_DEP_1) | instskip(NEXT) | instid1(VALU_DEP_2)
	v_and_b32_e32 v83, 0xf8, v83
	v_cmp_eq_u64_e32 vcc_lo, 0, v[10:11]
	s_delay_alu instid0(VALU_DEP_2)
	v_and_or_b32 v10, v10, 7, v83
	s_and_b32 s7, s7, vcc_lo
	s_delay_alu instid0(VALU_DEP_1) | instid1(SALU_CYCLE_1)
	v_cndmask_b32_e64 v10, v10, 0, s7
	s_delay_alu instid0(VALU_DEP_1)
	v_or_b32_e32 v82, v10, v117
.LBB2_4381:                             ;   in Loop: Header=BB2_3533 Depth=2
	s_or_b32 exec_lo, exec_lo, s41
                                        ; implicit-def: $vgpr117
.LBB2_4382:                             ;   in Loop: Header=BB2_3533 Depth=2
	s_and_not1_saveexec_b32 s7, s40
; %bb.4383:                             ;   in Loop: Header=BB2_3533 Depth=2
	v_or_b32_e32 v82, 0x7e, v117
; %bb.4384:                             ;   in Loop: Header=BB2_3533 Depth=2
	s_or_b32 exec_lo, exec_lo, s7
                                        ; implicit-def: $vgpr11
.LBB2_4385:                             ;   in Loop: Header=BB2_3533 Depth=2
	s_and_not1_saveexec_b32 s7, s10
; %bb.4386:                             ;   in Loop: Header=BB2_3533 Depth=2
	v_or_b32_e32 v82, 0x7f, v11
; %bb.4387:                             ;   in Loop: Header=BB2_3533 Depth=2
	s_or_b32 exec_lo, exec_lo, s7
	v_mov_b32_e32 v11, 0
	s_mov_b32 s7, exec_lo
	v_cmpx_lt_u32_e32 0xffffff, v32
	s_cbranch_execz .LBB2_4395
; %bb.4388:                             ;   in Loop: Header=BB2_3533 Depth=2
	v_lshrrev_b32_e32 v10, 24, v32
	v_bfrev_b32_e32 v11, 1
	s_mov_b32 s10, exec_lo
	s_delay_alu instid0(VALU_DEP_2)
	v_cmpx_ne_u32_e32 0x80, v10
	s_cbranch_execz .LBB2_4394
; %bb.4389:                             ;   in Loop: Header=BB2_3533 Depth=2
	v_bfe_u32 v83, v32, 24, 7
	v_mov_b32_e32 v11, 0x7f800001
	s_mov_b32 s40, exec_lo
	s_delay_alu instid0(VALU_DEP_2)
	v_cmpx_ne_u32_e32 0x7f, v83
	s_cbranch_execz .LBB2_4393
; %bb.4390:                             ;   in Loop: Header=BB2_3533 Depth=2
	v_dual_lshrrev_b32 v11, 3, v83 :: v_dual_bitop2_b32 v32, 7, v10 bitop3:0x40
	s_mov_b32 s41, exec_lo
	v_cmpx_gt_u32_e32 8, v83
; %bb.4391:                             ;   in Loop: Header=BB2_3533 Depth=2
	s_delay_alu instid0(VALU_DEP_2) | instskip(NEXT) | instid1(VALU_DEP_1)
	v_clz_i32_u32_e32 v11, v32
	v_min_u32_e32 v11, 32, v11
	s_delay_alu instid0(VALU_DEP_1) | instskip(NEXT) | instid1(VALU_DEP_1)
	v_subrev_nc_u32_e32 v83, 28, v11
	v_lshlrev_b64_e32 v[58:59], v83, v[32:33]
	s_delay_alu instid0(VALU_DEP_1)
	v_dual_sub_nc_u32 v11, 29, v11 :: v_dual_bitop2_b32 v32, 7, v58 bitop3:0x40
; %bb.4392:                             ;   in Loop: Header=BB2_3533 Depth=2
	s_or_b32 exec_lo, exec_lo, s41
	s_delay_alu instid0(VALU_DEP_1) | instskip(NEXT) | instid1(VALU_DEP_2)
	v_dual_lshlrev_b32 v10, 24, v10 :: v_dual_lshlrev_b32 v32, 20, v32
	v_lshl_add_u32 v11, v11, 23, 0x3c000000
	s_delay_alu instid0(VALU_DEP_2) | instskip(NEXT) | instid1(VALU_DEP_1)
	v_and_b32_e32 v10, 0x80000000, v10
	v_or3_b32 v11, v32, v10, v11
.LBB2_4393:                             ;   in Loop: Header=BB2_3533 Depth=2
	s_or_b32 exec_lo, exec_lo, s40
.LBB2_4394:                             ;   in Loop: Header=BB2_3533 Depth=2
	s_delay_alu instid0(SALU_CYCLE_1)
	s_or_b32 exec_lo, exec_lo, s10
.LBB2_4395:                             ;   in Loop: Header=BB2_3533 Depth=2
	s_delay_alu instid0(SALU_CYCLE_1) | instskip(SKIP_3) | instid1(VALU_DEP_3)
	s_or_b32 exec_lo, exec_lo, s7
	v_lshrrev_b32_e32 v10, 24, v13
	v_bfe_u32 v32, v13, 24, 7
	v_cmp_gt_u64_e64 s10, s[14:15], v[12:13]
	v_cmp_eq_u32_e64 s7, 0x80, v10
	s_delay_alu instid0(VALU_DEP_3) | instskip(NEXT) | instid1(VALU_DEP_2)
	v_cmp_eq_u32_e32 vcc_lo, 0x7f, v32
	v_cndmask_b32_e64 v83, 0x7f800001, v99, s7
	s_or_b32 s7, s7, vcc_lo
	s_delay_alu instid0(VALU_DEP_1) | instskip(SKIP_1) | instid1(SALU_CYCLE_1)
	v_cndmask_b32_e64 v12, v83, 0, s10
	s_nor_b32 s10, s10, s7
	s_and_saveexec_b32 s7, s10
	s_cbranch_execz .LBB2_4397
; %bb.4396:                             ;   in Loop: Header=BB2_3533 Depth=2
	v_and_b32_e32 v83, 7, v10
	v_cmp_gt_u32_e32 vcc_lo, 8, v32
	s_delay_alu instid0(VALU_DEP_2) | instskip(NEXT) | instid1(VALU_DEP_1)
	v_clz_i32_u32_e32 v12, v83
	v_min_u32_e32 v117, 32, v12
	s_delay_alu instid0(VALU_DEP_1) | instskip(NEXT) | instid1(VALU_DEP_1)
	v_subrev_nc_u32_e32 v12, 28, v117
	v_lshlrev_b64_e32 v[12:13], v12, v[10:11]
	v_dual_lshrrev_b32 v13, 3, v32 :: v_dual_sub_nc_u32 v117, 29, v117
	s_delay_alu instid0(VALU_DEP_2) | instskip(NEXT) | instid1(VALU_DEP_1)
	v_dual_lshlrev_b32 v10, 24, v10 :: v_dual_bitop2_b32 v12, 7, v12 bitop3:0x40
	v_dual_cndmask_b32 v13, v13, v117 :: v_dual_cndmask_b32 v12, v83, v12
	s_delay_alu instid0(VALU_DEP_2) | instskip(NEXT) | instid1(VALU_DEP_2)
	v_and_b32_e32 v10, 0x80000000, v10
	v_lshl_add_u32 v13, v13, 23, 0x3c000000
	s_delay_alu instid0(VALU_DEP_3) | instskip(NEXT) | instid1(VALU_DEP_1)
	v_lshlrev_b32_e32 v12, 20, v12
	v_or3_b32 v12, v12, v10, v13
.LBB2_4397:                             ;   in Loop: Header=BB2_3533 Depth=2
	s_or_b32 exec_lo, exec_lo, s7
	s_delay_alu instid0(VALU_DEP_1) | instskip(SKIP_1) | instid1(VALU_DEP_1)
	v_add_f32_e32 v11, v11, v12
                                        ; implicit-def: $vgpr10
	s_mov_b32 s7, exec_lo
	v_and_b32_e32 v32, 0x7f800000, v11
	v_lshrrev_b32_e32 v12, 24, v11
	s_delay_alu instid0(VALU_DEP_2)
	v_cmpx_ne_u64_e32 0x7f800000, v[32:33]
	s_xor_b32 s10, exec_lo, s7
	s_cbranch_execz .LBB2_4411
; %bb.4398:                             ;   in Loop: Header=BB2_3533 Depth=2
	v_and_b32_e32 v32, 0x7fffffff, v11
	v_and_b32_e32 v83, 0x80, v12
                                        ; implicit-def: $vgpr10
	s_mov_b32 s7, exec_lo
	s_delay_alu instid0(VALU_DEP_2)
	v_cmpx_gt_u64_e32 0x43e00001, v[32:33]
	s_xor_b32 s40, exec_lo, s7
	s_cbranch_execz .LBB2_4408
; %bb.4399:                             ;   in Loop: Header=BB2_3533 Depth=2
	v_mov_b32_e32 v10, 0
	s_mov_b32 s41, exec_lo
	v_cmpx_ne_u32_e32 0, v11
	s_cbranch_execz .LBB2_4407
; %bb.4400:                             ;   in Loop: Header=BB2_3533 Depth=2
	v_bfe_u32 v117, v11, 23, 8
	v_and_b32_e32 v12, 0x7fffff, v11
	s_delay_alu instid0(VALU_DEP_2) | instskip(SKIP_1) | instid1(VALU_DEP_3)
	v_sub_nc_u32_e32 v10, 0x79, v117
	v_cmp_gt_u32_e32 vcc_lo, 0x7a, v117
	v_or_b32_e32 v13, 0x800000, v12
	s_delay_alu instid0(VALU_DEP_3) | instskip(SKIP_1) | instid1(VALU_DEP_2)
	v_cndmask_b32_e32 v10, 0, v10, vcc_lo
	v_cmp_eq_u32_e32 vcc_lo, 0, v117
	v_cndmask_b32_e64 v119, v10, 0x78, vcc_lo
	s_delay_alu instid0(VALU_DEP_1) | instskip(SKIP_1) | instid1(VALU_DEP_2)
	v_dual_cndmask_b32 v32, v13, v12, vcc_lo :: v_dual_add_nc_u32 v10, 20, v119
	v_add_nc_u32_e32 v42, 19, v119
	v_lshlrev_b64_e64 v[10:11], v10, -1
	s_delay_alu instid0(VALU_DEP_2) | instskip(NEXT) | instid1(VALU_DEP_2)
	v_lshlrev_b64_e64 v[12:13], v42, 1
	v_bfi_b32 v59, v11, 0, 0
	s_delay_alu instid0(VALU_DEP_3) | instskip(SKIP_1) | instid1(VALU_DEP_2)
	v_bfi_b32 v58, v10, 0, v32
	v_lshrrev_b64 v[10:11], v119, v[32:33]
	v_cmp_eq_u64_e64 s7, v[58:59], v[12:13]
	s_delay_alu instid0(VALU_DEP_2)
	v_mov_b64_e32 v[12:13], v[10:11]
	s_and_saveexec_b32 s42, s7
; %bb.4401:                             ;   in Loop: Header=BB2_3533 Depth=2
	v_bfe_u32 v32, v10, 20, 1
	s_delay_alu instid0(VALU_DEP_1) | instskip(NEXT) | instid1(VALU_DEP_1)
	v_add_nc_u64_e32 v[12:13], v[10:11], v[32:33]
	v_add_nc_u64_e32 v[12:13], -1, v[12:13]
; %bb.4402:                             ;   in Loop: Header=BB2_3533 Depth=2
	s_or_b32 exec_lo, exec_lo, s42
	v_add_nc_u32_e32 v11, 0xffffff81, v117
	v_lshrrev_b32_e32 v13, 23, v10
	s_mov_b32 s7, exec_lo
	s_delay_alu instid0(VALU_DEP_2) | instskip(NEXT) | instid1(VALU_DEP_1)
	v_cndmask_b32_e64 v11, v11, 0xffffff82, vcc_lo
	v_add3_u32 v13, v119, v11, v13
	v_and_b32_e32 v11, 0xfffff, v12
                                        ; implicit-def: $vgpr12
	s_delay_alu instid0(VALU_DEP_1) | instskip(NEXT) | instid1(VALU_DEP_1)
	v_dual_add_nc_u32 v117, 6, v13 :: v_dual_add_nc_u32 v32, v11, v10
                                        ; implicit-def: $vgpr10_vgpr11
	v_cmpx_ne_u32_e32 0, v117
	s_xor_b32 s7, exec_lo, s7
; %bb.4403:                             ;   in Loop: Header=BB2_3533 Depth=2
	s_delay_alu instid0(VALU_DEP_2) | instskip(SKIP_1) | instid1(VALU_DEP_1)
	v_cmp_lt_u64_e32 vcc_lo, 0xffffff, v[32:33]
	v_add_nc_u32_e32 v10, 7, v13
	v_cndmask_b32_e32 v12, v117, v10, vcc_lo
	v_cndmask_b32_e64 v10, 0, 1, vcc_lo
	s_delay_alu instid0(VALU_DEP_1)
	v_lshrrev_b64 v[10:11], v10, v[32:33]
; %bb.4404:                             ;   in Loop: Header=BB2_3533 Depth=2
	s_and_not1_saveexec_b32 s7, s7
; %bb.4405:                             ;   in Loop: Header=BB2_3533 Depth=2
	v_mov_b64_e32 v[10:11], v[32:33]
	v_bfe_u32 v12, v32, 23, 1
; %bb.4406:                             ;   in Loop: Header=BB2_3533 Depth=2
	s_or_b32 exec_lo, exec_lo, s7
	s_delay_alu instid0(VALU_DEP_2) | instskip(NEXT) | instid1(VALU_DEP_2)
	v_lshrrev_b64 v[10:11], 20, v[10:11]
	v_cmp_gt_i32_e32 vcc_lo, 16, v12
	v_min_i32_e32 v13, 15, v12
	v_cmp_eq_u32_e64 s7, 0, v12
	s_delay_alu instid0(VALU_DEP_2) | instskip(SKIP_1) | instid1(VALU_DEP_2)
	v_dual_cndmask_b32 v11, 0, v11, vcc_lo :: v_dual_lshlrev_b32 v13, 3, v13
	v_cndmask_b32_e32 v10, 7, v10, vcc_lo
	v_and_b32_e32 v13, 0xf8, v13
	s_delay_alu instid0(VALU_DEP_2) | instskip(NEXT) | instid1(VALU_DEP_2)
	v_cmp_eq_u64_e32 vcc_lo, 0, v[10:11]
	v_and_or_b32 v10, v10, 7, v13
	s_and_b32 s7, s7, vcc_lo
	s_delay_alu instid0(VALU_DEP_1) | instid1(SALU_CYCLE_1)
	v_cndmask_b32_e64 v10, v10, 0, s7
	s_delay_alu instid0(VALU_DEP_1)
	v_or_b32_e32 v10, v10, v83
.LBB2_4407:                             ;   in Loop: Header=BB2_3533 Depth=2
	s_or_b32 exec_lo, exec_lo, s41
                                        ; implicit-def: $vgpr83
.LBB2_4408:                             ;   in Loop: Header=BB2_3533 Depth=2
	s_and_not1_saveexec_b32 s7, s40
; %bb.4409:                             ;   in Loop: Header=BB2_3533 Depth=2
	v_or_b32_e32 v10, 0x7e, v83
; %bb.4410:                             ;   in Loop: Header=BB2_3533 Depth=2
	s_or_b32 exec_lo, exec_lo, s7
                                        ; implicit-def: $vgpr12
.LBB2_4411:                             ;   in Loop: Header=BB2_3533 Depth=2
	s_and_not1_saveexec_b32 s7, s10
	s_cbranch_execz .LBB2_3532
; %bb.4412:                             ;   in Loop: Header=BB2_3533 Depth=2
	v_or_b32_e32 v10, 0x7f, v12
	s_branch .LBB2_3532
.LBB2_4413:                             ;   in Loop: Header=BB2_2573 Depth=1
	s_or_b32 exec_lo, exec_lo, s27
.LBB2_4414:                             ;   in Loop: Header=BB2_2573 Depth=1
	s_delay_alu instid0(SALU_CYCLE_1) | instskip(SKIP_3) | instid1(VALU_DEP_1)
	s_or_b32 exec_lo, exec_lo, s26
	v_cmp_lt_i32_e32 vcc_lo, 0, v114
	s_mov_b32 s10, exec_lo
	v_cndmask_b32_e32 v10, 0, v34, vcc_lo
	v_sub_nc_u32_e32 v10, v10, v114
	s_delay_alu instid0(VALU_DEP_1)
	v_lshl_add_u32 v30, v10, 5, v113
.LBB2_4415:                             ;   in Loop: Header=BB2_2573 Depth=1
	s_or_b32 exec_lo, exec_lo, s11
	s_and_saveexec_b32 s26, s10
	s_cbranch_execz .LBB2_5008
.LBB2_4416:                             ;   in Loop: Header=BB2_2573 Depth=1
	s_delay_alu instid0(VALU_DEP_1) | instskip(SKIP_1) | instid1(VALU_DEP_1)
	v_dual_ashrrev_i32 v10, 31, v30 :: v_dual_lshrrev_b32 v11, 8, v112
	s_mov_b32 s27, exec_lo
	v_lshrrev_b32_e32 v10, 27, v10
	s_delay_alu instid0(VALU_DEP_1) | instskip(NEXT) | instid1(VALU_DEP_1)
	v_add_nc_u32_e32 v10, v30, v10
	v_ashrrev_i32_e32 v70, 5, v10
	s_delay_alu instid0(VALU_DEP_1) | instskip(NEXT) | instid1(VALU_DEP_1)
	v_sub_nc_u32_e32 v71, v11, v70
	v_cmpx_lt_i32_e32 0, v71
	s_cbranch_execz .LBB2_4936
; %bb.4417:                             ;   in Loop: Header=BB2_2573 Depth=1
	v_and_b32_e32 v10, 0xffffffe0, v10
	s_trap 2
	ds_load_b64 v[12:13], v0
	v_lshlrev_b32_e32 v11, 8, v70
	v_add_nc_u64_e32 v[66:67], 0xe0, v[66:67]
	v_sub_nc_u32_e32 v10, v30, v10
	s_mov_b32 s28, 0
	s_delay_alu instid0(VALU_DEP_1) | instskip(NEXT) | instid1(VALU_DEP_1)
	v_add3_u32 v68, v101, v10, v11
	v_ashrrev_i32_e32 v69, 31, v68
	s_delay_alu instid0(VALU_DEP_1)
	v_add_nc_u64_e32 v[10:11], v[68:69], v[64:65]
	v_add_nc_u64_e32 v[64:65], v[66:67], v[68:69]
	s_wait_dscnt 0x0
	v_add_nc_u64_e32 v[12:13], v[12:13], v[68:69]
	s_branch .LBB2_4419
.LBB2_4418:                             ;   in Loop: Header=BB2_4419 Depth=2
	s_or_b32 exec_lo, exec_lo, s7
	v_sub_nc_u32_e32 v71, v71, v34
	s_clause 0x7
	flat_store_b8 v[64:65], v82 offset:-224 th:TH_STORE_NT
	flat_store_b8 v[64:65], v114 offset:-192 th:TH_STORE_NT
	;; [unrolled: 1-line block ×7, first 2 shown]
	flat_store_b8 v[64:65], v32 th:TH_STORE_NT
	v_add_nc_u64_e32 v[10:11], v[10:11], v[48:49]
	v_add_nc_u64_e32 v[12:13], v[12:13], v[48:49]
	s_wait_xcnt 0x0
	v_add_nc_u64_e32 v[64:65], v[64:65], v[48:49]
	v_cmp_gt_i32_e32 vcc_lo, 1, v71
	s_or_b32 s28, vcc_lo, s28
	s_delay_alu instid0(SALU_CYCLE_1)
	s_and_not1_b32 exec_lo, exec_lo, s28
	s_cbranch_execz .LBB2_4935
.LBB2_4419:                             ;   Parent Loop BB2_2573 Depth=1
                                        ; =>  This Inner Loop Header: Depth=2
	s_trap 2
	ds_load_b64 v[66:67], v0
	s_mov_b32 s29, 0
	s_wait_dscnt 0x0
	v_and_b32_e32 v32, 0xff, v66
	v_readfirstlane_b32 s10, v66
	v_readfirstlane_b32 s11, v67
	s_delay_alu instid0(VALU_DEP_3)
	v_cmp_eq_u32_e32 vcc_lo, 0, v32
	s_cbranch_vccnz .LBB2_4423
; %bb.4420:                             ;   in Loop: Header=BB2_4419 Depth=2
	v_cmp_eq_u32_e32 vcc_lo, 0x80, v32
	s_brev_b32 s29, 1
	s_cbranch_vccnz .LBB2_4423
; %bb.4421:                             ;   in Loop: Header=BB2_4419 Depth=2
	s_and_b32 s7, s10, 0x7f
	s_mov_b32 s29, 0x7f800001
	s_cmp_eq_u32 s7, 0x7f
	s_cbranch_scc1 .LBB2_4423
; %bb.4422:                             ;   in Loop: Header=BB2_4419 Depth=2
	s_and_b32 s29, s10, 7
	s_lshr_b32 s40, s7, 3
	s_clz_i32_u32 s29, s29
	s_delay_alu instid0(SALU_CYCLE_1) | instskip(NEXT) | instid1(SALU_CYCLE_1)
	s_min_u32 s29, s29, 32
	s_sub_co_i32 s41, s29, 28
	s_sub_co_i32 s29, 29, s29
	s_cmp_lt_u32 s7, 8
	s_cselect_b32 s7, s41, 0
	s_cselect_b32 s29, s29, s40
	s_lshl_b64 s[40:41], s[10:11], s7
	s_lshl_b32 s7, s10, 24
	s_lshl_b32 s10, s40, 20
	s_lshl_b32 s11, s29, 23
	s_and_b32 s10, s10, 0x700000
	s_and_b32 s7, s7, 0x80000000
	s_add_co_i32 s11, s11, 0x3c000000
	s_or_b32 s7, s10, s7
	s_delay_alu instid0(SALU_CYCLE_1)
	s_or_b32 s29, s11, s7
.LBB2_4423:                             ;   in Loop: Header=BB2_4419 Depth=2
	flat_load_u8 v66, v[10:11] th:TH_LOAD_NT
	v_mov_b32_e32 v32, 0
	s_mov_b32 s7, exec_lo
	s_wait_loadcnt_dscnt 0x0
	v_cmpx_ne_u16_e32 0, v66
	s_cbranch_execz .LBB2_4431
; %bb.4424:                             ;   in Loop: Header=BB2_4419 Depth=2
	v_bfrev_b32_e32 v32, 1
	s_mov_b32 s10, exec_lo
	v_cmpx_ne_u16_e32 0x80, v66
	s_cbranch_execz .LBB2_4430
; %bb.4425:                             ;   in Loop: Header=BB2_4419 Depth=2
	v_and_b32_e32 v67, 0xffff, v66
	v_mov_b32_e32 v32, 0x7f800001
	s_mov_b32 s11, exec_lo
	s_delay_alu instid0(VALU_DEP_2) | instskip(NEXT) | instid1(VALU_DEP_1)
	v_and_b32_e32 v68, 0x7f, v67
	v_cmpx_ne_u32_e32 0x7f, v68
	s_cbranch_execz .LBB2_4429
; %bb.4426:                             ;   in Loop: Header=BB2_4419 Depth=2
	v_dual_lshrrev_b32 v67, 3, v68 :: v_dual_bitop2_b32 v32, 7, v67 bitop3:0x40
	s_mov_b32 s40, exec_lo
	v_cmpx_gt_u32_e32 8, v68
; %bb.4427:                             ;   in Loop: Header=BB2_4419 Depth=2
	s_delay_alu instid0(VALU_DEP_2) | instskip(NEXT) | instid1(VALU_DEP_1)
	v_clz_i32_u32_e32 v67, v32
	v_min_u32_e32 v67, 32, v67
	s_delay_alu instid0(VALU_DEP_1) | instskip(NEXT) | instid1(VALU_DEP_1)
	v_subrev_nc_u32_e32 v68, 28, v67
	v_lshlrev_b64_e32 v[68:69], v68, v[32:33]
	s_delay_alu instid0(VALU_DEP_1)
	v_dual_sub_nc_u32 v67, 29, v67 :: v_dual_bitop2_b32 v32, 7, v68 bitop3:0x40
; %bb.4428:                             ;   in Loop: Header=BB2_4419 Depth=2
	s_or_b32 exec_lo, exec_lo, s40
	s_delay_alu instid0(VALU_DEP_1) | instskip(NEXT) | instid1(VALU_DEP_2)
	v_dual_lshlrev_b32 v66, 24, v66 :: v_dual_lshlrev_b32 v32, 20, v32
	v_lshl_add_u32 v67, v67, 23, 0x3c000000
	s_delay_alu instid0(VALU_DEP_2) | instskip(NEXT) | instid1(VALU_DEP_1)
	v_and_b32_e32 v66, 0x80000000, v66
	v_or3_b32 v32, v32, v66, v67
.LBB2_4429:                             ;   in Loop: Header=BB2_4419 Depth=2
	s_or_b32 exec_lo, exec_lo, s11
.LBB2_4430:                             ;   in Loop: Header=BB2_4419 Depth=2
	s_delay_alu instid0(SALU_CYCLE_1)
	s_or_b32 exec_lo, exec_lo, s10
.LBB2_4431:                             ;   in Loop: Header=BB2_4419 Depth=2
	s_delay_alu instid0(SALU_CYCLE_1) | instskip(NEXT) | instid1(VALU_DEP_1)
	s_or_b32 exec_lo, exec_lo, s7
	v_mul_f32_e32 v66, s29, v32
                                        ; implicit-def: $vgpr82
	s_mov_b32 s7, exec_lo
	s_delay_alu instid0(VALU_DEP_1) | instskip(SKIP_1) | instid1(VALU_DEP_2)
	v_and_b32_e32 v32, 0x7f800000, v66
	v_lshrrev_b32_e32 v67, 24, v66
	v_cmpx_ne_u64_e32 0x7f800000, v[32:33]
	s_xor_b32 s10, exec_lo, s7
	s_cbranch_execz .LBB2_4449
; %bb.4432:                             ;   in Loop: Header=BB2_4419 Depth=2
	v_and_b32_e32 v32, 0x7fffffff, v66
	v_and_b32_e32 v80, 0x80, v67
                                        ; implicit-def: $vgpr82
	s_mov_b32 s7, exec_lo
	s_delay_alu instid0(VALU_DEP_2)
	v_cmpx_gt_u64_e32 0x43e00001, v[32:33]
	s_xor_b32 s11, exec_lo, s7
	s_cbranch_execz .LBB2_4446
; %bb.4433:                             ;   in Loop: Header=BB2_4419 Depth=2
	v_mov_b32_e32 v82, 0
	s_mov_b32 s40, exec_lo
	v_cmpx_ne_u32_e32 0, v66
	s_cbranch_execz .LBB2_4445
; %bb.4434:                             ;   in Loop: Header=BB2_4419 Depth=2
	v_bfe_u32 v81, v66, 23, 8
	s_delay_alu instid0(VALU_DEP_1) | instskip(SKIP_1) | instid1(VALU_DEP_2)
	v_sub_nc_u32_e32 v32, 0x79, v81
	v_cmp_gt_u32_e32 vcc_lo, 0x7a, v81
	v_cndmask_b32_e32 v32, 0, v32, vcc_lo
	v_cmp_eq_u32_e32 vcc_lo, 0, v81
	s_delay_alu instid0(VALU_DEP_2) | instskip(SKIP_1) | instid1(VALU_DEP_2)
	v_cndmask_b32_e64 v82, v32, 0x78, vcc_lo
	v_and_b32_e32 v32, 0x7fffff, v66
	v_add_nc_u32_e32 v66, 20, v82
	s_delay_alu instid0(VALU_DEP_2) | instskip(SKIP_1) | instid1(VALU_DEP_3)
	v_or_b32_e32 v68, 0x800000, v32
	v_add_nc_u32_e32 v69, 19, v82
	v_lshlrev_b64_e64 v[66:67], v66, -1
	s_delay_alu instid0(VALU_DEP_3) | instskip(NEXT) | instid1(VALU_DEP_3)
	v_cndmask_b32_e32 v32, v68, v32, vcc_lo
	v_lshlrev_b64_e64 v[68:69], v69, 1
	s_delay_alu instid0(VALU_DEP_3) | instskip(NEXT) | instid1(VALU_DEP_3)
	v_bfi_b32 v85, v67, 0, 0
	v_bfi_b32 v84, v66, 0, v32
	v_lshrrev_b64 v[66:67], v82, v[32:33]
	s_delay_alu instid0(VALU_DEP_2) | instskip(NEXT) | instid1(VALU_DEP_2)
	v_cmp_eq_u64_e64 s7, v[84:85], v[68:69]
	v_mov_b64_e32 v[68:69], v[66:67]
	s_and_saveexec_b32 s41, s7
; %bb.4435:                             ;   in Loop: Header=BB2_4419 Depth=2
	v_bfe_u32 v32, v66, 20, 1
	s_delay_alu instid0(VALU_DEP_1) | instskip(NEXT) | instid1(VALU_DEP_1)
	v_add_nc_u64_e32 v[68:69], v[66:67], v[32:33]
	v_add_nc_u64_e32 v[68:69], -1, v[68:69]
; %bb.4436:                             ;   in Loop: Header=BB2_4419 Depth=2
	s_or_b32 exec_lo, exec_lo, s41
	v_add_nc_u32_e32 v32, 0xffffff81, v81
	v_lshrrev_b32_e32 v67, 23, v66
	s_mov_b32 s7, exec_lo
	s_delay_alu instid0(VALU_DEP_2) | instskip(NEXT) | instid1(VALU_DEP_1)
	v_cndmask_b32_e64 v32, v32, 0xffffff82, vcc_lo
	v_add3_u32 v69, v82, v32, v67
	v_and_b32_e32 v32, 0xfffff, v68
                                        ; implicit-def: $vgpr68
	s_delay_alu instid0(VALU_DEP_1) | instskip(NEXT) | instid1(VALU_DEP_1)
	v_dual_add_nc_u32 v81, 6, v69 :: v_dual_add_nc_u32 v32, v32, v66
                                        ; implicit-def: $vgpr66_vgpr67
	v_cmpx_ne_u32_e32 0, v81
	s_xor_b32 s7, exec_lo, s7
; %bb.4437:                             ;   in Loop: Header=BB2_4419 Depth=2
	s_delay_alu instid0(VALU_DEP_2) | instskip(SKIP_1) | instid1(VALU_DEP_1)
	v_cmp_lt_u64_e32 vcc_lo, 0xffffff, v[32:33]
	v_add_nc_u32_e32 v66, 7, v69
	v_cndmask_b32_e32 v68, v81, v66, vcc_lo
	v_cndmask_b32_e64 v66, 0, 1, vcc_lo
	s_delay_alu instid0(VALU_DEP_1)
	v_lshrrev_b64 v[66:67], v66, v[32:33]
; %bb.4438:                             ;   in Loop: Header=BB2_4419 Depth=2
	s_and_not1_saveexec_b32 s7, s7
; %bb.4439:                             ;   in Loop: Header=BB2_4419 Depth=2
	v_mov_b64_e32 v[66:67], v[32:33]
	v_bfe_u32 v68, v32, 23, 1
; %bb.4440:                             ;   in Loop: Header=BB2_4419 Depth=2
	s_or_b32 exec_lo, exec_lo, s7
	s_delay_alu instid0(VALU_DEP_2) | instskip(NEXT) | instid1(VALU_DEP_2)
	v_lshrrev_b64 v[66:67], 20, v[66:67]
	v_cmp_gt_i32_e32 vcc_lo, 16, v68
	v_cmp_ne_u32_e64 s7, 0, v68
                                        ; implicit-def: $vgpr82
	s_delay_alu instid0(VALU_DEP_3) | instskip(NEXT) | instid1(VALU_DEP_1)
	v_dual_cndmask_b32 v67, 0, v67 :: v_dual_cndmask_b32 v66, 7, v66
	v_cmp_ne_u64_e32 vcc_lo, 0, v[66:67]
	s_or_b32 s7, s7, vcc_lo
	s_delay_alu instid0(SALU_CYCLE_1) | instskip(NEXT) | instid1(SALU_CYCLE_1)
	s_and_saveexec_b32 s41, s7
	s_xor_b32 s7, exec_lo, s41
; %bb.4441:                             ;   in Loop: Header=BB2_4419 Depth=2
	v_min_i32_e32 v32, 15, v68
	s_delay_alu instid0(VALU_DEP_1) | instskip(NEXT) | instid1(VALU_DEP_1)
	v_lshl_or_b32 v32, v32, 3, v80
                                        ; implicit-def: $vgpr80
	v_and_or_b32 v82, v66, 7, v32
; %bb.4442:                             ;   in Loop: Header=BB2_4419 Depth=2
	s_and_not1_saveexec_b32 s7, s7
; %bb.4443:                             ;   in Loop: Header=BB2_4419 Depth=2
	v_mov_b32_e32 v82, v80
; %bb.4444:                             ;   in Loop: Header=BB2_4419 Depth=2
	s_or_b32 exec_lo, exec_lo, s7
.LBB2_4445:                             ;   in Loop: Header=BB2_4419 Depth=2
	s_delay_alu instid0(SALU_CYCLE_1)
	s_or_b32 exec_lo, exec_lo, s40
                                        ; implicit-def: $vgpr80
.LBB2_4446:                             ;   in Loop: Header=BB2_4419 Depth=2
	s_and_not1_saveexec_b32 s7, s11
; %bb.4447:                             ;   in Loop: Header=BB2_4419 Depth=2
	v_or_b32_e32 v82, 0x7e, v80
; %bb.4448:                             ;   in Loop: Header=BB2_4419 Depth=2
	s_or_b32 exec_lo, exec_lo, s7
                                        ; implicit-def: $vgpr67
.LBB2_4449:                             ;   in Loop: Header=BB2_4419 Depth=2
	s_and_not1_saveexec_b32 s7, s10
; %bb.4450:                             ;   in Loop: Header=BB2_4419 Depth=2
	v_or_b32_e32 v82, 0x7f, v67
; %bb.4451:                             ;   in Loop: Header=BB2_4419 Depth=2
	s_or_b32 exec_lo, exec_lo, s7
	flat_load_u8 v66, v[10:11] offset:32 th:TH_LOAD_NT
	v_mov_b32_e32 v32, 0
	s_mov_b32 s7, exec_lo
	s_wait_loadcnt_dscnt 0x0
	v_cmpx_ne_u16_e32 0, v66
	s_cbranch_execz .LBB2_4459
; %bb.4452:                             ;   in Loop: Header=BB2_4419 Depth=2
	v_bfrev_b32_e32 v32, 1
	s_mov_b32 s10, exec_lo
	v_cmpx_ne_u16_e32 0x80, v66
	s_cbranch_execz .LBB2_4458
; %bb.4453:                             ;   in Loop: Header=BB2_4419 Depth=2
	v_and_b32_e32 v67, 0xffff, v66
	v_mov_b32_e32 v32, 0x7f800001
	s_mov_b32 s11, exec_lo
	s_delay_alu instid0(VALU_DEP_2) | instskip(NEXT) | instid1(VALU_DEP_1)
	v_and_b32_e32 v68, 0x7f, v67
	v_cmpx_ne_u32_e32 0x7f, v68
	s_cbranch_execz .LBB2_4457
; %bb.4454:                             ;   in Loop: Header=BB2_4419 Depth=2
	v_dual_lshrrev_b32 v67, 3, v68 :: v_dual_bitop2_b32 v32, 7, v67 bitop3:0x40
	s_mov_b32 s40, exec_lo
	v_cmpx_gt_u32_e32 8, v68
; %bb.4455:                             ;   in Loop: Header=BB2_4419 Depth=2
	s_delay_alu instid0(VALU_DEP_2) | instskip(NEXT) | instid1(VALU_DEP_1)
	v_clz_i32_u32_e32 v67, v32
	v_min_u32_e32 v67, 32, v67
	s_delay_alu instid0(VALU_DEP_1) | instskip(NEXT) | instid1(VALU_DEP_1)
	v_subrev_nc_u32_e32 v68, 28, v67
	v_lshlrev_b64_e32 v[68:69], v68, v[32:33]
	s_delay_alu instid0(VALU_DEP_1)
	v_dual_sub_nc_u32 v67, 29, v67 :: v_dual_bitop2_b32 v32, 7, v68 bitop3:0x40
; %bb.4456:                             ;   in Loop: Header=BB2_4419 Depth=2
	s_or_b32 exec_lo, exec_lo, s40
	s_delay_alu instid0(VALU_DEP_1) | instskip(NEXT) | instid1(VALU_DEP_2)
	v_dual_lshlrev_b32 v66, 24, v66 :: v_dual_lshlrev_b32 v32, 20, v32
	v_lshl_add_u32 v67, v67, 23, 0x3c000000
	s_delay_alu instid0(VALU_DEP_2) | instskip(NEXT) | instid1(VALU_DEP_1)
	v_and_b32_e32 v66, 0x80000000, v66
	v_or3_b32 v32, v32, v66, v67
.LBB2_4457:                             ;   in Loop: Header=BB2_4419 Depth=2
	s_or_b32 exec_lo, exec_lo, s11
.LBB2_4458:                             ;   in Loop: Header=BB2_4419 Depth=2
	s_delay_alu instid0(SALU_CYCLE_1)
	s_or_b32 exec_lo, exec_lo, s10
.LBB2_4459:                             ;   in Loop: Header=BB2_4419 Depth=2
	s_delay_alu instid0(SALU_CYCLE_1) | instskip(NEXT) | instid1(VALU_DEP_1)
	s_or_b32 exec_lo, exec_lo, s7
	v_mul_f32_e32 v66, s29, v32
                                        ; implicit-def: $vgpr114
	s_mov_b32 s7, exec_lo
	s_delay_alu instid0(VALU_DEP_1) | instskip(SKIP_1) | instid1(VALU_DEP_2)
	v_and_b32_e32 v32, 0x7f800000, v66
	v_lshrrev_b32_e32 v67, 24, v66
	v_cmpx_ne_u64_e32 0x7f800000, v[32:33]
	s_xor_b32 s10, exec_lo, s7
	s_cbranch_execz .LBB2_4477
; %bb.4460:                             ;   in Loop: Header=BB2_4419 Depth=2
	v_and_b32_e32 v32, 0x7fffffff, v66
	v_and_b32_e32 v80, 0x80, v67
                                        ; implicit-def: $vgpr114
	s_mov_b32 s7, exec_lo
	s_delay_alu instid0(VALU_DEP_2)
	v_cmpx_gt_u64_e32 0x43e00001, v[32:33]
	s_xor_b32 s11, exec_lo, s7
	s_cbranch_execz .LBB2_4474
; %bb.4461:                             ;   in Loop: Header=BB2_4419 Depth=2
	v_mov_b32_e32 v114, 0
	s_mov_b32 s40, exec_lo
	v_cmpx_ne_u32_e32 0, v66
	s_cbranch_execz .LBB2_4473
; %bb.4462:                             ;   in Loop: Header=BB2_4419 Depth=2
	v_bfe_u32 v81, v66, 23, 8
	s_delay_alu instid0(VALU_DEP_1) | instskip(SKIP_1) | instid1(VALU_DEP_2)
	v_sub_nc_u32_e32 v32, 0x79, v81
	v_cmp_gt_u32_e32 vcc_lo, 0x7a, v81
	v_cndmask_b32_e32 v32, 0, v32, vcc_lo
	v_cmp_eq_u32_e32 vcc_lo, 0, v81
	s_delay_alu instid0(VALU_DEP_2) | instskip(SKIP_1) | instid1(VALU_DEP_2)
	v_cndmask_b32_e64 v83, v32, 0x78, vcc_lo
	v_and_b32_e32 v32, 0x7fffff, v66
	v_add_nc_u32_e32 v66, 20, v83
	s_delay_alu instid0(VALU_DEP_2) | instskip(SKIP_1) | instid1(VALU_DEP_3)
	v_or_b32_e32 v68, 0x800000, v32
	v_add_nc_u32_e32 v69, 19, v83
	v_lshlrev_b64_e64 v[66:67], v66, -1
	s_delay_alu instid0(VALU_DEP_3) | instskip(NEXT) | instid1(VALU_DEP_3)
	v_cndmask_b32_e32 v32, v68, v32, vcc_lo
	v_lshlrev_b64_e64 v[68:69], v69, 1
	s_delay_alu instid0(VALU_DEP_3) | instskip(NEXT) | instid1(VALU_DEP_3)
	v_bfi_b32 v85, v67, 0, 0
	v_bfi_b32 v84, v66, 0, v32
	v_lshrrev_b64 v[66:67], v83, v[32:33]
	s_delay_alu instid0(VALU_DEP_2) | instskip(NEXT) | instid1(VALU_DEP_2)
	v_cmp_eq_u64_e64 s7, v[84:85], v[68:69]
	v_mov_b64_e32 v[68:69], v[66:67]
	s_and_saveexec_b32 s41, s7
; %bb.4463:                             ;   in Loop: Header=BB2_4419 Depth=2
	v_bfe_u32 v32, v66, 20, 1
	s_delay_alu instid0(VALU_DEP_1) | instskip(NEXT) | instid1(VALU_DEP_1)
	v_add_nc_u64_e32 v[68:69], v[66:67], v[32:33]
	v_add_nc_u64_e32 v[68:69], -1, v[68:69]
; %bb.4464:                             ;   in Loop: Header=BB2_4419 Depth=2
	s_or_b32 exec_lo, exec_lo, s41
	v_add_nc_u32_e32 v32, 0xffffff81, v81
	v_lshrrev_b32_e32 v67, 23, v66
	s_mov_b32 s7, exec_lo
	s_delay_alu instid0(VALU_DEP_2) | instskip(NEXT) | instid1(VALU_DEP_1)
	v_cndmask_b32_e64 v32, v32, 0xffffff82, vcc_lo
	v_add3_u32 v69, v83, v32, v67
	v_and_b32_e32 v32, 0xfffff, v68
                                        ; implicit-def: $vgpr68
	s_delay_alu instid0(VALU_DEP_1) | instskip(NEXT) | instid1(VALU_DEP_1)
	v_dual_add_nc_u32 v81, 6, v69 :: v_dual_add_nc_u32 v32, v32, v66
                                        ; implicit-def: $vgpr66_vgpr67
	v_cmpx_ne_u32_e32 0, v81
	s_xor_b32 s7, exec_lo, s7
; %bb.4465:                             ;   in Loop: Header=BB2_4419 Depth=2
	s_delay_alu instid0(VALU_DEP_2) | instskip(SKIP_1) | instid1(VALU_DEP_1)
	v_cmp_lt_u64_e32 vcc_lo, 0xffffff, v[32:33]
	v_add_nc_u32_e32 v66, 7, v69
	v_cndmask_b32_e32 v68, v81, v66, vcc_lo
	v_cndmask_b32_e64 v66, 0, 1, vcc_lo
	s_delay_alu instid0(VALU_DEP_1)
	v_lshrrev_b64 v[66:67], v66, v[32:33]
; %bb.4466:                             ;   in Loop: Header=BB2_4419 Depth=2
	s_and_not1_saveexec_b32 s7, s7
; %bb.4467:                             ;   in Loop: Header=BB2_4419 Depth=2
	v_mov_b64_e32 v[66:67], v[32:33]
	v_bfe_u32 v68, v32, 23, 1
; %bb.4468:                             ;   in Loop: Header=BB2_4419 Depth=2
	s_or_b32 exec_lo, exec_lo, s7
	s_delay_alu instid0(VALU_DEP_2) | instskip(NEXT) | instid1(VALU_DEP_2)
	v_lshrrev_b64 v[66:67], 20, v[66:67]
	v_cmp_gt_i32_e32 vcc_lo, 16, v68
	v_cmp_ne_u32_e64 s7, 0, v68
                                        ; implicit-def: $vgpr114
	s_delay_alu instid0(VALU_DEP_3) | instskip(NEXT) | instid1(VALU_DEP_1)
	v_dual_cndmask_b32 v67, 0, v67 :: v_dual_cndmask_b32 v66, 7, v66
	v_cmp_ne_u64_e32 vcc_lo, 0, v[66:67]
	s_or_b32 s7, s7, vcc_lo
	s_delay_alu instid0(SALU_CYCLE_1) | instskip(NEXT) | instid1(SALU_CYCLE_1)
	s_and_saveexec_b32 s41, s7
	s_xor_b32 s7, exec_lo, s41
; %bb.4469:                             ;   in Loop: Header=BB2_4419 Depth=2
	v_min_i32_e32 v32, 15, v68
	s_delay_alu instid0(VALU_DEP_1) | instskip(NEXT) | instid1(VALU_DEP_1)
	v_lshl_or_b32 v32, v32, 3, v80
                                        ; implicit-def: $vgpr80
	v_and_or_b32 v114, v66, 7, v32
; %bb.4470:                             ;   in Loop: Header=BB2_4419 Depth=2
	s_and_not1_saveexec_b32 s7, s7
; %bb.4471:                             ;   in Loop: Header=BB2_4419 Depth=2
	v_mov_b32_e32 v114, v80
; %bb.4472:                             ;   in Loop: Header=BB2_4419 Depth=2
	s_or_b32 exec_lo, exec_lo, s7
.LBB2_4473:                             ;   in Loop: Header=BB2_4419 Depth=2
	s_delay_alu instid0(SALU_CYCLE_1)
	s_or_b32 exec_lo, exec_lo, s40
                                        ; implicit-def: $vgpr80
.LBB2_4474:                             ;   in Loop: Header=BB2_4419 Depth=2
	s_and_not1_saveexec_b32 s7, s11
; %bb.4475:                             ;   in Loop: Header=BB2_4419 Depth=2
	v_or_b32_e32 v114, 0x7e, v80
; %bb.4476:                             ;   in Loop: Header=BB2_4419 Depth=2
	s_or_b32 exec_lo, exec_lo, s7
                                        ; implicit-def: $vgpr67
.LBB2_4477:                             ;   in Loop: Header=BB2_4419 Depth=2
	s_and_not1_saveexec_b32 s7, s10
; %bb.4478:                             ;   in Loop: Header=BB2_4419 Depth=2
	v_or_b32_e32 v114, 0x7f, v67
; %bb.4479:                             ;   in Loop: Header=BB2_4419 Depth=2
	s_or_b32 exec_lo, exec_lo, s7
	flat_load_u8 v66, v[10:11] offset:64 th:TH_LOAD_NT
	v_mov_b32_e32 v32, 0
	s_mov_b32 s7, exec_lo
	s_wait_loadcnt_dscnt 0x0
	v_cmpx_ne_u16_e32 0, v66
	s_cbranch_execz .LBB2_4487
; %bb.4480:                             ;   in Loop: Header=BB2_4419 Depth=2
	v_bfrev_b32_e32 v32, 1
	s_mov_b32 s10, exec_lo
	v_cmpx_ne_u16_e32 0x80, v66
	s_cbranch_execz .LBB2_4486
; %bb.4481:                             ;   in Loop: Header=BB2_4419 Depth=2
	v_and_b32_e32 v67, 0xffff, v66
	v_mov_b32_e32 v32, 0x7f800001
	s_mov_b32 s11, exec_lo
	s_delay_alu instid0(VALU_DEP_2) | instskip(NEXT) | instid1(VALU_DEP_1)
	v_and_b32_e32 v68, 0x7f, v67
	v_cmpx_ne_u32_e32 0x7f, v68
	s_cbranch_execz .LBB2_4485
; %bb.4482:                             ;   in Loop: Header=BB2_4419 Depth=2
	v_dual_lshrrev_b32 v67, 3, v68 :: v_dual_bitop2_b32 v32, 7, v67 bitop3:0x40
	s_mov_b32 s40, exec_lo
	v_cmpx_gt_u32_e32 8, v68
; %bb.4483:                             ;   in Loop: Header=BB2_4419 Depth=2
	s_delay_alu instid0(VALU_DEP_2) | instskip(NEXT) | instid1(VALU_DEP_1)
	v_clz_i32_u32_e32 v67, v32
	v_min_u32_e32 v67, 32, v67
	s_delay_alu instid0(VALU_DEP_1) | instskip(NEXT) | instid1(VALU_DEP_1)
	v_subrev_nc_u32_e32 v68, 28, v67
	v_lshlrev_b64_e32 v[68:69], v68, v[32:33]
	s_delay_alu instid0(VALU_DEP_1)
	v_dual_sub_nc_u32 v67, 29, v67 :: v_dual_bitop2_b32 v32, 7, v68 bitop3:0x40
; %bb.4484:                             ;   in Loop: Header=BB2_4419 Depth=2
	s_or_b32 exec_lo, exec_lo, s40
	s_delay_alu instid0(VALU_DEP_1) | instskip(NEXT) | instid1(VALU_DEP_2)
	v_dual_lshlrev_b32 v66, 24, v66 :: v_dual_lshlrev_b32 v32, 20, v32
	v_lshl_add_u32 v67, v67, 23, 0x3c000000
	s_delay_alu instid0(VALU_DEP_2) | instskip(NEXT) | instid1(VALU_DEP_1)
	v_and_b32_e32 v66, 0x80000000, v66
	v_or3_b32 v32, v32, v66, v67
.LBB2_4485:                             ;   in Loop: Header=BB2_4419 Depth=2
	s_or_b32 exec_lo, exec_lo, s11
.LBB2_4486:                             ;   in Loop: Header=BB2_4419 Depth=2
	s_delay_alu instid0(SALU_CYCLE_1)
	s_or_b32 exec_lo, exec_lo, s10
.LBB2_4487:                             ;   in Loop: Header=BB2_4419 Depth=2
	s_delay_alu instid0(SALU_CYCLE_1) | instskip(NEXT) | instid1(VALU_DEP_1)
	s_or_b32 exec_lo, exec_lo, s7
	v_mul_f32_e32 v66, s29, v32
                                        ; implicit-def: $vgpr87
	s_mov_b32 s7, exec_lo
	s_delay_alu instid0(VALU_DEP_1) | instskip(SKIP_1) | instid1(VALU_DEP_2)
	v_and_b32_e32 v32, 0x7f800000, v66
	v_lshrrev_b32_e32 v67, 24, v66
	v_cmpx_ne_u64_e32 0x7f800000, v[32:33]
	s_xor_b32 s10, exec_lo, s7
	s_cbranch_execz .LBB2_4505
; %bb.4488:                             ;   in Loop: Header=BB2_4419 Depth=2
	v_and_b32_e32 v32, 0x7fffffff, v66
	v_and_b32_e32 v80, 0x80, v67
                                        ; implicit-def: $vgpr87
	s_mov_b32 s7, exec_lo
	s_delay_alu instid0(VALU_DEP_2)
	v_cmpx_gt_u64_e32 0x43e00001, v[32:33]
	s_xor_b32 s11, exec_lo, s7
	s_cbranch_execz .LBB2_4502
; %bb.4489:                             ;   in Loop: Header=BB2_4419 Depth=2
	v_mov_b32_e32 v87, 0
	s_mov_b32 s40, exec_lo
	v_cmpx_ne_u32_e32 0, v66
	s_cbranch_execz .LBB2_4501
; %bb.4490:                             ;   in Loop: Header=BB2_4419 Depth=2
	v_bfe_u32 v81, v66, 23, 8
	s_delay_alu instid0(VALU_DEP_1) | instskip(SKIP_1) | instid1(VALU_DEP_2)
	v_sub_nc_u32_e32 v32, 0x79, v81
	v_cmp_gt_u32_e32 vcc_lo, 0x7a, v81
	v_cndmask_b32_e32 v32, 0, v32, vcc_lo
	v_cmp_eq_u32_e32 vcc_lo, 0, v81
	s_delay_alu instid0(VALU_DEP_2) | instskip(SKIP_1) | instid1(VALU_DEP_2)
	v_cndmask_b32_e64 v83, v32, 0x78, vcc_lo
	v_and_b32_e32 v32, 0x7fffff, v66
	v_add_nc_u32_e32 v66, 20, v83
	s_delay_alu instid0(VALU_DEP_2) | instskip(SKIP_1) | instid1(VALU_DEP_3)
	v_or_b32_e32 v68, 0x800000, v32
	v_add_nc_u32_e32 v69, 19, v83
	v_lshlrev_b64_e64 v[66:67], v66, -1
	s_delay_alu instid0(VALU_DEP_3) | instskip(NEXT) | instid1(VALU_DEP_3)
	v_cndmask_b32_e32 v32, v68, v32, vcc_lo
	v_lshlrev_b64_e64 v[68:69], v69, 1
	s_delay_alu instid0(VALU_DEP_3) | instskip(NEXT) | instid1(VALU_DEP_3)
	v_bfi_b32 v85, v67, 0, 0
	v_bfi_b32 v84, v66, 0, v32
	v_lshrrev_b64 v[66:67], v83, v[32:33]
	s_delay_alu instid0(VALU_DEP_2) | instskip(NEXT) | instid1(VALU_DEP_2)
	v_cmp_eq_u64_e64 s7, v[84:85], v[68:69]
	v_mov_b64_e32 v[68:69], v[66:67]
	s_and_saveexec_b32 s41, s7
; %bb.4491:                             ;   in Loop: Header=BB2_4419 Depth=2
	v_bfe_u32 v32, v66, 20, 1
	s_delay_alu instid0(VALU_DEP_1) | instskip(NEXT) | instid1(VALU_DEP_1)
	v_add_nc_u64_e32 v[68:69], v[66:67], v[32:33]
	v_add_nc_u64_e32 v[68:69], -1, v[68:69]
; %bb.4492:                             ;   in Loop: Header=BB2_4419 Depth=2
	s_or_b32 exec_lo, exec_lo, s41
	v_add_nc_u32_e32 v32, 0xffffff81, v81
	v_lshrrev_b32_e32 v67, 23, v66
	s_mov_b32 s7, exec_lo
	s_delay_alu instid0(VALU_DEP_2) | instskip(NEXT) | instid1(VALU_DEP_1)
	v_cndmask_b32_e64 v32, v32, 0xffffff82, vcc_lo
	v_add3_u32 v69, v83, v32, v67
	v_and_b32_e32 v32, 0xfffff, v68
                                        ; implicit-def: $vgpr68
	s_delay_alu instid0(VALU_DEP_1) | instskip(NEXT) | instid1(VALU_DEP_1)
	v_dual_add_nc_u32 v81, 6, v69 :: v_dual_add_nc_u32 v32, v32, v66
                                        ; implicit-def: $vgpr66_vgpr67
	v_cmpx_ne_u32_e32 0, v81
	s_xor_b32 s7, exec_lo, s7
; %bb.4493:                             ;   in Loop: Header=BB2_4419 Depth=2
	s_delay_alu instid0(VALU_DEP_2) | instskip(SKIP_1) | instid1(VALU_DEP_1)
	v_cmp_lt_u64_e32 vcc_lo, 0xffffff, v[32:33]
	v_add_nc_u32_e32 v66, 7, v69
	v_cndmask_b32_e32 v68, v81, v66, vcc_lo
	v_cndmask_b32_e64 v66, 0, 1, vcc_lo
	s_delay_alu instid0(VALU_DEP_1)
	v_lshrrev_b64 v[66:67], v66, v[32:33]
; %bb.4494:                             ;   in Loop: Header=BB2_4419 Depth=2
	s_and_not1_saveexec_b32 s7, s7
; %bb.4495:                             ;   in Loop: Header=BB2_4419 Depth=2
	v_mov_b64_e32 v[66:67], v[32:33]
	v_bfe_u32 v68, v32, 23, 1
; %bb.4496:                             ;   in Loop: Header=BB2_4419 Depth=2
	s_or_b32 exec_lo, exec_lo, s7
	s_delay_alu instid0(VALU_DEP_2) | instskip(NEXT) | instid1(VALU_DEP_2)
	v_lshrrev_b64 v[66:67], 20, v[66:67]
	v_cmp_gt_i32_e32 vcc_lo, 16, v68
	v_cmp_ne_u32_e64 s7, 0, v68
                                        ; implicit-def: $vgpr87
	s_delay_alu instid0(VALU_DEP_3) | instskip(NEXT) | instid1(VALU_DEP_1)
	v_dual_cndmask_b32 v67, 0, v67 :: v_dual_cndmask_b32 v66, 7, v66
	v_cmp_ne_u64_e32 vcc_lo, 0, v[66:67]
	s_or_b32 s7, s7, vcc_lo
	s_delay_alu instid0(SALU_CYCLE_1) | instskip(NEXT) | instid1(SALU_CYCLE_1)
	s_and_saveexec_b32 s41, s7
	s_xor_b32 s7, exec_lo, s41
; %bb.4497:                             ;   in Loop: Header=BB2_4419 Depth=2
	v_min_i32_e32 v32, 15, v68
	s_delay_alu instid0(VALU_DEP_1) | instskip(NEXT) | instid1(VALU_DEP_1)
	v_lshl_or_b32 v32, v32, 3, v80
                                        ; implicit-def: $vgpr80
	v_and_or_b32 v87, v66, 7, v32
; %bb.4498:                             ;   in Loop: Header=BB2_4419 Depth=2
	s_and_not1_saveexec_b32 s7, s7
; %bb.4499:                             ;   in Loop: Header=BB2_4419 Depth=2
	v_mov_b32_e32 v87, v80
; %bb.4500:                             ;   in Loop: Header=BB2_4419 Depth=2
	s_or_b32 exec_lo, exec_lo, s7
.LBB2_4501:                             ;   in Loop: Header=BB2_4419 Depth=2
	s_delay_alu instid0(SALU_CYCLE_1)
	s_or_b32 exec_lo, exec_lo, s40
                                        ; implicit-def: $vgpr80
.LBB2_4502:                             ;   in Loop: Header=BB2_4419 Depth=2
	s_and_not1_saveexec_b32 s7, s11
; %bb.4503:                             ;   in Loop: Header=BB2_4419 Depth=2
	v_or_b32_e32 v87, 0x7e, v80
; %bb.4504:                             ;   in Loop: Header=BB2_4419 Depth=2
	s_or_b32 exec_lo, exec_lo, s7
                                        ; implicit-def: $vgpr67
.LBB2_4505:                             ;   in Loop: Header=BB2_4419 Depth=2
	s_and_not1_saveexec_b32 s7, s10
; %bb.4506:                             ;   in Loop: Header=BB2_4419 Depth=2
	v_or_b32_e32 v87, 0x7f, v67
; %bb.4507:                             ;   in Loop: Header=BB2_4419 Depth=2
	s_or_b32 exec_lo, exec_lo, s7
	flat_load_u8 v66, v[10:11] offset:96 th:TH_LOAD_NT
	v_mov_b32_e32 v32, 0
	s_mov_b32 s7, exec_lo
	s_wait_loadcnt_dscnt 0x0
	v_cmpx_ne_u16_e32 0, v66
	s_cbranch_execz .LBB2_4515
; %bb.4508:                             ;   in Loop: Header=BB2_4419 Depth=2
	v_bfrev_b32_e32 v32, 1
	s_mov_b32 s10, exec_lo
	v_cmpx_ne_u16_e32 0x80, v66
	s_cbranch_execz .LBB2_4514
; %bb.4509:                             ;   in Loop: Header=BB2_4419 Depth=2
	v_and_b32_e32 v67, 0xffff, v66
	v_mov_b32_e32 v32, 0x7f800001
	s_mov_b32 s11, exec_lo
	s_delay_alu instid0(VALU_DEP_2) | instskip(NEXT) | instid1(VALU_DEP_1)
	v_and_b32_e32 v68, 0x7f, v67
	v_cmpx_ne_u32_e32 0x7f, v68
	s_cbranch_execz .LBB2_4513
; %bb.4510:                             ;   in Loop: Header=BB2_4419 Depth=2
	v_dual_lshrrev_b32 v67, 3, v68 :: v_dual_bitop2_b32 v32, 7, v67 bitop3:0x40
	s_mov_b32 s40, exec_lo
	v_cmpx_gt_u32_e32 8, v68
; %bb.4511:                             ;   in Loop: Header=BB2_4419 Depth=2
	s_delay_alu instid0(VALU_DEP_2) | instskip(NEXT) | instid1(VALU_DEP_1)
	v_clz_i32_u32_e32 v67, v32
	v_min_u32_e32 v67, 32, v67
	s_delay_alu instid0(VALU_DEP_1) | instskip(NEXT) | instid1(VALU_DEP_1)
	v_subrev_nc_u32_e32 v68, 28, v67
	v_lshlrev_b64_e32 v[68:69], v68, v[32:33]
	s_delay_alu instid0(VALU_DEP_1)
	v_dual_sub_nc_u32 v67, 29, v67 :: v_dual_bitop2_b32 v32, 7, v68 bitop3:0x40
; %bb.4512:                             ;   in Loop: Header=BB2_4419 Depth=2
	s_or_b32 exec_lo, exec_lo, s40
	s_delay_alu instid0(VALU_DEP_1) | instskip(NEXT) | instid1(VALU_DEP_2)
	v_dual_lshlrev_b32 v66, 24, v66 :: v_dual_lshlrev_b32 v32, 20, v32
	v_lshl_add_u32 v67, v67, 23, 0x3c000000
	s_delay_alu instid0(VALU_DEP_2) | instskip(NEXT) | instid1(VALU_DEP_1)
	v_and_b32_e32 v66, 0x80000000, v66
	v_or3_b32 v32, v32, v66, v67
.LBB2_4513:                             ;   in Loop: Header=BB2_4419 Depth=2
	s_or_b32 exec_lo, exec_lo, s11
.LBB2_4514:                             ;   in Loop: Header=BB2_4419 Depth=2
	s_delay_alu instid0(SALU_CYCLE_1)
	s_or_b32 exec_lo, exec_lo, s10
.LBB2_4515:                             ;   in Loop: Header=BB2_4419 Depth=2
	s_delay_alu instid0(SALU_CYCLE_1) | instskip(NEXT) | instid1(VALU_DEP_1)
	s_or_b32 exec_lo, exec_lo, s7
	v_mul_f32_e32 v66, s29, v32
                                        ; implicit-def: $vgpr86
	s_mov_b32 s7, exec_lo
	s_delay_alu instid0(VALU_DEP_1) | instskip(SKIP_1) | instid1(VALU_DEP_2)
	v_and_b32_e32 v32, 0x7f800000, v66
	v_lshrrev_b32_e32 v67, 24, v66
	v_cmpx_ne_u64_e32 0x7f800000, v[32:33]
	s_xor_b32 s10, exec_lo, s7
	s_cbranch_execz .LBB2_4533
; %bb.4516:                             ;   in Loop: Header=BB2_4419 Depth=2
	v_and_b32_e32 v32, 0x7fffffff, v66
	v_and_b32_e32 v80, 0x80, v67
                                        ; implicit-def: $vgpr86
	s_mov_b32 s7, exec_lo
	s_delay_alu instid0(VALU_DEP_2)
	v_cmpx_gt_u64_e32 0x43e00001, v[32:33]
	s_xor_b32 s11, exec_lo, s7
	s_cbranch_execz .LBB2_4530
; %bb.4517:                             ;   in Loop: Header=BB2_4419 Depth=2
	v_mov_b32_e32 v86, 0
	s_mov_b32 s40, exec_lo
	v_cmpx_ne_u32_e32 0, v66
	s_cbranch_execz .LBB2_4529
; %bb.4518:                             ;   in Loop: Header=BB2_4419 Depth=2
	v_bfe_u32 v81, v66, 23, 8
	s_delay_alu instid0(VALU_DEP_1) | instskip(SKIP_1) | instid1(VALU_DEP_2)
	v_sub_nc_u32_e32 v32, 0x79, v81
	v_cmp_gt_u32_e32 vcc_lo, 0x7a, v81
	v_cndmask_b32_e32 v32, 0, v32, vcc_lo
	v_cmp_eq_u32_e32 vcc_lo, 0, v81
	s_delay_alu instid0(VALU_DEP_2) | instskip(SKIP_1) | instid1(VALU_DEP_2)
	v_cndmask_b32_e64 v83, v32, 0x78, vcc_lo
	v_and_b32_e32 v32, 0x7fffff, v66
	v_add_nc_u32_e32 v66, 20, v83
	s_delay_alu instid0(VALU_DEP_2) | instskip(SKIP_1) | instid1(VALU_DEP_3)
	v_or_b32_e32 v68, 0x800000, v32
	v_add_nc_u32_e32 v69, 19, v83
	v_lshlrev_b64_e64 v[66:67], v66, -1
	s_delay_alu instid0(VALU_DEP_3) | instskip(NEXT) | instid1(VALU_DEP_3)
	v_cndmask_b32_e32 v32, v68, v32, vcc_lo
	v_lshlrev_b64_e64 v[68:69], v69, 1
	s_delay_alu instid0(VALU_DEP_3) | instskip(NEXT) | instid1(VALU_DEP_3)
	v_bfi_b32 v85, v67, 0, 0
	v_bfi_b32 v84, v66, 0, v32
	v_lshrrev_b64 v[66:67], v83, v[32:33]
	s_delay_alu instid0(VALU_DEP_2) | instskip(NEXT) | instid1(VALU_DEP_2)
	v_cmp_eq_u64_e64 s7, v[84:85], v[68:69]
	v_mov_b64_e32 v[68:69], v[66:67]
	s_and_saveexec_b32 s41, s7
; %bb.4519:                             ;   in Loop: Header=BB2_4419 Depth=2
	v_bfe_u32 v32, v66, 20, 1
	s_delay_alu instid0(VALU_DEP_1) | instskip(NEXT) | instid1(VALU_DEP_1)
	v_add_nc_u64_e32 v[68:69], v[66:67], v[32:33]
	v_add_nc_u64_e32 v[68:69], -1, v[68:69]
; %bb.4520:                             ;   in Loop: Header=BB2_4419 Depth=2
	s_or_b32 exec_lo, exec_lo, s41
	v_add_nc_u32_e32 v32, 0xffffff81, v81
	v_lshrrev_b32_e32 v67, 23, v66
	s_mov_b32 s7, exec_lo
	s_delay_alu instid0(VALU_DEP_2) | instskip(NEXT) | instid1(VALU_DEP_1)
	v_cndmask_b32_e64 v32, v32, 0xffffff82, vcc_lo
	v_add3_u32 v69, v83, v32, v67
	v_and_b32_e32 v32, 0xfffff, v68
                                        ; implicit-def: $vgpr68
	s_delay_alu instid0(VALU_DEP_1) | instskip(NEXT) | instid1(VALU_DEP_1)
	v_dual_add_nc_u32 v81, 6, v69 :: v_dual_add_nc_u32 v32, v32, v66
                                        ; implicit-def: $vgpr66_vgpr67
	v_cmpx_ne_u32_e32 0, v81
	s_xor_b32 s7, exec_lo, s7
; %bb.4521:                             ;   in Loop: Header=BB2_4419 Depth=2
	s_delay_alu instid0(VALU_DEP_2) | instskip(SKIP_1) | instid1(VALU_DEP_1)
	v_cmp_lt_u64_e32 vcc_lo, 0xffffff, v[32:33]
	v_add_nc_u32_e32 v66, 7, v69
	v_cndmask_b32_e32 v68, v81, v66, vcc_lo
	v_cndmask_b32_e64 v66, 0, 1, vcc_lo
	s_delay_alu instid0(VALU_DEP_1)
	v_lshrrev_b64 v[66:67], v66, v[32:33]
; %bb.4522:                             ;   in Loop: Header=BB2_4419 Depth=2
	s_and_not1_saveexec_b32 s7, s7
; %bb.4523:                             ;   in Loop: Header=BB2_4419 Depth=2
	v_mov_b64_e32 v[66:67], v[32:33]
	v_bfe_u32 v68, v32, 23, 1
; %bb.4524:                             ;   in Loop: Header=BB2_4419 Depth=2
	s_or_b32 exec_lo, exec_lo, s7
	s_delay_alu instid0(VALU_DEP_2) | instskip(NEXT) | instid1(VALU_DEP_2)
	v_lshrrev_b64 v[66:67], 20, v[66:67]
	v_cmp_gt_i32_e32 vcc_lo, 16, v68
	v_cmp_ne_u32_e64 s7, 0, v68
                                        ; implicit-def: $vgpr86
	s_delay_alu instid0(VALU_DEP_3) | instskip(NEXT) | instid1(VALU_DEP_1)
	v_dual_cndmask_b32 v67, 0, v67 :: v_dual_cndmask_b32 v66, 7, v66
	v_cmp_ne_u64_e32 vcc_lo, 0, v[66:67]
	s_or_b32 s7, s7, vcc_lo
	s_delay_alu instid0(SALU_CYCLE_1) | instskip(NEXT) | instid1(SALU_CYCLE_1)
	s_and_saveexec_b32 s41, s7
	s_xor_b32 s7, exec_lo, s41
; %bb.4525:                             ;   in Loop: Header=BB2_4419 Depth=2
	v_min_i32_e32 v32, 15, v68
	s_delay_alu instid0(VALU_DEP_1) | instskip(NEXT) | instid1(VALU_DEP_1)
	v_lshl_or_b32 v32, v32, 3, v80
                                        ; implicit-def: $vgpr80
	v_and_or_b32 v86, v66, 7, v32
; %bb.4526:                             ;   in Loop: Header=BB2_4419 Depth=2
	s_and_not1_saveexec_b32 s7, s7
; %bb.4527:                             ;   in Loop: Header=BB2_4419 Depth=2
	v_mov_b32_e32 v86, v80
; %bb.4528:                             ;   in Loop: Header=BB2_4419 Depth=2
	s_or_b32 exec_lo, exec_lo, s7
.LBB2_4529:                             ;   in Loop: Header=BB2_4419 Depth=2
	s_delay_alu instid0(SALU_CYCLE_1)
	s_or_b32 exec_lo, exec_lo, s40
                                        ; implicit-def: $vgpr80
.LBB2_4530:                             ;   in Loop: Header=BB2_4419 Depth=2
	s_and_not1_saveexec_b32 s7, s11
; %bb.4531:                             ;   in Loop: Header=BB2_4419 Depth=2
	v_or_b32_e32 v86, 0x7e, v80
; %bb.4532:                             ;   in Loop: Header=BB2_4419 Depth=2
	s_or_b32 exec_lo, exec_lo, s7
                                        ; implicit-def: $vgpr67
.LBB2_4533:                             ;   in Loop: Header=BB2_4419 Depth=2
	s_and_not1_saveexec_b32 s7, s10
; %bb.4534:                             ;   in Loop: Header=BB2_4419 Depth=2
	v_or_b32_e32 v86, 0x7f, v67
; %bb.4535:                             ;   in Loop: Header=BB2_4419 Depth=2
	s_or_b32 exec_lo, exec_lo, s7
	flat_load_u8 v66, v[10:11] offset:128 th:TH_LOAD_NT
	v_mov_b32_e32 v32, 0
	s_mov_b32 s7, exec_lo
	s_wait_loadcnt_dscnt 0x0
	v_cmpx_ne_u16_e32 0, v66
	s_cbranch_execz .LBB2_4543
; %bb.4536:                             ;   in Loop: Header=BB2_4419 Depth=2
	v_bfrev_b32_e32 v32, 1
	s_mov_b32 s10, exec_lo
	v_cmpx_ne_u16_e32 0x80, v66
	s_cbranch_execz .LBB2_4542
; %bb.4537:                             ;   in Loop: Header=BB2_4419 Depth=2
	v_and_b32_e32 v67, 0xffff, v66
	v_mov_b32_e32 v32, 0x7f800001
	s_mov_b32 s11, exec_lo
	s_delay_alu instid0(VALU_DEP_2) | instskip(NEXT) | instid1(VALU_DEP_1)
	v_and_b32_e32 v68, 0x7f, v67
	v_cmpx_ne_u32_e32 0x7f, v68
	s_cbranch_execz .LBB2_4541
; %bb.4538:                             ;   in Loop: Header=BB2_4419 Depth=2
	v_dual_lshrrev_b32 v67, 3, v68 :: v_dual_bitop2_b32 v32, 7, v67 bitop3:0x40
	s_mov_b32 s40, exec_lo
	v_cmpx_gt_u32_e32 8, v68
; %bb.4539:                             ;   in Loop: Header=BB2_4419 Depth=2
	s_delay_alu instid0(VALU_DEP_2) | instskip(NEXT) | instid1(VALU_DEP_1)
	v_clz_i32_u32_e32 v67, v32
	v_min_u32_e32 v67, 32, v67
	s_delay_alu instid0(VALU_DEP_1) | instskip(NEXT) | instid1(VALU_DEP_1)
	v_subrev_nc_u32_e32 v68, 28, v67
	v_lshlrev_b64_e32 v[68:69], v68, v[32:33]
	s_delay_alu instid0(VALU_DEP_1)
	v_dual_sub_nc_u32 v67, 29, v67 :: v_dual_bitop2_b32 v32, 7, v68 bitop3:0x40
; %bb.4540:                             ;   in Loop: Header=BB2_4419 Depth=2
	s_or_b32 exec_lo, exec_lo, s40
	s_delay_alu instid0(VALU_DEP_1) | instskip(NEXT) | instid1(VALU_DEP_2)
	v_dual_lshlrev_b32 v66, 24, v66 :: v_dual_lshlrev_b32 v32, 20, v32
	v_lshl_add_u32 v67, v67, 23, 0x3c000000
	s_delay_alu instid0(VALU_DEP_2) | instskip(NEXT) | instid1(VALU_DEP_1)
	v_and_b32_e32 v66, 0x80000000, v66
	v_or3_b32 v32, v32, v66, v67
.LBB2_4541:                             ;   in Loop: Header=BB2_4419 Depth=2
	s_or_b32 exec_lo, exec_lo, s11
.LBB2_4542:                             ;   in Loop: Header=BB2_4419 Depth=2
	s_delay_alu instid0(SALU_CYCLE_1)
	s_or_b32 exec_lo, exec_lo, s10
.LBB2_4543:                             ;   in Loop: Header=BB2_4419 Depth=2
	s_delay_alu instid0(SALU_CYCLE_1) | instskip(NEXT) | instid1(VALU_DEP_1)
	s_or_b32 exec_lo, exec_lo, s7
	v_mul_f32_e32 v66, s29, v32
                                        ; implicit-def: $vgpr85
	s_mov_b32 s7, exec_lo
	s_delay_alu instid0(VALU_DEP_1) | instskip(SKIP_1) | instid1(VALU_DEP_2)
	v_and_b32_e32 v32, 0x7f800000, v66
	v_lshrrev_b32_e32 v67, 24, v66
	v_cmpx_ne_u64_e32 0x7f800000, v[32:33]
	s_xor_b32 s10, exec_lo, s7
	s_cbranch_execz .LBB2_4561
; %bb.4544:                             ;   in Loop: Header=BB2_4419 Depth=2
	v_and_b32_e32 v32, 0x7fffffff, v66
	v_and_b32_e32 v80, 0x80, v67
                                        ; implicit-def: $vgpr85
	s_mov_b32 s7, exec_lo
	s_delay_alu instid0(VALU_DEP_2)
	v_cmpx_gt_u64_e32 0x43e00001, v[32:33]
	s_xor_b32 s11, exec_lo, s7
	s_cbranch_execz .LBB2_4558
; %bb.4545:                             ;   in Loop: Header=BB2_4419 Depth=2
	v_mov_b32_e32 v85, 0
	s_mov_b32 s40, exec_lo
	v_cmpx_ne_u32_e32 0, v66
	s_cbranch_execz .LBB2_4557
; %bb.4546:                             ;   in Loop: Header=BB2_4419 Depth=2
	v_bfe_u32 v81, v66, 23, 8
	s_delay_alu instid0(VALU_DEP_1) | instskip(SKIP_1) | instid1(VALU_DEP_2)
	v_sub_nc_u32_e32 v32, 0x79, v81
	v_cmp_gt_u32_e32 vcc_lo, 0x7a, v81
	v_cndmask_b32_e32 v32, 0, v32, vcc_lo
	v_cmp_eq_u32_e32 vcc_lo, 0, v81
	s_delay_alu instid0(VALU_DEP_2) | instskip(SKIP_1) | instid1(VALU_DEP_2)
	v_cndmask_b32_e64 v83, v32, 0x78, vcc_lo
	v_and_b32_e32 v32, 0x7fffff, v66
	v_add_nc_u32_e32 v66, 20, v83
	s_delay_alu instid0(VALU_DEP_2) | instskip(SKIP_1) | instid1(VALU_DEP_3)
	v_or_b32_e32 v68, 0x800000, v32
	v_add_nc_u32_e32 v69, 19, v83
	v_lshlrev_b64_e64 v[66:67], v66, -1
	s_delay_alu instid0(VALU_DEP_3) | instskip(NEXT) | instid1(VALU_DEP_3)
	v_cndmask_b32_e32 v32, v68, v32, vcc_lo
	v_lshlrev_b64_e64 v[68:69], v69, 1
	s_delay_alu instid0(VALU_DEP_3) | instskip(NEXT) | instid1(VALU_DEP_3)
	v_bfi_b32 v85, v67, 0, 0
	v_bfi_b32 v84, v66, 0, v32
	v_lshrrev_b64 v[66:67], v83, v[32:33]
	s_delay_alu instid0(VALU_DEP_2) | instskip(NEXT) | instid1(VALU_DEP_2)
	v_cmp_eq_u64_e64 s7, v[84:85], v[68:69]
	v_mov_b64_e32 v[68:69], v[66:67]
	s_and_saveexec_b32 s41, s7
; %bb.4547:                             ;   in Loop: Header=BB2_4419 Depth=2
	v_bfe_u32 v32, v66, 20, 1
	s_delay_alu instid0(VALU_DEP_1) | instskip(NEXT) | instid1(VALU_DEP_1)
	v_add_nc_u64_e32 v[68:69], v[66:67], v[32:33]
	v_add_nc_u64_e32 v[68:69], -1, v[68:69]
; %bb.4548:                             ;   in Loop: Header=BB2_4419 Depth=2
	s_or_b32 exec_lo, exec_lo, s41
	v_add_nc_u32_e32 v32, 0xffffff81, v81
	v_lshrrev_b32_e32 v67, 23, v66
	s_mov_b32 s7, exec_lo
	s_delay_alu instid0(VALU_DEP_2) | instskip(NEXT) | instid1(VALU_DEP_1)
	v_cndmask_b32_e64 v32, v32, 0xffffff82, vcc_lo
	v_add3_u32 v69, v83, v32, v67
	v_and_b32_e32 v32, 0xfffff, v68
                                        ; implicit-def: $vgpr68
	s_delay_alu instid0(VALU_DEP_1) | instskip(NEXT) | instid1(VALU_DEP_1)
	v_dual_add_nc_u32 v81, 6, v69 :: v_dual_add_nc_u32 v32, v32, v66
                                        ; implicit-def: $vgpr66_vgpr67
	v_cmpx_ne_u32_e32 0, v81
	s_xor_b32 s7, exec_lo, s7
; %bb.4549:                             ;   in Loop: Header=BB2_4419 Depth=2
	s_delay_alu instid0(VALU_DEP_2) | instskip(SKIP_1) | instid1(VALU_DEP_1)
	v_cmp_lt_u64_e32 vcc_lo, 0xffffff, v[32:33]
	v_add_nc_u32_e32 v66, 7, v69
	v_cndmask_b32_e32 v68, v81, v66, vcc_lo
	v_cndmask_b32_e64 v66, 0, 1, vcc_lo
	s_delay_alu instid0(VALU_DEP_1)
	v_lshrrev_b64 v[66:67], v66, v[32:33]
; %bb.4550:                             ;   in Loop: Header=BB2_4419 Depth=2
	s_and_not1_saveexec_b32 s7, s7
; %bb.4551:                             ;   in Loop: Header=BB2_4419 Depth=2
	v_mov_b64_e32 v[66:67], v[32:33]
	v_bfe_u32 v68, v32, 23, 1
; %bb.4552:                             ;   in Loop: Header=BB2_4419 Depth=2
	s_or_b32 exec_lo, exec_lo, s7
	s_delay_alu instid0(VALU_DEP_2) | instskip(NEXT) | instid1(VALU_DEP_2)
	v_lshrrev_b64 v[66:67], 20, v[66:67]
	v_cmp_gt_i32_e32 vcc_lo, 16, v68
	v_cmp_ne_u32_e64 s7, 0, v68
                                        ; implicit-def: $vgpr85
	s_delay_alu instid0(VALU_DEP_3) | instskip(NEXT) | instid1(VALU_DEP_1)
	v_dual_cndmask_b32 v67, 0, v67 :: v_dual_cndmask_b32 v66, 7, v66
	v_cmp_ne_u64_e32 vcc_lo, 0, v[66:67]
	s_or_b32 s7, s7, vcc_lo
	s_delay_alu instid0(SALU_CYCLE_1) | instskip(NEXT) | instid1(SALU_CYCLE_1)
	s_and_saveexec_b32 s41, s7
	s_xor_b32 s7, exec_lo, s41
; %bb.4553:                             ;   in Loop: Header=BB2_4419 Depth=2
	v_min_i32_e32 v32, 15, v68
	s_delay_alu instid0(VALU_DEP_1) | instskip(NEXT) | instid1(VALU_DEP_1)
	v_lshl_or_b32 v32, v32, 3, v80
                                        ; implicit-def: $vgpr80
	v_and_or_b32 v85, v66, 7, v32
; %bb.4554:                             ;   in Loop: Header=BB2_4419 Depth=2
	s_and_not1_saveexec_b32 s7, s7
; %bb.4555:                             ;   in Loop: Header=BB2_4419 Depth=2
	v_mov_b32_e32 v85, v80
; %bb.4556:                             ;   in Loop: Header=BB2_4419 Depth=2
	s_or_b32 exec_lo, exec_lo, s7
.LBB2_4557:                             ;   in Loop: Header=BB2_4419 Depth=2
	s_delay_alu instid0(SALU_CYCLE_1)
	s_or_b32 exec_lo, exec_lo, s40
                                        ; implicit-def: $vgpr80
.LBB2_4558:                             ;   in Loop: Header=BB2_4419 Depth=2
	s_and_not1_saveexec_b32 s7, s11
; %bb.4559:                             ;   in Loop: Header=BB2_4419 Depth=2
	v_or_b32_e32 v85, 0x7e, v80
; %bb.4560:                             ;   in Loop: Header=BB2_4419 Depth=2
	s_or_b32 exec_lo, exec_lo, s7
                                        ; implicit-def: $vgpr67
.LBB2_4561:                             ;   in Loop: Header=BB2_4419 Depth=2
	s_and_not1_saveexec_b32 s7, s10
; %bb.4562:                             ;   in Loop: Header=BB2_4419 Depth=2
	v_or_b32_e32 v85, 0x7f, v67
; %bb.4563:                             ;   in Loop: Header=BB2_4419 Depth=2
	s_or_b32 exec_lo, exec_lo, s7
	flat_load_u8 v66, v[10:11] offset:160 th:TH_LOAD_NT
	v_mov_b32_e32 v32, 0
	s_mov_b32 s7, exec_lo
	s_wait_loadcnt_dscnt 0x0
	v_cmpx_ne_u16_e32 0, v66
	s_cbranch_execz .LBB2_4571
; %bb.4564:                             ;   in Loop: Header=BB2_4419 Depth=2
	v_bfrev_b32_e32 v32, 1
	s_mov_b32 s10, exec_lo
	v_cmpx_ne_u16_e32 0x80, v66
	s_cbranch_execz .LBB2_4570
; %bb.4565:                             ;   in Loop: Header=BB2_4419 Depth=2
	v_and_b32_e32 v67, 0xffff, v66
	v_mov_b32_e32 v32, 0x7f800001
	s_mov_b32 s11, exec_lo
	s_delay_alu instid0(VALU_DEP_2) | instskip(NEXT) | instid1(VALU_DEP_1)
	v_and_b32_e32 v68, 0x7f, v67
	v_cmpx_ne_u32_e32 0x7f, v68
	s_cbranch_execz .LBB2_4569
; %bb.4566:                             ;   in Loop: Header=BB2_4419 Depth=2
	v_dual_lshrrev_b32 v67, 3, v68 :: v_dual_bitop2_b32 v32, 7, v67 bitop3:0x40
	s_mov_b32 s40, exec_lo
	v_cmpx_gt_u32_e32 8, v68
; %bb.4567:                             ;   in Loop: Header=BB2_4419 Depth=2
	s_delay_alu instid0(VALU_DEP_2) | instskip(NEXT) | instid1(VALU_DEP_1)
	v_clz_i32_u32_e32 v67, v32
	v_min_u32_e32 v67, 32, v67
	s_delay_alu instid0(VALU_DEP_1) | instskip(NEXT) | instid1(VALU_DEP_1)
	v_subrev_nc_u32_e32 v68, 28, v67
	v_lshlrev_b64_e32 v[68:69], v68, v[32:33]
	s_delay_alu instid0(VALU_DEP_1)
	v_dual_sub_nc_u32 v67, 29, v67 :: v_dual_bitop2_b32 v32, 7, v68 bitop3:0x40
; %bb.4568:                             ;   in Loop: Header=BB2_4419 Depth=2
	s_or_b32 exec_lo, exec_lo, s40
	s_delay_alu instid0(VALU_DEP_1) | instskip(NEXT) | instid1(VALU_DEP_2)
	v_dual_lshlrev_b32 v66, 24, v66 :: v_dual_lshlrev_b32 v32, 20, v32
	v_lshl_add_u32 v67, v67, 23, 0x3c000000
	s_delay_alu instid0(VALU_DEP_2) | instskip(NEXT) | instid1(VALU_DEP_1)
	v_and_b32_e32 v66, 0x80000000, v66
	v_or3_b32 v32, v32, v66, v67
.LBB2_4569:                             ;   in Loop: Header=BB2_4419 Depth=2
	s_or_b32 exec_lo, exec_lo, s11
.LBB2_4570:                             ;   in Loop: Header=BB2_4419 Depth=2
	s_delay_alu instid0(SALU_CYCLE_1)
	s_or_b32 exec_lo, exec_lo, s10
.LBB2_4571:                             ;   in Loop: Header=BB2_4419 Depth=2
	s_delay_alu instid0(SALU_CYCLE_1) | instskip(NEXT) | instid1(VALU_DEP_1)
	s_or_b32 exec_lo, exec_lo, s7
	v_mul_f32_e32 v66, s29, v32
                                        ; implicit-def: $vgpr84
	s_mov_b32 s7, exec_lo
	s_delay_alu instid0(VALU_DEP_1) | instskip(SKIP_1) | instid1(VALU_DEP_2)
	v_and_b32_e32 v32, 0x7f800000, v66
	v_lshrrev_b32_e32 v67, 24, v66
	v_cmpx_ne_u64_e32 0x7f800000, v[32:33]
	s_xor_b32 s10, exec_lo, s7
	s_cbranch_execz .LBB2_4589
; %bb.4572:                             ;   in Loop: Header=BB2_4419 Depth=2
	v_and_b32_e32 v32, 0x7fffffff, v66
	v_and_b32_e32 v80, 0x80, v67
                                        ; implicit-def: $vgpr84
	s_mov_b32 s7, exec_lo
	s_delay_alu instid0(VALU_DEP_2)
	v_cmpx_gt_u64_e32 0x43e00001, v[32:33]
	s_xor_b32 s11, exec_lo, s7
	s_cbranch_execz .LBB2_4586
; %bb.4573:                             ;   in Loop: Header=BB2_4419 Depth=2
	v_mov_b32_e32 v84, 0
	s_mov_b32 s40, exec_lo
	v_cmpx_ne_u32_e32 0, v66
	s_cbranch_execz .LBB2_4585
; %bb.4574:                             ;   in Loop: Header=BB2_4419 Depth=2
	v_bfe_u32 v81, v66, 23, 8
	s_delay_alu instid0(VALU_DEP_1) | instskip(SKIP_1) | instid1(VALU_DEP_2)
	v_sub_nc_u32_e32 v32, 0x79, v81
	v_cmp_gt_u32_e32 vcc_lo, 0x7a, v81
	v_cndmask_b32_e32 v32, 0, v32, vcc_lo
	v_cmp_eq_u32_e32 vcc_lo, 0, v81
	s_delay_alu instid0(VALU_DEP_2) | instskip(SKIP_1) | instid1(VALU_DEP_2)
	v_cndmask_b32_e64 v83, v32, 0x78, vcc_lo
	v_and_b32_e32 v32, 0x7fffff, v66
	v_add_nc_u32_e32 v66, 20, v83
	s_delay_alu instid0(VALU_DEP_2) | instskip(SKIP_1) | instid1(VALU_DEP_3)
	v_or_b32_e32 v68, 0x800000, v32
	v_add_nc_u32_e32 v69, 19, v83
	v_lshlrev_b64_e64 v[66:67], v66, -1
	s_delay_alu instid0(VALU_DEP_3) | instskip(NEXT) | instid1(VALU_DEP_3)
	v_cndmask_b32_e32 v32, v68, v32, vcc_lo
	v_lshlrev_b64_e64 v[68:69], v69, 1
	s_delay_alu instid0(VALU_DEP_3) | instskip(NEXT) | instid1(VALU_DEP_3)
	v_bfi_b32 v117, v67, 0, 0
	v_bfi_b32 v116, v66, 0, v32
	v_lshrrev_b64 v[66:67], v83, v[32:33]
	s_delay_alu instid0(VALU_DEP_2) | instskip(NEXT) | instid1(VALU_DEP_2)
	v_cmp_eq_u64_e64 s7, v[116:117], v[68:69]
	v_mov_b64_e32 v[68:69], v[66:67]
	s_and_saveexec_b32 s41, s7
; %bb.4575:                             ;   in Loop: Header=BB2_4419 Depth=2
	v_bfe_u32 v32, v66, 20, 1
	s_delay_alu instid0(VALU_DEP_1) | instskip(NEXT) | instid1(VALU_DEP_1)
	v_add_nc_u64_e32 v[68:69], v[66:67], v[32:33]
	v_add_nc_u64_e32 v[68:69], -1, v[68:69]
; %bb.4576:                             ;   in Loop: Header=BB2_4419 Depth=2
	s_or_b32 exec_lo, exec_lo, s41
	v_add_nc_u32_e32 v32, 0xffffff81, v81
	v_lshrrev_b32_e32 v67, 23, v66
	s_mov_b32 s7, exec_lo
	s_delay_alu instid0(VALU_DEP_2) | instskip(NEXT) | instid1(VALU_DEP_1)
	v_cndmask_b32_e64 v32, v32, 0xffffff82, vcc_lo
	v_add3_u32 v69, v83, v32, v67
	v_and_b32_e32 v32, 0xfffff, v68
                                        ; implicit-def: $vgpr68
	s_delay_alu instid0(VALU_DEP_1) | instskip(NEXT) | instid1(VALU_DEP_1)
	v_dual_add_nc_u32 v81, 6, v69 :: v_dual_add_nc_u32 v32, v32, v66
                                        ; implicit-def: $vgpr66_vgpr67
	v_cmpx_ne_u32_e32 0, v81
	s_xor_b32 s7, exec_lo, s7
; %bb.4577:                             ;   in Loop: Header=BB2_4419 Depth=2
	s_delay_alu instid0(VALU_DEP_2) | instskip(SKIP_1) | instid1(VALU_DEP_1)
	v_cmp_lt_u64_e32 vcc_lo, 0xffffff, v[32:33]
	v_add_nc_u32_e32 v66, 7, v69
	v_cndmask_b32_e32 v68, v81, v66, vcc_lo
	v_cndmask_b32_e64 v66, 0, 1, vcc_lo
	s_delay_alu instid0(VALU_DEP_1)
	v_lshrrev_b64 v[66:67], v66, v[32:33]
; %bb.4578:                             ;   in Loop: Header=BB2_4419 Depth=2
	s_and_not1_saveexec_b32 s7, s7
; %bb.4579:                             ;   in Loop: Header=BB2_4419 Depth=2
	v_mov_b64_e32 v[66:67], v[32:33]
	v_bfe_u32 v68, v32, 23, 1
; %bb.4580:                             ;   in Loop: Header=BB2_4419 Depth=2
	s_or_b32 exec_lo, exec_lo, s7
	s_delay_alu instid0(VALU_DEP_2) | instskip(NEXT) | instid1(VALU_DEP_2)
	v_lshrrev_b64 v[66:67], 20, v[66:67]
	v_cmp_gt_i32_e32 vcc_lo, 16, v68
	v_cmp_ne_u32_e64 s7, 0, v68
                                        ; implicit-def: $vgpr84
	s_delay_alu instid0(VALU_DEP_3) | instskip(NEXT) | instid1(VALU_DEP_1)
	v_dual_cndmask_b32 v67, 0, v67 :: v_dual_cndmask_b32 v66, 7, v66
	v_cmp_ne_u64_e32 vcc_lo, 0, v[66:67]
	s_or_b32 s7, s7, vcc_lo
	s_delay_alu instid0(SALU_CYCLE_1) | instskip(NEXT) | instid1(SALU_CYCLE_1)
	s_and_saveexec_b32 s41, s7
	s_xor_b32 s7, exec_lo, s41
; %bb.4581:                             ;   in Loop: Header=BB2_4419 Depth=2
	v_min_i32_e32 v32, 15, v68
	s_delay_alu instid0(VALU_DEP_1) | instskip(NEXT) | instid1(VALU_DEP_1)
	v_lshl_or_b32 v32, v32, 3, v80
                                        ; implicit-def: $vgpr80
	v_and_or_b32 v84, v66, 7, v32
; %bb.4582:                             ;   in Loop: Header=BB2_4419 Depth=2
	s_and_not1_saveexec_b32 s7, s7
; %bb.4583:                             ;   in Loop: Header=BB2_4419 Depth=2
	v_mov_b32_e32 v84, v80
; %bb.4584:                             ;   in Loop: Header=BB2_4419 Depth=2
	s_or_b32 exec_lo, exec_lo, s7
.LBB2_4585:                             ;   in Loop: Header=BB2_4419 Depth=2
	s_delay_alu instid0(SALU_CYCLE_1)
	s_or_b32 exec_lo, exec_lo, s40
                                        ; implicit-def: $vgpr80
.LBB2_4586:                             ;   in Loop: Header=BB2_4419 Depth=2
	s_and_not1_saveexec_b32 s7, s11
; %bb.4587:                             ;   in Loop: Header=BB2_4419 Depth=2
	v_or_b32_e32 v84, 0x7e, v80
; %bb.4588:                             ;   in Loop: Header=BB2_4419 Depth=2
	s_or_b32 exec_lo, exec_lo, s7
                                        ; implicit-def: $vgpr67
.LBB2_4589:                             ;   in Loop: Header=BB2_4419 Depth=2
	s_and_not1_saveexec_b32 s7, s10
; %bb.4590:                             ;   in Loop: Header=BB2_4419 Depth=2
	v_or_b32_e32 v84, 0x7f, v67
; %bb.4591:                             ;   in Loop: Header=BB2_4419 Depth=2
	s_or_b32 exec_lo, exec_lo, s7
	flat_load_u8 v66, v[10:11] offset:192 th:TH_LOAD_NT
	v_mov_b32_e32 v32, 0
	s_mov_b32 s7, exec_lo
	s_wait_loadcnt_dscnt 0x0
	v_cmpx_ne_u16_e32 0, v66
	s_cbranch_execz .LBB2_4599
; %bb.4592:                             ;   in Loop: Header=BB2_4419 Depth=2
	v_bfrev_b32_e32 v32, 1
	s_mov_b32 s10, exec_lo
	v_cmpx_ne_u16_e32 0x80, v66
	s_cbranch_execz .LBB2_4598
; %bb.4593:                             ;   in Loop: Header=BB2_4419 Depth=2
	v_and_b32_e32 v67, 0xffff, v66
	v_mov_b32_e32 v32, 0x7f800001
	s_mov_b32 s11, exec_lo
	s_delay_alu instid0(VALU_DEP_2) | instskip(NEXT) | instid1(VALU_DEP_1)
	v_and_b32_e32 v68, 0x7f, v67
	v_cmpx_ne_u32_e32 0x7f, v68
	s_cbranch_execz .LBB2_4597
; %bb.4594:                             ;   in Loop: Header=BB2_4419 Depth=2
	v_dual_lshrrev_b32 v67, 3, v68 :: v_dual_bitop2_b32 v32, 7, v67 bitop3:0x40
	s_mov_b32 s40, exec_lo
	v_cmpx_gt_u32_e32 8, v68
; %bb.4595:                             ;   in Loop: Header=BB2_4419 Depth=2
	s_delay_alu instid0(VALU_DEP_2) | instskip(NEXT) | instid1(VALU_DEP_1)
	v_clz_i32_u32_e32 v67, v32
	v_min_u32_e32 v67, 32, v67
	s_delay_alu instid0(VALU_DEP_1) | instskip(NEXT) | instid1(VALU_DEP_1)
	v_subrev_nc_u32_e32 v68, 28, v67
	v_lshlrev_b64_e32 v[68:69], v68, v[32:33]
	s_delay_alu instid0(VALU_DEP_1)
	v_dual_sub_nc_u32 v67, 29, v67 :: v_dual_bitop2_b32 v32, 7, v68 bitop3:0x40
; %bb.4596:                             ;   in Loop: Header=BB2_4419 Depth=2
	s_or_b32 exec_lo, exec_lo, s40
	s_delay_alu instid0(VALU_DEP_1) | instskip(NEXT) | instid1(VALU_DEP_2)
	v_dual_lshlrev_b32 v66, 24, v66 :: v_dual_lshlrev_b32 v32, 20, v32
	v_lshl_add_u32 v67, v67, 23, 0x3c000000
	s_delay_alu instid0(VALU_DEP_2) | instskip(NEXT) | instid1(VALU_DEP_1)
	v_and_b32_e32 v66, 0x80000000, v66
	v_or3_b32 v32, v32, v66, v67
.LBB2_4597:                             ;   in Loop: Header=BB2_4419 Depth=2
	s_or_b32 exec_lo, exec_lo, s11
.LBB2_4598:                             ;   in Loop: Header=BB2_4419 Depth=2
	s_delay_alu instid0(SALU_CYCLE_1)
	s_or_b32 exec_lo, exec_lo, s10
.LBB2_4599:                             ;   in Loop: Header=BB2_4419 Depth=2
	s_delay_alu instid0(SALU_CYCLE_1) | instskip(NEXT) | instid1(VALU_DEP_1)
	s_or_b32 exec_lo, exec_lo, s7
	v_mul_f32_e32 v66, s29, v32
                                        ; implicit-def: $vgpr83
	s_mov_b32 s7, exec_lo
	s_delay_alu instid0(VALU_DEP_1) | instskip(SKIP_1) | instid1(VALU_DEP_2)
	v_and_b32_e32 v32, 0x7f800000, v66
	v_lshrrev_b32_e32 v67, 24, v66
	v_cmpx_ne_u64_e32 0x7f800000, v[32:33]
	s_xor_b32 s10, exec_lo, s7
	s_cbranch_execz .LBB2_4617
; %bb.4600:                             ;   in Loop: Header=BB2_4419 Depth=2
	v_and_b32_e32 v32, 0x7fffffff, v66
	v_and_b32_e32 v80, 0x80, v67
                                        ; implicit-def: $vgpr83
	s_mov_b32 s7, exec_lo
	s_delay_alu instid0(VALU_DEP_2)
	v_cmpx_gt_u64_e32 0x43e00001, v[32:33]
	s_xor_b32 s11, exec_lo, s7
	s_cbranch_execz .LBB2_4614
; %bb.4601:                             ;   in Loop: Header=BB2_4419 Depth=2
	v_mov_b32_e32 v83, 0
	s_mov_b32 s40, exec_lo
	v_cmpx_ne_u32_e32 0, v66
	s_cbranch_execz .LBB2_4613
; %bb.4602:                             ;   in Loop: Header=BB2_4419 Depth=2
	v_bfe_u32 v81, v66, 23, 8
	s_delay_alu instid0(VALU_DEP_1) | instskip(SKIP_1) | instid1(VALU_DEP_2)
	v_sub_nc_u32_e32 v32, 0x79, v81
	v_cmp_gt_u32_e32 vcc_lo, 0x7a, v81
	v_cndmask_b32_e32 v32, 0, v32, vcc_lo
	v_cmp_eq_u32_e32 vcc_lo, 0, v81
	s_delay_alu instid0(VALU_DEP_2) | instskip(SKIP_1) | instid1(VALU_DEP_2)
	v_cndmask_b32_e64 v83, v32, 0x78, vcc_lo
	v_and_b32_e32 v32, 0x7fffff, v66
	v_add_nc_u32_e32 v66, 20, v83
	s_delay_alu instid0(VALU_DEP_2) | instskip(SKIP_1) | instid1(VALU_DEP_3)
	v_or_b32_e32 v68, 0x800000, v32
	v_add_nc_u32_e32 v69, 19, v83
	v_lshlrev_b64_e64 v[66:67], v66, -1
	s_delay_alu instid0(VALU_DEP_3) | instskip(NEXT) | instid1(VALU_DEP_3)
	v_cndmask_b32_e32 v32, v68, v32, vcc_lo
	v_lshlrev_b64_e64 v[68:69], v69, 1
	s_delay_alu instid0(VALU_DEP_3) | instskip(NEXT) | instid1(VALU_DEP_3)
	v_bfi_b32 v117, v67, 0, 0
	v_bfi_b32 v116, v66, 0, v32
	v_lshrrev_b64 v[66:67], v83, v[32:33]
	s_delay_alu instid0(VALU_DEP_2) | instskip(NEXT) | instid1(VALU_DEP_2)
	v_cmp_eq_u64_e64 s7, v[116:117], v[68:69]
	v_mov_b64_e32 v[68:69], v[66:67]
	s_and_saveexec_b32 s41, s7
; %bb.4603:                             ;   in Loop: Header=BB2_4419 Depth=2
	v_bfe_u32 v32, v66, 20, 1
	s_delay_alu instid0(VALU_DEP_1) | instskip(NEXT) | instid1(VALU_DEP_1)
	v_add_nc_u64_e32 v[68:69], v[66:67], v[32:33]
	v_add_nc_u64_e32 v[68:69], -1, v[68:69]
; %bb.4604:                             ;   in Loop: Header=BB2_4419 Depth=2
	s_or_b32 exec_lo, exec_lo, s41
	v_add_nc_u32_e32 v32, 0xffffff81, v81
	v_lshrrev_b32_e32 v67, 23, v66
	s_mov_b32 s7, exec_lo
	s_delay_alu instid0(VALU_DEP_2) | instskip(NEXT) | instid1(VALU_DEP_1)
	v_cndmask_b32_e64 v32, v32, 0xffffff82, vcc_lo
	v_add3_u32 v69, v83, v32, v67
	v_and_b32_e32 v32, 0xfffff, v68
                                        ; implicit-def: $vgpr68
	s_delay_alu instid0(VALU_DEP_1) | instskip(NEXT) | instid1(VALU_DEP_1)
	v_dual_add_nc_u32 v81, 6, v69 :: v_dual_add_nc_u32 v32, v32, v66
                                        ; implicit-def: $vgpr66_vgpr67
	v_cmpx_ne_u32_e32 0, v81
	s_xor_b32 s7, exec_lo, s7
; %bb.4605:                             ;   in Loop: Header=BB2_4419 Depth=2
	s_delay_alu instid0(VALU_DEP_2) | instskip(SKIP_1) | instid1(VALU_DEP_1)
	v_cmp_lt_u64_e32 vcc_lo, 0xffffff, v[32:33]
	v_add_nc_u32_e32 v66, 7, v69
	v_cndmask_b32_e32 v68, v81, v66, vcc_lo
	v_cndmask_b32_e64 v66, 0, 1, vcc_lo
	s_delay_alu instid0(VALU_DEP_1)
	v_lshrrev_b64 v[66:67], v66, v[32:33]
; %bb.4606:                             ;   in Loop: Header=BB2_4419 Depth=2
	s_and_not1_saveexec_b32 s7, s7
; %bb.4607:                             ;   in Loop: Header=BB2_4419 Depth=2
	v_mov_b64_e32 v[66:67], v[32:33]
	v_bfe_u32 v68, v32, 23, 1
; %bb.4608:                             ;   in Loop: Header=BB2_4419 Depth=2
	s_or_b32 exec_lo, exec_lo, s7
	s_delay_alu instid0(VALU_DEP_2) | instskip(NEXT) | instid1(VALU_DEP_2)
	v_lshrrev_b64 v[66:67], 20, v[66:67]
	v_cmp_gt_i32_e32 vcc_lo, 16, v68
	v_cmp_ne_u32_e64 s7, 0, v68
                                        ; implicit-def: $vgpr83
	s_delay_alu instid0(VALU_DEP_3) | instskip(NEXT) | instid1(VALU_DEP_1)
	v_dual_cndmask_b32 v67, 0, v67 :: v_dual_cndmask_b32 v66, 7, v66
	v_cmp_ne_u64_e32 vcc_lo, 0, v[66:67]
	s_or_b32 s7, s7, vcc_lo
	s_delay_alu instid0(SALU_CYCLE_1) | instskip(NEXT) | instid1(SALU_CYCLE_1)
	s_and_saveexec_b32 s41, s7
	s_xor_b32 s7, exec_lo, s41
; %bb.4609:                             ;   in Loop: Header=BB2_4419 Depth=2
	v_min_i32_e32 v32, 15, v68
	s_delay_alu instid0(VALU_DEP_1) | instskip(NEXT) | instid1(VALU_DEP_1)
	v_lshl_or_b32 v32, v32, 3, v80
                                        ; implicit-def: $vgpr80
	v_and_or_b32 v83, v66, 7, v32
; %bb.4610:                             ;   in Loop: Header=BB2_4419 Depth=2
	s_and_not1_saveexec_b32 s7, s7
; %bb.4611:                             ;   in Loop: Header=BB2_4419 Depth=2
	v_mov_b32_e32 v83, v80
; %bb.4612:                             ;   in Loop: Header=BB2_4419 Depth=2
	s_or_b32 exec_lo, exec_lo, s7
.LBB2_4613:                             ;   in Loop: Header=BB2_4419 Depth=2
	s_delay_alu instid0(SALU_CYCLE_1)
	s_or_b32 exec_lo, exec_lo, s40
                                        ; implicit-def: $vgpr80
.LBB2_4614:                             ;   in Loop: Header=BB2_4419 Depth=2
	s_and_not1_saveexec_b32 s7, s11
; %bb.4615:                             ;   in Loop: Header=BB2_4419 Depth=2
	v_or_b32_e32 v83, 0x7e, v80
; %bb.4616:                             ;   in Loop: Header=BB2_4419 Depth=2
	s_or_b32 exec_lo, exec_lo, s7
                                        ; implicit-def: $vgpr67
.LBB2_4617:                             ;   in Loop: Header=BB2_4419 Depth=2
	s_and_not1_saveexec_b32 s7, s10
; %bb.4618:                             ;   in Loop: Header=BB2_4419 Depth=2
	v_or_b32_e32 v83, 0x7f, v67
; %bb.4619:                             ;   in Loop: Header=BB2_4419 Depth=2
	s_or_b32 exec_lo, exec_lo, s7
	flat_load_u8 v66, v[10:11] offset:224 th:TH_LOAD_NT
	v_mov_b32_e32 v32, 0
	s_mov_b32 s7, exec_lo
	s_wait_loadcnt_dscnt 0x0
	v_cmpx_ne_u16_e32 0, v66
	s_cbranch_execz .LBB2_4627
; %bb.4620:                             ;   in Loop: Header=BB2_4419 Depth=2
	v_bfrev_b32_e32 v32, 1
	s_mov_b32 s10, exec_lo
	v_cmpx_ne_u16_e32 0x80, v66
	s_cbranch_execz .LBB2_4626
; %bb.4621:                             ;   in Loop: Header=BB2_4419 Depth=2
	v_and_b32_e32 v67, 0xffff, v66
	v_mov_b32_e32 v32, 0x7f800001
	s_mov_b32 s11, exec_lo
	s_delay_alu instid0(VALU_DEP_2) | instskip(NEXT) | instid1(VALU_DEP_1)
	v_and_b32_e32 v68, 0x7f, v67
	v_cmpx_ne_u32_e32 0x7f, v68
	s_cbranch_execz .LBB2_4625
; %bb.4622:                             ;   in Loop: Header=BB2_4419 Depth=2
	v_dual_lshrrev_b32 v67, 3, v68 :: v_dual_bitop2_b32 v32, 7, v67 bitop3:0x40
	s_mov_b32 s40, exec_lo
	v_cmpx_gt_u32_e32 8, v68
; %bb.4623:                             ;   in Loop: Header=BB2_4419 Depth=2
	s_delay_alu instid0(VALU_DEP_2) | instskip(NEXT) | instid1(VALU_DEP_1)
	v_clz_i32_u32_e32 v67, v32
	v_min_u32_e32 v67, 32, v67
	s_delay_alu instid0(VALU_DEP_1) | instskip(NEXT) | instid1(VALU_DEP_1)
	v_subrev_nc_u32_e32 v68, 28, v67
	v_lshlrev_b64_e32 v[68:69], v68, v[32:33]
	s_delay_alu instid0(VALU_DEP_1)
	v_dual_sub_nc_u32 v67, 29, v67 :: v_dual_bitop2_b32 v32, 7, v68 bitop3:0x40
; %bb.4624:                             ;   in Loop: Header=BB2_4419 Depth=2
	s_or_b32 exec_lo, exec_lo, s40
	s_delay_alu instid0(VALU_DEP_1) | instskip(NEXT) | instid1(VALU_DEP_2)
	v_dual_lshlrev_b32 v66, 24, v66 :: v_dual_lshlrev_b32 v32, 20, v32
	v_lshl_add_u32 v67, v67, 23, 0x3c000000
	s_delay_alu instid0(VALU_DEP_2) | instskip(NEXT) | instid1(VALU_DEP_1)
	v_and_b32_e32 v66, 0x80000000, v66
	v_or3_b32 v32, v32, v66, v67
.LBB2_4625:                             ;   in Loop: Header=BB2_4419 Depth=2
	s_or_b32 exec_lo, exec_lo, s11
.LBB2_4626:                             ;   in Loop: Header=BB2_4419 Depth=2
	s_delay_alu instid0(SALU_CYCLE_1)
	s_or_b32 exec_lo, exec_lo, s10
.LBB2_4627:                             ;   in Loop: Header=BB2_4419 Depth=2
	s_delay_alu instid0(SALU_CYCLE_1) | instskip(NEXT) | instid1(VALU_DEP_1)
	s_or_b32 exec_lo, exec_lo, s7
	v_mul_f32_e32 v66, s29, v32
                                        ; implicit-def: $vgpr80
	s_mov_b32 s7, exec_lo
	s_delay_alu instid0(VALU_DEP_1) | instskip(SKIP_1) | instid1(VALU_DEP_2)
	v_and_b32_e32 v32, 0x7f800000, v66
	v_lshrrev_b32_e32 v67, 24, v66
	v_cmpx_ne_u64_e32 0x7f800000, v[32:33]
	s_xor_b32 s10, exec_lo, s7
	s_cbranch_execz .LBB2_4645
; %bb.4628:                             ;   in Loop: Header=BB2_4419 Depth=2
	v_and_b32_e32 v32, 0x7fffffff, v66
	v_and_b32_e32 v81, 0x80, v67
                                        ; implicit-def: $vgpr80
	s_mov_b32 s7, exec_lo
	s_delay_alu instid0(VALU_DEP_2)
	v_cmpx_gt_u64_e32 0x43e00001, v[32:33]
	s_xor_b32 s11, exec_lo, s7
	s_cbranch_execz .LBB2_4642
; %bb.4629:                             ;   in Loop: Header=BB2_4419 Depth=2
	v_mov_b32_e32 v80, 0
	s_mov_b32 s29, exec_lo
	v_cmpx_ne_u32_e32 0, v66
	s_cbranch_execz .LBB2_4641
; %bb.4630:                             ;   in Loop: Header=BB2_4419 Depth=2
	v_bfe_u32 v80, v66, 23, 8
	s_delay_alu instid0(VALU_DEP_1) | instskip(SKIP_1) | instid1(VALU_DEP_2)
	v_sub_nc_u32_e32 v32, 0x79, v80
	v_cmp_gt_u32_e32 vcc_lo, 0x7a, v80
	v_cndmask_b32_e32 v32, 0, v32, vcc_lo
	v_cmp_eq_u32_e32 vcc_lo, 0, v80
	s_delay_alu instid0(VALU_DEP_2) | instskip(SKIP_1) | instid1(VALU_DEP_2)
	v_cndmask_b32_e64 v113, v32, 0x78, vcc_lo
	v_and_b32_e32 v32, 0x7fffff, v66
	v_add_nc_u32_e32 v66, 20, v113
	s_delay_alu instid0(VALU_DEP_2) | instskip(SKIP_1) | instid1(VALU_DEP_3)
	v_or_b32_e32 v68, 0x800000, v32
	v_add_nc_u32_e32 v69, 19, v113
	v_lshlrev_b64_e64 v[66:67], v66, -1
	s_delay_alu instid0(VALU_DEP_3) | instskip(NEXT) | instid1(VALU_DEP_3)
	v_cndmask_b32_e32 v32, v68, v32, vcc_lo
	v_lshlrev_b64_e64 v[68:69], v69, 1
	s_delay_alu instid0(VALU_DEP_3) | instskip(NEXT) | instid1(VALU_DEP_3)
	v_bfi_b32 v117, v67, 0, 0
	v_bfi_b32 v116, v66, 0, v32
	v_lshrrev_b64 v[66:67], v113, v[32:33]
	s_delay_alu instid0(VALU_DEP_2) | instskip(NEXT) | instid1(VALU_DEP_2)
	v_cmp_eq_u64_e64 s7, v[116:117], v[68:69]
	v_mov_b64_e32 v[68:69], v[66:67]
	s_and_saveexec_b32 s40, s7
; %bb.4631:                             ;   in Loop: Header=BB2_4419 Depth=2
	v_bfe_u32 v32, v66, 20, 1
	s_delay_alu instid0(VALU_DEP_1) | instskip(NEXT) | instid1(VALU_DEP_1)
	v_add_nc_u64_e32 v[68:69], v[66:67], v[32:33]
	v_add_nc_u64_e32 v[68:69], -1, v[68:69]
; %bb.4632:                             ;   in Loop: Header=BB2_4419 Depth=2
	s_or_b32 exec_lo, exec_lo, s40
	v_add_nc_u32_e32 v32, 0xffffff81, v80
	v_lshrrev_b32_e32 v67, 23, v66
	s_mov_b32 s7, exec_lo
	s_delay_alu instid0(VALU_DEP_2) | instskip(NEXT) | instid1(VALU_DEP_1)
	v_cndmask_b32_e64 v32, v32, 0xffffff82, vcc_lo
	v_add3_u32 v69, v113, v32, v67
	v_and_b32_e32 v32, 0xfffff, v68
                                        ; implicit-def: $vgpr68
	s_delay_alu instid0(VALU_DEP_1) | instskip(NEXT) | instid1(VALU_DEP_1)
	v_dual_add_nc_u32 v80, 6, v69 :: v_dual_add_nc_u32 v32, v32, v66
                                        ; implicit-def: $vgpr66_vgpr67
	v_cmpx_ne_u32_e32 0, v80
	s_xor_b32 s7, exec_lo, s7
; %bb.4633:                             ;   in Loop: Header=BB2_4419 Depth=2
	s_delay_alu instid0(VALU_DEP_2) | instskip(SKIP_1) | instid1(VALU_DEP_1)
	v_cmp_lt_u64_e32 vcc_lo, 0xffffff, v[32:33]
	v_add_nc_u32_e32 v66, 7, v69
	v_cndmask_b32_e32 v68, v80, v66, vcc_lo
	v_cndmask_b32_e64 v66, 0, 1, vcc_lo
	s_delay_alu instid0(VALU_DEP_1)
	v_lshrrev_b64 v[66:67], v66, v[32:33]
; %bb.4634:                             ;   in Loop: Header=BB2_4419 Depth=2
	s_and_not1_saveexec_b32 s7, s7
; %bb.4635:                             ;   in Loop: Header=BB2_4419 Depth=2
	v_mov_b64_e32 v[66:67], v[32:33]
	v_bfe_u32 v68, v32, 23, 1
; %bb.4636:                             ;   in Loop: Header=BB2_4419 Depth=2
	s_or_b32 exec_lo, exec_lo, s7
	s_delay_alu instid0(VALU_DEP_2) | instskip(NEXT) | instid1(VALU_DEP_2)
	v_lshrrev_b64 v[66:67], 20, v[66:67]
	v_cmp_gt_i32_e32 vcc_lo, 16, v68
	v_cmp_ne_u32_e64 s7, 0, v68
                                        ; implicit-def: $vgpr80
	s_delay_alu instid0(VALU_DEP_3) | instskip(NEXT) | instid1(VALU_DEP_1)
	v_dual_cndmask_b32 v67, 0, v67 :: v_dual_cndmask_b32 v66, 7, v66
	v_cmp_ne_u64_e32 vcc_lo, 0, v[66:67]
	s_or_b32 s7, s7, vcc_lo
	s_delay_alu instid0(SALU_CYCLE_1) | instskip(NEXT) | instid1(SALU_CYCLE_1)
	s_and_saveexec_b32 s40, s7
	s_xor_b32 s7, exec_lo, s40
; %bb.4637:                             ;   in Loop: Header=BB2_4419 Depth=2
	v_min_i32_e32 v32, 15, v68
	s_delay_alu instid0(VALU_DEP_1) | instskip(NEXT) | instid1(VALU_DEP_1)
	v_lshl_or_b32 v32, v32, 3, v81
                                        ; implicit-def: $vgpr81
	v_and_or_b32 v80, v66, 7, v32
; %bb.4638:                             ;   in Loop: Header=BB2_4419 Depth=2
	s_and_not1_saveexec_b32 s7, s7
; %bb.4639:                             ;   in Loop: Header=BB2_4419 Depth=2
	v_mov_b32_e32 v80, v81
; %bb.4640:                             ;   in Loop: Header=BB2_4419 Depth=2
	s_or_b32 exec_lo, exec_lo, s7
.LBB2_4641:                             ;   in Loop: Header=BB2_4419 Depth=2
	s_delay_alu instid0(SALU_CYCLE_1)
	s_or_b32 exec_lo, exec_lo, s29
                                        ; implicit-def: $vgpr81
.LBB2_4642:                             ;   in Loop: Header=BB2_4419 Depth=2
	s_and_not1_saveexec_b32 s7, s11
; %bb.4643:                             ;   in Loop: Header=BB2_4419 Depth=2
	v_or_b32_e32 v80, 0x7e, v81
; %bb.4644:                             ;   in Loop: Header=BB2_4419 Depth=2
	s_or_b32 exec_lo, exec_lo, s7
                                        ; implicit-def: $vgpr67
.LBB2_4645:                             ;   in Loop: Header=BB2_4419 Depth=2
	s_and_not1_saveexec_b32 s7, s10
; %bb.4646:                             ;   in Loop: Header=BB2_4419 Depth=2
	v_or_b32_e32 v80, 0x7f, v67
; %bb.4647:                             ;   in Loop: Header=BB2_4419 Depth=2
	s_or_b32 exec_lo, exec_lo, s7
	s_clause 0x7
	flat_load_u8 v66, v[12:13] th:TH_LOAD_NT
	flat_load_u8 v119, v[12:13] offset:32 th:TH_LOAD_NT
	flat_load_u8 v118, v[12:13] offset:64 th:TH_LOAD_NT
	;; [unrolled: 1-line block ×7, first 2 shown]
	v_and_b32_e32 v32, 0xff, v82
	v_dual_mov_b32 v67, 0 :: v_dual_mov_b32 v68, 0
	s_mov_b32 s7, exec_lo
	s_wait_xcnt 0x0
	s_delay_alu instid0(VALU_DEP_2)
	v_cmpx_ne_u16_e32 0, v32
	s_cbranch_execz .LBB2_4655
; %bb.4648:                             ;   in Loop: Header=BB2_4419 Depth=2
	v_bfrev_b32_e32 v68, 1
	s_mov_b32 s10, exec_lo
	v_cmpx_ne_u16_e32 0x80, v32
	s_cbranch_execz .LBB2_4654
; %bb.4649:                             ;   in Loop: Header=BB2_4419 Depth=2
	v_and_b32_e32 v69, 0x7f, v82
	v_mov_b32_e32 v68, 0x7f800001
	s_mov_b32 s11, exec_lo
	s_delay_alu instid0(VALU_DEP_2)
	v_cmpx_ne_u32_e32 0x7f, v69
	s_cbranch_execz .LBB2_4653
; %bb.4650:                             ;   in Loop: Header=BB2_4419 Depth=2
	v_dual_lshrrev_b32 v68, 3, v69 :: v_dual_bitop2_b32 v32, 7, v32 bitop3:0x40
	s_mov_b32 s29, exec_lo
	v_cmpx_gt_u32_e32 8, v69
; %bb.4651:                             ;   in Loop: Header=BB2_4419 Depth=2
	s_delay_alu instid0(VALU_DEP_2) | instskip(NEXT) | instid1(VALU_DEP_1)
	v_clz_i32_u32_e32 v68, v32
	v_min_u32_e32 v68, 32, v68
	s_delay_alu instid0(VALU_DEP_1) | instskip(SKIP_1) | instid1(VALU_DEP_2)
	v_subrev_nc_u32_e32 v69, 28, v68
	v_sub_nc_u32_e32 v68, 29, v68
	v_lshlrev_b64_e32 v[40:41], v69, v[32:33]
	s_delay_alu instid0(VALU_DEP_1)
	v_and_b32_e32 v32, 7, v40
; %bb.4652:                             ;   in Loop: Header=BB2_4419 Depth=2
	s_or_b32 exec_lo, exec_lo, s29
	s_delay_alu instid0(VALU_DEP_1) | instskip(SKIP_1) | instid1(VALU_DEP_2)
	v_dual_lshlrev_b32 v69, 24, v82 :: v_dual_lshlrev_b32 v32, 20, v32
	v_lshl_add_u32 v68, v68, 23, 0x3c000000
	v_and_b32_e32 v69, 0x80000000, v69
	s_delay_alu instid0(VALU_DEP_1)
	v_or3_b32 v68, v32, v69, v68
.LBB2_4653:                             ;   in Loop: Header=BB2_4419 Depth=2
	s_or_b32 exec_lo, exec_lo, s11
.LBB2_4654:                             ;   in Loop: Header=BB2_4419 Depth=2
	s_delay_alu instid0(SALU_CYCLE_1)
	s_or_b32 exec_lo, exec_lo, s10
.LBB2_4655:                             ;   in Loop: Header=BB2_4419 Depth=2
	s_delay_alu instid0(SALU_CYCLE_1) | instskip(SKIP_3) | instid1(VALU_DEP_1)
	s_or_b32 exec_lo, exec_lo, s7
	s_wait_loadcnt_dscnt 0x707
	v_and_b32_e32 v32, 0xff, v66
	s_mov_b32 s7, exec_lo
	v_cmpx_ne_u16_e32 0, v32
	s_cbranch_execz .LBB2_4663
; %bb.4656:                             ;   in Loop: Header=BB2_4419 Depth=2
	v_bfrev_b32_e32 v67, 1
	s_mov_b32 s10, exec_lo
	v_cmpx_ne_u16_e32 0x80, v32
	s_cbranch_execz .LBB2_4662
; %bb.4657:                             ;   in Loop: Header=BB2_4419 Depth=2
	v_and_b32_e32 v69, 0x7f, v66
	v_mov_b32_e32 v67, 0x7f800001
	s_mov_b32 s11, exec_lo
	s_delay_alu instid0(VALU_DEP_2)
	v_cmpx_ne_u32_e32 0x7f, v69
	s_cbranch_execz .LBB2_4661
; %bb.4658:                             ;   in Loop: Header=BB2_4419 Depth=2
	v_dual_lshrrev_b32 v67, 3, v69 :: v_dual_bitop2_b32 v32, 7, v32 bitop3:0x40
	s_mov_b32 s29, exec_lo
	v_cmpx_gt_u32_e32 8, v69
; %bb.4659:                             ;   in Loop: Header=BB2_4419 Depth=2
	s_delay_alu instid0(VALU_DEP_2) | instskip(NEXT) | instid1(VALU_DEP_1)
	v_clz_i32_u32_e32 v67, v32
	v_min_u32_e32 v67, 32, v67
	s_delay_alu instid0(VALU_DEP_1) | instskip(NEXT) | instid1(VALU_DEP_1)
	v_subrev_nc_u32_e32 v69, 28, v67
	v_lshlrev_b64_e32 v[40:41], v69, v[32:33]
	s_delay_alu instid0(VALU_DEP_1)
	v_dual_sub_nc_u32 v67, 29, v67 :: v_dual_bitop2_b32 v32, 7, v40 bitop3:0x40
; %bb.4660:                             ;   in Loop: Header=BB2_4419 Depth=2
	s_or_b32 exec_lo, exec_lo, s29
	s_delay_alu instid0(VALU_DEP_1) | instskip(NEXT) | instid1(VALU_DEP_2)
	v_dual_lshlrev_b32 v66, 24, v66 :: v_dual_lshlrev_b32 v32, 20, v32
	v_lshl_add_u32 v67, v67, 23, 0x3c000000
	s_delay_alu instid0(VALU_DEP_2) | instskip(NEXT) | instid1(VALU_DEP_1)
	v_and_b32_e32 v66, 0x80000000, v66
	v_or3_b32 v67, v32, v66, v67
.LBB2_4661:                             ;   in Loop: Header=BB2_4419 Depth=2
	s_or_b32 exec_lo, exec_lo, s11
.LBB2_4662:                             ;   in Loop: Header=BB2_4419 Depth=2
	s_delay_alu instid0(SALU_CYCLE_1)
	s_or_b32 exec_lo, exec_lo, s10
.LBB2_4663:                             ;   in Loop: Header=BB2_4419 Depth=2
	s_delay_alu instid0(SALU_CYCLE_1) | instskip(NEXT) | instid1(VALU_DEP_1)
	s_or_b32 exec_lo, exec_lo, s7
	v_add_f32_e32 v66, v68, v67
                                        ; implicit-def: $vgpr82
	s_mov_b32 s7, exec_lo
	s_delay_alu instid0(VALU_DEP_1) | instskip(SKIP_1) | instid1(VALU_DEP_2)
	v_and_b32_e32 v32, 0x7f800000, v66
	v_lshrrev_b32_e32 v67, 24, v66
	v_cmpx_ne_u64_e32 0x7f800000, v[32:33]
	s_xor_b32 s10, exec_lo, s7
	s_cbranch_execz .LBB2_4681
; %bb.4664:                             ;   in Loop: Header=BB2_4419 Depth=2
	v_and_b32_e32 v32, 0x7fffffff, v66
	v_and_b32_e32 v40, 0x80, v67
                                        ; implicit-def: $vgpr82
	s_mov_b32 s7, exec_lo
	s_delay_alu instid0(VALU_DEP_2)
	v_cmpx_gt_u64_e32 0x43e00001, v[32:33]
	s_xor_b32 s11, exec_lo, s7
	s_cbranch_execz .LBB2_4678
; %bb.4665:                             ;   in Loop: Header=BB2_4419 Depth=2
	v_mov_b32_e32 v82, 0
	s_mov_b32 s29, exec_lo
	v_cmpx_ne_u32_e32 0, v66
	s_cbranch_execz .LBB2_4677
; %bb.4666:                             ;   in Loop: Header=BB2_4419 Depth=2
	v_bfe_u32 v82, v66, 23, 8
	s_delay_alu instid0(VALU_DEP_1) | instskip(SKIP_1) | instid1(VALU_DEP_2)
	v_sub_nc_u32_e32 v32, 0x79, v82
	v_cmp_gt_u32_e32 vcc_lo, 0x7a, v82
	v_cndmask_b32_e32 v32, 0, v32, vcc_lo
	v_cmp_eq_u32_e32 vcc_lo, 0, v82
	s_delay_alu instid0(VALU_DEP_2) | instskip(SKIP_1) | instid1(VALU_DEP_2)
	v_cndmask_b32_e64 v41, v32, 0x78, vcc_lo
	v_and_b32_e32 v32, 0x7fffff, v66
	v_add_nc_u32_e32 v66, 20, v41
	s_delay_alu instid0(VALU_DEP_2) | instskip(SKIP_1) | instid1(VALU_DEP_3)
	v_or_b32_e32 v68, 0x800000, v32
	v_add_nc_u32_e32 v69, 19, v41
	v_lshlrev_b64_e64 v[66:67], v66, -1
	s_delay_alu instid0(VALU_DEP_3) | instskip(NEXT) | instid1(VALU_DEP_3)
	v_cndmask_b32_e32 v32, v68, v32, vcc_lo
	v_lshlrev_b64_e64 v[68:69], v69, 1
	s_delay_alu instid0(VALU_DEP_3) | instskip(NEXT) | instid1(VALU_DEP_3)
	v_bfi_b32 v43, v67, 0, 0
	v_bfi_b32 v42, v66, 0, v32
	v_lshrrev_b64 v[66:67], v41, v[32:33]
	s_delay_alu instid0(VALU_DEP_2) | instskip(NEXT) | instid1(VALU_DEP_2)
	v_cmp_eq_u64_e64 s7, v[42:43], v[68:69]
	v_mov_b64_e32 v[68:69], v[66:67]
	s_and_saveexec_b32 s40, s7
; %bb.4667:                             ;   in Loop: Header=BB2_4419 Depth=2
	v_bfe_u32 v32, v66, 20, 1
	s_delay_alu instid0(VALU_DEP_1) | instskip(NEXT) | instid1(VALU_DEP_1)
	v_add_nc_u64_e32 v[68:69], v[66:67], v[32:33]
	v_add_nc_u64_e32 v[68:69], -1, v[68:69]
; %bb.4668:                             ;   in Loop: Header=BB2_4419 Depth=2
	s_or_b32 exec_lo, exec_lo, s40
	v_add_nc_u32_e32 v32, 0xffffff81, v82
	v_lshrrev_b32_e32 v67, 23, v66
	s_mov_b32 s7, exec_lo
	s_delay_alu instid0(VALU_DEP_2) | instskip(NEXT) | instid1(VALU_DEP_1)
	v_cndmask_b32_e64 v32, v32, 0xffffff82, vcc_lo
	v_add3_u32 v69, v41, v32, v67
	v_and_b32_e32 v32, 0xfffff, v68
                                        ; implicit-def: $vgpr68
	s_delay_alu instid0(VALU_DEP_1) | instskip(NEXT) | instid1(VALU_DEP_1)
	v_dual_add_nc_u32 v82, 6, v69 :: v_dual_add_nc_u32 v32, v32, v66
                                        ; implicit-def: $vgpr66_vgpr67
	v_cmpx_ne_u32_e32 0, v82
	s_xor_b32 s7, exec_lo, s7
; %bb.4669:                             ;   in Loop: Header=BB2_4419 Depth=2
	s_delay_alu instid0(VALU_DEP_2) | instskip(SKIP_1) | instid1(VALU_DEP_1)
	v_cmp_lt_u64_e32 vcc_lo, 0xffffff, v[32:33]
	v_add_nc_u32_e32 v66, 7, v69
	v_cndmask_b32_e32 v68, v82, v66, vcc_lo
	v_cndmask_b32_e64 v66, 0, 1, vcc_lo
	s_delay_alu instid0(VALU_DEP_1)
	v_lshrrev_b64 v[66:67], v66, v[32:33]
; %bb.4670:                             ;   in Loop: Header=BB2_4419 Depth=2
	s_and_not1_saveexec_b32 s7, s7
; %bb.4671:                             ;   in Loop: Header=BB2_4419 Depth=2
	v_mov_b64_e32 v[66:67], v[32:33]
	v_bfe_u32 v68, v32, 23, 1
; %bb.4672:                             ;   in Loop: Header=BB2_4419 Depth=2
	s_or_b32 exec_lo, exec_lo, s7
	s_delay_alu instid0(VALU_DEP_2) | instskip(NEXT) | instid1(VALU_DEP_2)
	v_lshrrev_b64 v[66:67], 20, v[66:67]
	v_cmp_gt_i32_e32 vcc_lo, 16, v68
	v_cmp_ne_u32_e64 s7, 0, v68
                                        ; implicit-def: $vgpr82
	s_delay_alu instid0(VALU_DEP_3) | instskip(NEXT) | instid1(VALU_DEP_1)
	v_dual_cndmask_b32 v67, 0, v67 :: v_dual_cndmask_b32 v66, 7, v66
	v_cmp_ne_u64_e32 vcc_lo, 0, v[66:67]
	s_or_b32 s7, s7, vcc_lo
	s_delay_alu instid0(SALU_CYCLE_1) | instskip(NEXT) | instid1(SALU_CYCLE_1)
	s_and_saveexec_b32 s40, s7
	s_xor_b32 s7, exec_lo, s40
; %bb.4673:                             ;   in Loop: Header=BB2_4419 Depth=2
	v_min_i32_e32 v32, 15, v68
	s_delay_alu instid0(VALU_DEP_1) | instskip(NEXT) | instid1(VALU_DEP_1)
	v_lshl_or_b32 v32, v32, 3, v40
                                        ; implicit-def: $vgpr40
	v_and_or_b32 v82, v66, 7, v32
; %bb.4674:                             ;   in Loop: Header=BB2_4419 Depth=2
	s_and_not1_saveexec_b32 s7, s7
; %bb.4675:                             ;   in Loop: Header=BB2_4419 Depth=2
	v_mov_b32_e32 v82, v40
; %bb.4676:                             ;   in Loop: Header=BB2_4419 Depth=2
	s_or_b32 exec_lo, exec_lo, s7
.LBB2_4677:                             ;   in Loop: Header=BB2_4419 Depth=2
	s_delay_alu instid0(SALU_CYCLE_1)
	s_or_b32 exec_lo, exec_lo, s29
                                        ; implicit-def: $vgpr40
.LBB2_4678:                             ;   in Loop: Header=BB2_4419 Depth=2
	s_and_not1_saveexec_b32 s7, s11
; %bb.4679:                             ;   in Loop: Header=BB2_4419 Depth=2
	v_or_b32_e32 v82, 0x7e, v40
; %bb.4680:                             ;   in Loop: Header=BB2_4419 Depth=2
	s_or_b32 exec_lo, exec_lo, s7
                                        ; implicit-def: $vgpr67
.LBB2_4681:                             ;   in Loop: Header=BB2_4419 Depth=2
	s_and_not1_saveexec_b32 s7, s10
; %bb.4682:                             ;   in Loop: Header=BB2_4419 Depth=2
	v_or_b32_e32 v82, 0x7f, v67
; %bb.4683:                             ;   in Loop: Header=BB2_4419 Depth=2
	s_or_b32 exec_lo, exec_lo, s7
	v_and_b32_e32 v32, 0xff, v114
	v_dual_mov_b32 v66, 0 :: v_dual_mov_b32 v67, 0
	s_mov_b32 s7, exec_lo
	s_delay_alu instid0(VALU_DEP_2)
	v_cmpx_ne_u16_e32 0, v32
	s_cbranch_execz .LBB2_4691
; %bb.4684:                             ;   in Loop: Header=BB2_4419 Depth=2
	v_bfrev_b32_e32 v67, 1
	s_mov_b32 s10, exec_lo
	v_cmpx_ne_u16_e32 0x80, v32
	s_cbranch_execz .LBB2_4690
; %bb.4685:                             ;   in Loop: Header=BB2_4419 Depth=2
	v_and_b32_e32 v68, 0x7f, v114
	v_mov_b32_e32 v67, 0x7f800001
	s_mov_b32 s11, exec_lo
	s_delay_alu instid0(VALU_DEP_2)
	v_cmpx_ne_u32_e32 0x7f, v68
	s_cbranch_execz .LBB2_4689
; %bb.4686:                             ;   in Loop: Header=BB2_4419 Depth=2
	v_and_b32_e32 v32, 7, v32
	v_lshrrev_b32_e32 v67, 3, v68
	s_mov_b32 s29, exec_lo
	v_cmpx_gt_u32_e32 8, v68
; %bb.4687:                             ;   in Loop: Header=BB2_4419 Depth=2
	s_delay_alu instid0(VALU_DEP_3) | instskip(NEXT) | instid1(VALU_DEP_1)
	v_clz_i32_u32_e32 v67, v32
	v_min_u32_e32 v67, 32, v67
	s_delay_alu instid0(VALU_DEP_1) | instskip(NEXT) | instid1(VALU_DEP_1)
	v_subrev_nc_u32_e32 v68, 28, v67
	v_lshlrev_b64_e32 v[68:69], v68, v[32:33]
	s_delay_alu instid0(VALU_DEP_1)
	v_dual_sub_nc_u32 v67, 29, v67 :: v_dual_bitop2_b32 v32, 7, v68 bitop3:0x40
; %bb.4688:                             ;   in Loop: Header=BB2_4419 Depth=2
	s_or_b32 exec_lo, exec_lo, s29
	s_delay_alu instid0(VALU_DEP_1) | instskip(NEXT) | instid1(VALU_DEP_2)
	v_dual_lshlrev_b32 v68, 24, v114 :: v_dual_lshlrev_b32 v32, 20, v32
	v_lshl_add_u32 v67, v67, 23, 0x3c000000
	s_delay_alu instid0(VALU_DEP_2) | instskip(NEXT) | instid1(VALU_DEP_1)
	v_and_b32_e32 v68, 0x80000000, v68
	v_or3_b32 v67, v32, v68, v67
.LBB2_4689:                             ;   in Loop: Header=BB2_4419 Depth=2
	s_or_b32 exec_lo, exec_lo, s11
.LBB2_4690:                             ;   in Loop: Header=BB2_4419 Depth=2
	s_delay_alu instid0(SALU_CYCLE_1)
	s_or_b32 exec_lo, exec_lo, s10
.LBB2_4691:                             ;   in Loop: Header=BB2_4419 Depth=2
	s_delay_alu instid0(SALU_CYCLE_1) | instskip(SKIP_3) | instid1(VALU_DEP_1)
	s_or_b32 exec_lo, exec_lo, s7
	s_wait_loadcnt_dscnt 0x606
	v_and_b32_e32 v32, 0xff, v119
	s_mov_b32 s7, exec_lo
	v_cmpx_ne_u16_e32 0, v32
	s_cbranch_execz .LBB2_4699
; %bb.4692:                             ;   in Loop: Header=BB2_4419 Depth=2
	v_bfrev_b32_e32 v66, 1
	s_mov_b32 s10, exec_lo
	v_cmpx_ne_u16_e32 0x80, v32
	s_cbranch_execz .LBB2_4698
; %bb.4693:                             ;   in Loop: Header=BB2_4419 Depth=2
	v_and_b32_e32 v68, 0x7f, v119
	v_mov_b32_e32 v66, 0x7f800001
	s_mov_b32 s11, exec_lo
	s_delay_alu instid0(VALU_DEP_2)
	v_cmpx_ne_u32_e32 0x7f, v68
	s_cbranch_execz .LBB2_4697
; %bb.4694:                             ;   in Loop: Header=BB2_4419 Depth=2
	v_and_b32_e32 v32, 7, v32
	v_lshrrev_b32_e32 v66, 3, v68
	s_mov_b32 s29, exec_lo
	v_cmpx_gt_u32_e32 8, v68
; %bb.4695:                             ;   in Loop: Header=BB2_4419 Depth=2
	s_delay_alu instid0(VALU_DEP_3) | instskip(NEXT) | instid1(VALU_DEP_1)
	v_clz_i32_u32_e32 v66, v32
	v_min_u32_e32 v66, 32, v66
	s_delay_alu instid0(VALU_DEP_1) | instskip(NEXT) | instid1(VALU_DEP_1)
	v_subrev_nc_u32_e32 v68, 28, v66
	v_lshlrev_b64_e32 v[68:69], v68, v[32:33]
	s_delay_alu instid0(VALU_DEP_1)
	v_dual_sub_nc_u32 v66, 29, v66 :: v_dual_bitop2_b32 v32, 7, v68 bitop3:0x40
; %bb.4696:                             ;   in Loop: Header=BB2_4419 Depth=2
	s_or_b32 exec_lo, exec_lo, s29
	s_delay_alu instid0(VALU_DEP_1) | instskip(NEXT) | instid1(VALU_DEP_2)
	v_dual_lshlrev_b32 v68, 24, v119 :: v_dual_lshlrev_b32 v32, 20, v32
	v_lshl_add_u32 v66, v66, 23, 0x3c000000
	s_delay_alu instid0(VALU_DEP_2) | instskip(NEXT) | instid1(VALU_DEP_1)
	v_and_b32_e32 v68, 0x80000000, v68
	v_or3_b32 v66, v32, v68, v66
.LBB2_4697:                             ;   in Loop: Header=BB2_4419 Depth=2
	s_or_b32 exec_lo, exec_lo, s11
.LBB2_4698:                             ;   in Loop: Header=BB2_4419 Depth=2
	s_delay_alu instid0(SALU_CYCLE_1)
	s_or_b32 exec_lo, exec_lo, s10
.LBB2_4699:                             ;   in Loop: Header=BB2_4419 Depth=2
	s_delay_alu instid0(SALU_CYCLE_1) | instskip(NEXT) | instid1(VALU_DEP_1)
	s_or_b32 exec_lo, exec_lo, s7
	v_add_f32_e32 v66, v67, v66
                                        ; implicit-def: $vgpr114
	s_mov_b32 s7, exec_lo
	s_delay_alu instid0(VALU_DEP_1) | instskip(SKIP_1) | instid1(VALU_DEP_2)
	v_and_b32_e32 v32, 0x7f800000, v66
	v_lshrrev_b32_e32 v67, 24, v66
	v_cmpx_ne_u64_e32 0x7f800000, v[32:33]
	s_xor_b32 s10, exec_lo, s7
	s_cbranch_execz .LBB2_4717
; %bb.4700:                             ;   in Loop: Header=BB2_4419 Depth=2
	v_and_b32_e32 v32, 0x7fffffff, v66
	v_and_b32_e32 v119, 0x80, v67
                                        ; implicit-def: $vgpr114
	s_mov_b32 s7, exec_lo
	s_delay_alu instid0(VALU_DEP_2)
	v_cmpx_gt_u64_e32 0x43e00001, v[32:33]
	s_xor_b32 s11, exec_lo, s7
	s_cbranch_execz .LBB2_4714
; %bb.4701:                             ;   in Loop: Header=BB2_4419 Depth=2
	v_mov_b32_e32 v114, 0
	s_mov_b32 s29, exec_lo
	v_cmpx_ne_u32_e32 0, v66
	s_cbranch_execz .LBB2_4713
; %bb.4702:                             ;   in Loop: Header=BB2_4419 Depth=2
	v_bfe_u32 v114, v66, 23, 8
	s_delay_alu instid0(VALU_DEP_1) | instskip(SKIP_1) | instid1(VALU_DEP_2)
	v_sub_nc_u32_e32 v32, 0x79, v114
	v_cmp_gt_u32_e32 vcc_lo, 0x7a, v114
	v_cndmask_b32_e32 v32, 0, v32, vcc_lo
	v_cmp_eq_u32_e32 vcc_lo, 0, v114
	s_delay_alu instid0(VALU_DEP_2) | instskip(SKIP_1) | instid1(VALU_DEP_2)
	v_cndmask_b32_e64 v40, v32, 0x78, vcc_lo
	v_and_b32_e32 v32, 0x7fffff, v66
	v_dual_add_nc_u32 v66, 20, v40 :: v_dual_add_nc_u32 v69, 19, v40
	s_delay_alu instid0(VALU_DEP_2) | instskip(NEXT) | instid1(VALU_DEP_2)
	v_or_b32_e32 v68, 0x800000, v32
	v_lshlrev_b64_e64 v[66:67], v66, -1
	s_delay_alu instid0(VALU_DEP_2) | instskip(NEXT) | instid1(VALU_DEP_4)
	v_cndmask_b32_e32 v32, v68, v32, vcc_lo
	v_lshlrev_b64_e64 v[68:69], v69, 1
	s_delay_alu instid0(VALU_DEP_3) | instskip(NEXT) | instid1(VALU_DEP_3)
	v_bfi_b32 v43, v67, 0, 0
	v_bfi_b32 v42, v66, 0, v32
	v_lshrrev_b64 v[66:67], v40, v[32:33]
	s_delay_alu instid0(VALU_DEP_2) | instskip(NEXT) | instid1(VALU_DEP_2)
	v_cmp_eq_u64_e64 s7, v[42:43], v[68:69]
	v_mov_b64_e32 v[68:69], v[66:67]
	s_and_saveexec_b32 s40, s7
; %bb.4703:                             ;   in Loop: Header=BB2_4419 Depth=2
	v_bfe_u32 v32, v66, 20, 1
	s_delay_alu instid0(VALU_DEP_1) | instskip(NEXT) | instid1(VALU_DEP_1)
	v_add_nc_u64_e32 v[68:69], v[66:67], v[32:33]
	v_add_nc_u64_e32 v[68:69], -1, v[68:69]
; %bb.4704:                             ;   in Loop: Header=BB2_4419 Depth=2
	s_or_b32 exec_lo, exec_lo, s40
	v_add_nc_u32_e32 v32, 0xffffff81, v114
	v_lshrrev_b32_e32 v67, 23, v66
	s_mov_b32 s7, exec_lo
	s_delay_alu instid0(VALU_DEP_2) | instskip(NEXT) | instid1(VALU_DEP_1)
	v_cndmask_b32_e64 v32, v32, 0xffffff82, vcc_lo
	v_add3_u32 v69, v40, v32, v67
	v_and_b32_e32 v32, 0xfffff, v68
                                        ; implicit-def: $vgpr68
	s_delay_alu instid0(VALU_DEP_1) | instskip(NEXT) | instid1(VALU_DEP_1)
	v_dual_add_nc_u32 v114, 6, v69 :: v_dual_add_nc_u32 v32, v32, v66
                                        ; implicit-def: $vgpr66_vgpr67
	v_cmpx_ne_u32_e32 0, v114
	s_xor_b32 s7, exec_lo, s7
; %bb.4705:                             ;   in Loop: Header=BB2_4419 Depth=2
	s_delay_alu instid0(VALU_DEP_2) | instskip(SKIP_1) | instid1(VALU_DEP_1)
	v_cmp_lt_u64_e32 vcc_lo, 0xffffff, v[32:33]
	v_add_nc_u32_e32 v66, 7, v69
	v_cndmask_b32_e32 v68, v114, v66, vcc_lo
	v_cndmask_b32_e64 v66, 0, 1, vcc_lo
	s_delay_alu instid0(VALU_DEP_1)
	v_lshrrev_b64 v[66:67], v66, v[32:33]
; %bb.4706:                             ;   in Loop: Header=BB2_4419 Depth=2
	s_and_not1_saveexec_b32 s7, s7
; %bb.4707:                             ;   in Loop: Header=BB2_4419 Depth=2
	v_mov_b64_e32 v[66:67], v[32:33]
	v_bfe_u32 v68, v32, 23, 1
; %bb.4708:                             ;   in Loop: Header=BB2_4419 Depth=2
	s_or_b32 exec_lo, exec_lo, s7
	s_delay_alu instid0(VALU_DEP_2) | instskip(NEXT) | instid1(VALU_DEP_2)
	v_lshrrev_b64 v[66:67], 20, v[66:67]
	v_cmp_gt_i32_e32 vcc_lo, 16, v68
	v_cmp_ne_u32_e64 s7, 0, v68
                                        ; implicit-def: $vgpr114
	s_delay_alu instid0(VALU_DEP_3) | instskip(NEXT) | instid1(VALU_DEP_1)
	v_dual_cndmask_b32 v67, 0, v67 :: v_dual_cndmask_b32 v66, 7, v66
	v_cmp_ne_u64_e32 vcc_lo, 0, v[66:67]
	s_or_b32 s7, s7, vcc_lo
	s_delay_alu instid0(SALU_CYCLE_1) | instskip(NEXT) | instid1(SALU_CYCLE_1)
	s_and_saveexec_b32 s40, s7
	s_xor_b32 s7, exec_lo, s40
; %bb.4709:                             ;   in Loop: Header=BB2_4419 Depth=2
	v_min_i32_e32 v32, 15, v68
	s_delay_alu instid0(VALU_DEP_1) | instskip(NEXT) | instid1(VALU_DEP_1)
	v_lshl_or_b32 v32, v32, 3, v119
                                        ; implicit-def: $vgpr119
	v_and_or_b32 v114, v66, 7, v32
; %bb.4710:                             ;   in Loop: Header=BB2_4419 Depth=2
	s_and_not1_saveexec_b32 s7, s7
; %bb.4711:                             ;   in Loop: Header=BB2_4419 Depth=2
	v_mov_b32_e32 v114, v119
; %bb.4712:                             ;   in Loop: Header=BB2_4419 Depth=2
	s_or_b32 exec_lo, exec_lo, s7
.LBB2_4713:                             ;   in Loop: Header=BB2_4419 Depth=2
	s_delay_alu instid0(SALU_CYCLE_1)
	s_or_b32 exec_lo, exec_lo, s29
                                        ; implicit-def: $vgpr119
.LBB2_4714:                             ;   in Loop: Header=BB2_4419 Depth=2
	s_and_not1_saveexec_b32 s7, s11
; %bb.4715:                             ;   in Loop: Header=BB2_4419 Depth=2
	v_or_b32_e32 v114, 0x7e, v119
; %bb.4716:                             ;   in Loop: Header=BB2_4419 Depth=2
	s_or_b32 exec_lo, exec_lo, s7
                                        ; implicit-def: $vgpr67
.LBB2_4717:                             ;   in Loop: Header=BB2_4419 Depth=2
	s_and_not1_saveexec_b32 s7, s10
; %bb.4718:                             ;   in Loop: Header=BB2_4419 Depth=2
	v_or_b32_e32 v114, 0x7f, v67
; %bb.4719:                             ;   in Loop: Header=BB2_4419 Depth=2
	s_or_b32 exec_lo, exec_lo, s7
	v_and_b32_e32 v32, 0xff, v87
	v_dual_mov_b32 v66, 0 :: v_dual_mov_b32 v67, 0
	s_mov_b32 s7, exec_lo
	s_delay_alu instid0(VALU_DEP_2)
	v_cmpx_ne_u16_e32 0, v32
	s_cbranch_execz .LBB2_4727
; %bb.4720:                             ;   in Loop: Header=BB2_4419 Depth=2
	v_bfrev_b32_e32 v67, 1
	s_mov_b32 s10, exec_lo
	v_cmpx_ne_u16_e32 0x80, v32
	s_cbranch_execz .LBB2_4726
; %bb.4721:                             ;   in Loop: Header=BB2_4419 Depth=2
	v_and_b32_e32 v68, 0x7f, v87
	v_mov_b32_e32 v67, 0x7f800001
	s_mov_b32 s11, exec_lo
	s_delay_alu instid0(VALU_DEP_2)
	v_cmpx_ne_u32_e32 0x7f, v68
	s_cbranch_execz .LBB2_4725
; %bb.4722:                             ;   in Loop: Header=BB2_4419 Depth=2
	v_and_b32_e32 v32, 7, v32
	v_lshrrev_b32_e32 v67, 3, v68
	s_mov_b32 s29, exec_lo
	v_cmpx_gt_u32_e32 8, v68
; %bb.4723:                             ;   in Loop: Header=BB2_4419 Depth=2
	s_delay_alu instid0(VALU_DEP_3) | instskip(NEXT) | instid1(VALU_DEP_1)
	v_clz_i32_u32_e32 v67, v32
	v_min_u32_e32 v67, 32, v67
	s_delay_alu instid0(VALU_DEP_1) | instskip(NEXT) | instid1(VALU_DEP_1)
	v_subrev_nc_u32_e32 v68, 28, v67
	v_lshlrev_b64_e32 v[68:69], v68, v[32:33]
	s_delay_alu instid0(VALU_DEP_1)
	v_dual_sub_nc_u32 v67, 29, v67 :: v_dual_bitop2_b32 v32, 7, v68 bitop3:0x40
; %bb.4724:                             ;   in Loop: Header=BB2_4419 Depth=2
	s_or_b32 exec_lo, exec_lo, s29
	s_delay_alu instid0(VALU_DEP_1) | instskip(NEXT) | instid1(VALU_DEP_2)
	v_dual_lshlrev_b32 v68, 24, v87 :: v_dual_lshlrev_b32 v32, 20, v32
	v_lshl_add_u32 v67, v67, 23, 0x3c000000
	s_delay_alu instid0(VALU_DEP_2) | instskip(NEXT) | instid1(VALU_DEP_1)
	v_and_b32_e32 v68, 0x80000000, v68
	v_or3_b32 v67, v32, v68, v67
.LBB2_4725:                             ;   in Loop: Header=BB2_4419 Depth=2
	s_or_b32 exec_lo, exec_lo, s11
.LBB2_4726:                             ;   in Loop: Header=BB2_4419 Depth=2
	s_delay_alu instid0(SALU_CYCLE_1)
	s_or_b32 exec_lo, exec_lo, s10
.LBB2_4727:                             ;   in Loop: Header=BB2_4419 Depth=2
	s_delay_alu instid0(SALU_CYCLE_1) | instskip(SKIP_3) | instid1(VALU_DEP_1)
	s_or_b32 exec_lo, exec_lo, s7
	s_wait_loadcnt_dscnt 0x505
	v_and_b32_e32 v32, 0xff, v118
	s_mov_b32 s7, exec_lo
	v_cmpx_ne_u16_e32 0, v32
	s_cbranch_execz .LBB2_4735
; %bb.4728:                             ;   in Loop: Header=BB2_4419 Depth=2
	v_bfrev_b32_e32 v66, 1
	s_mov_b32 s10, exec_lo
	v_cmpx_ne_u16_e32 0x80, v32
	s_cbranch_execz .LBB2_4734
; %bb.4729:                             ;   in Loop: Header=BB2_4419 Depth=2
	v_and_b32_e32 v68, 0x7f, v118
	v_mov_b32_e32 v66, 0x7f800001
	s_mov_b32 s11, exec_lo
	s_delay_alu instid0(VALU_DEP_2)
	v_cmpx_ne_u32_e32 0x7f, v68
	s_cbranch_execz .LBB2_4733
; %bb.4730:                             ;   in Loop: Header=BB2_4419 Depth=2
	v_and_b32_e32 v32, 7, v32
	v_lshrrev_b32_e32 v66, 3, v68
	s_mov_b32 s29, exec_lo
	v_cmpx_gt_u32_e32 8, v68
; %bb.4731:                             ;   in Loop: Header=BB2_4419 Depth=2
	s_delay_alu instid0(VALU_DEP_3) | instskip(NEXT) | instid1(VALU_DEP_1)
	v_clz_i32_u32_e32 v66, v32
	v_min_u32_e32 v66, 32, v66
	s_delay_alu instid0(VALU_DEP_1) | instskip(NEXT) | instid1(VALU_DEP_1)
	v_subrev_nc_u32_e32 v68, 28, v66
	v_lshlrev_b64_e32 v[68:69], v68, v[32:33]
	s_delay_alu instid0(VALU_DEP_1)
	v_dual_sub_nc_u32 v66, 29, v66 :: v_dual_bitop2_b32 v32, 7, v68 bitop3:0x40
; %bb.4732:                             ;   in Loop: Header=BB2_4419 Depth=2
	s_or_b32 exec_lo, exec_lo, s29
	s_delay_alu instid0(VALU_DEP_1) | instskip(NEXT) | instid1(VALU_DEP_2)
	v_dual_lshlrev_b32 v68, 24, v118 :: v_dual_lshlrev_b32 v32, 20, v32
	v_lshl_add_u32 v66, v66, 23, 0x3c000000
	s_delay_alu instid0(VALU_DEP_2) | instskip(NEXT) | instid1(VALU_DEP_1)
	v_and_b32_e32 v68, 0x80000000, v68
	v_or3_b32 v66, v32, v68, v66
.LBB2_4733:                             ;   in Loop: Header=BB2_4419 Depth=2
	s_or_b32 exec_lo, exec_lo, s11
.LBB2_4734:                             ;   in Loop: Header=BB2_4419 Depth=2
	s_delay_alu instid0(SALU_CYCLE_1)
	s_or_b32 exec_lo, exec_lo, s10
.LBB2_4735:                             ;   in Loop: Header=BB2_4419 Depth=2
	s_delay_alu instid0(SALU_CYCLE_1) | instskip(NEXT) | instid1(VALU_DEP_1)
	s_or_b32 exec_lo, exec_lo, s7
	v_add_f32_e32 v66, v67, v66
                                        ; implicit-def: $vgpr87
	s_mov_b32 s7, exec_lo
	s_delay_alu instid0(VALU_DEP_1) | instskip(SKIP_1) | instid1(VALU_DEP_2)
	v_and_b32_e32 v32, 0x7f800000, v66
	v_lshrrev_b32_e32 v67, 24, v66
	v_cmpx_ne_u64_e32 0x7f800000, v[32:33]
	s_xor_b32 s10, exec_lo, s7
	s_cbranch_execz .LBB2_4753
; %bb.4736:                             ;   in Loop: Header=BB2_4419 Depth=2
	v_and_b32_e32 v32, 0x7fffffff, v66
	v_and_b32_e32 v118, 0x80, v67
                                        ; implicit-def: $vgpr87
	s_mov_b32 s7, exec_lo
	s_delay_alu instid0(VALU_DEP_2)
	v_cmpx_gt_u64_e32 0x43e00001, v[32:33]
	s_xor_b32 s11, exec_lo, s7
	s_cbranch_execz .LBB2_4750
; %bb.4737:                             ;   in Loop: Header=BB2_4419 Depth=2
	v_mov_b32_e32 v87, 0
	s_mov_b32 s29, exec_lo
	v_cmpx_ne_u32_e32 0, v66
	s_cbranch_execz .LBB2_4749
; %bb.4738:                             ;   in Loop: Header=BB2_4419 Depth=2
	v_bfe_u32 v87, v66, 23, 8
	s_delay_alu instid0(VALU_DEP_1) | instskip(SKIP_1) | instid1(VALU_DEP_2)
	v_sub_nc_u32_e32 v32, 0x79, v87
	v_cmp_gt_u32_e32 vcc_lo, 0x7a, v87
	v_cndmask_b32_e32 v32, 0, v32, vcc_lo
	v_cmp_eq_u32_e32 vcc_lo, 0, v87
	s_delay_alu instid0(VALU_DEP_2) | instskip(SKIP_1) | instid1(VALU_DEP_2)
	v_cndmask_b32_e64 v119, v32, 0x78, vcc_lo
	v_and_b32_e32 v32, 0x7fffff, v66
	v_add_nc_u32_e32 v66, 20, v119
	s_delay_alu instid0(VALU_DEP_2) | instskip(SKIP_1) | instid1(VALU_DEP_3)
	v_or_b32_e32 v68, 0x800000, v32
	v_add_nc_u32_e32 v69, 19, v119
	v_lshlrev_b64_e64 v[66:67], v66, -1
	s_delay_alu instid0(VALU_DEP_3) | instskip(NEXT) | instid1(VALU_DEP_3)
	v_cndmask_b32_e32 v32, v68, v32, vcc_lo
	v_lshlrev_b64_e64 v[68:69], v69, 1
	s_delay_alu instid0(VALU_DEP_3) | instskip(NEXT) | instid1(VALU_DEP_3)
	v_bfi_b32 v41, v67, 0, 0
	v_bfi_b32 v40, v66, 0, v32
	v_lshrrev_b64 v[66:67], v119, v[32:33]
	s_delay_alu instid0(VALU_DEP_2) | instskip(NEXT) | instid1(VALU_DEP_2)
	v_cmp_eq_u64_e64 s7, v[40:41], v[68:69]
	v_mov_b64_e32 v[68:69], v[66:67]
	s_and_saveexec_b32 s40, s7
; %bb.4739:                             ;   in Loop: Header=BB2_4419 Depth=2
	v_bfe_u32 v32, v66, 20, 1
	s_delay_alu instid0(VALU_DEP_1) | instskip(NEXT) | instid1(VALU_DEP_1)
	v_add_nc_u64_e32 v[68:69], v[66:67], v[32:33]
	v_add_nc_u64_e32 v[68:69], -1, v[68:69]
; %bb.4740:                             ;   in Loop: Header=BB2_4419 Depth=2
	s_or_b32 exec_lo, exec_lo, s40
	v_add_nc_u32_e32 v32, 0xffffff81, v87
	v_lshrrev_b32_e32 v67, 23, v66
	s_mov_b32 s7, exec_lo
	s_delay_alu instid0(VALU_DEP_2) | instskip(NEXT) | instid1(VALU_DEP_1)
	v_cndmask_b32_e64 v32, v32, 0xffffff82, vcc_lo
	v_add3_u32 v69, v119, v32, v67
	v_and_b32_e32 v32, 0xfffff, v68
                                        ; implicit-def: $vgpr68
	s_delay_alu instid0(VALU_DEP_1) | instskip(NEXT) | instid1(VALU_DEP_1)
	v_dual_add_nc_u32 v87, 6, v69 :: v_dual_add_nc_u32 v32, v32, v66
                                        ; implicit-def: $vgpr66_vgpr67
	v_cmpx_ne_u32_e32 0, v87
	s_xor_b32 s7, exec_lo, s7
; %bb.4741:                             ;   in Loop: Header=BB2_4419 Depth=2
	s_delay_alu instid0(VALU_DEP_2) | instskip(SKIP_1) | instid1(VALU_DEP_1)
	v_cmp_lt_u64_e32 vcc_lo, 0xffffff, v[32:33]
	v_add_nc_u32_e32 v66, 7, v69
	v_cndmask_b32_e32 v68, v87, v66, vcc_lo
	v_cndmask_b32_e64 v66, 0, 1, vcc_lo
	s_delay_alu instid0(VALU_DEP_1)
	v_lshrrev_b64 v[66:67], v66, v[32:33]
; %bb.4742:                             ;   in Loop: Header=BB2_4419 Depth=2
	s_and_not1_saveexec_b32 s7, s7
; %bb.4743:                             ;   in Loop: Header=BB2_4419 Depth=2
	v_mov_b64_e32 v[66:67], v[32:33]
	v_bfe_u32 v68, v32, 23, 1
; %bb.4744:                             ;   in Loop: Header=BB2_4419 Depth=2
	s_or_b32 exec_lo, exec_lo, s7
	s_delay_alu instid0(VALU_DEP_2) | instskip(NEXT) | instid1(VALU_DEP_2)
	v_lshrrev_b64 v[66:67], 20, v[66:67]
	v_cmp_gt_i32_e32 vcc_lo, 16, v68
	v_cmp_ne_u32_e64 s7, 0, v68
                                        ; implicit-def: $vgpr87
	s_delay_alu instid0(VALU_DEP_3) | instskip(NEXT) | instid1(VALU_DEP_1)
	v_dual_cndmask_b32 v67, 0, v67 :: v_dual_cndmask_b32 v66, 7, v66
	v_cmp_ne_u64_e32 vcc_lo, 0, v[66:67]
	s_or_b32 s7, s7, vcc_lo
	s_delay_alu instid0(SALU_CYCLE_1) | instskip(NEXT) | instid1(SALU_CYCLE_1)
	s_and_saveexec_b32 s40, s7
	s_xor_b32 s7, exec_lo, s40
; %bb.4745:                             ;   in Loop: Header=BB2_4419 Depth=2
	v_min_i32_e32 v32, 15, v68
	s_delay_alu instid0(VALU_DEP_1) | instskip(NEXT) | instid1(VALU_DEP_1)
	v_lshl_or_b32 v32, v32, 3, v118
                                        ; implicit-def: $vgpr118
	v_and_or_b32 v87, v66, 7, v32
; %bb.4746:                             ;   in Loop: Header=BB2_4419 Depth=2
	s_and_not1_saveexec_b32 s7, s7
; %bb.4747:                             ;   in Loop: Header=BB2_4419 Depth=2
	v_mov_b32_e32 v87, v118
; %bb.4748:                             ;   in Loop: Header=BB2_4419 Depth=2
	s_or_b32 exec_lo, exec_lo, s7
.LBB2_4749:                             ;   in Loop: Header=BB2_4419 Depth=2
	s_delay_alu instid0(SALU_CYCLE_1)
	s_or_b32 exec_lo, exec_lo, s29
                                        ; implicit-def: $vgpr118
.LBB2_4750:                             ;   in Loop: Header=BB2_4419 Depth=2
	s_and_not1_saveexec_b32 s7, s11
; %bb.4751:                             ;   in Loop: Header=BB2_4419 Depth=2
	v_or_b32_e32 v87, 0x7e, v118
; %bb.4752:                             ;   in Loop: Header=BB2_4419 Depth=2
	s_or_b32 exec_lo, exec_lo, s7
                                        ; implicit-def: $vgpr67
.LBB2_4753:                             ;   in Loop: Header=BB2_4419 Depth=2
	s_and_not1_saveexec_b32 s7, s10
; %bb.4754:                             ;   in Loop: Header=BB2_4419 Depth=2
	v_or_b32_e32 v87, 0x7f, v67
; %bb.4755:                             ;   in Loop: Header=BB2_4419 Depth=2
	s_or_b32 exec_lo, exec_lo, s7
	v_and_b32_e32 v32, 0xff, v86
	v_dual_mov_b32 v66, 0 :: v_dual_mov_b32 v67, 0
	s_mov_b32 s7, exec_lo
	s_delay_alu instid0(VALU_DEP_2)
	v_cmpx_ne_u16_e32 0, v32
	s_cbranch_execz .LBB2_4763
; %bb.4756:                             ;   in Loop: Header=BB2_4419 Depth=2
	v_bfrev_b32_e32 v67, 1
	s_mov_b32 s10, exec_lo
	v_cmpx_ne_u16_e32 0x80, v32
	s_cbranch_execz .LBB2_4762
; %bb.4757:                             ;   in Loop: Header=BB2_4419 Depth=2
	v_and_b32_e32 v68, 0x7f, v86
	v_mov_b32_e32 v67, 0x7f800001
	s_mov_b32 s11, exec_lo
	s_delay_alu instid0(VALU_DEP_2)
	v_cmpx_ne_u32_e32 0x7f, v68
	s_cbranch_execz .LBB2_4761
; %bb.4758:                             ;   in Loop: Header=BB2_4419 Depth=2
	v_and_b32_e32 v32, 7, v32
	v_lshrrev_b32_e32 v67, 3, v68
	s_mov_b32 s29, exec_lo
	v_cmpx_gt_u32_e32 8, v68
; %bb.4759:                             ;   in Loop: Header=BB2_4419 Depth=2
	s_delay_alu instid0(VALU_DEP_3) | instskip(NEXT) | instid1(VALU_DEP_1)
	v_clz_i32_u32_e32 v67, v32
	v_min_u32_e32 v67, 32, v67
	s_delay_alu instid0(VALU_DEP_1) | instskip(NEXT) | instid1(VALU_DEP_1)
	v_subrev_nc_u32_e32 v68, 28, v67
	v_lshlrev_b64_e32 v[68:69], v68, v[32:33]
	s_delay_alu instid0(VALU_DEP_1)
	v_dual_sub_nc_u32 v67, 29, v67 :: v_dual_bitop2_b32 v32, 7, v68 bitop3:0x40
; %bb.4760:                             ;   in Loop: Header=BB2_4419 Depth=2
	s_or_b32 exec_lo, exec_lo, s29
	s_delay_alu instid0(VALU_DEP_1) | instskip(NEXT) | instid1(VALU_DEP_2)
	v_dual_lshlrev_b32 v68, 24, v86 :: v_dual_lshlrev_b32 v32, 20, v32
	v_lshl_add_u32 v67, v67, 23, 0x3c000000
	s_delay_alu instid0(VALU_DEP_2) | instskip(NEXT) | instid1(VALU_DEP_1)
	v_and_b32_e32 v68, 0x80000000, v68
	v_or3_b32 v67, v32, v68, v67
.LBB2_4761:                             ;   in Loop: Header=BB2_4419 Depth=2
	s_or_b32 exec_lo, exec_lo, s11
.LBB2_4762:                             ;   in Loop: Header=BB2_4419 Depth=2
	s_delay_alu instid0(SALU_CYCLE_1)
	s_or_b32 exec_lo, exec_lo, s10
.LBB2_4763:                             ;   in Loop: Header=BB2_4419 Depth=2
	s_delay_alu instid0(SALU_CYCLE_1) | instskip(SKIP_3) | instid1(VALU_DEP_1)
	s_or_b32 exec_lo, exec_lo, s7
	s_wait_loadcnt_dscnt 0x404
	v_and_b32_e32 v32, 0xff, v117
	s_mov_b32 s7, exec_lo
	v_cmpx_ne_u16_e32 0, v32
	s_cbranch_execz .LBB2_4771
; %bb.4764:                             ;   in Loop: Header=BB2_4419 Depth=2
	v_bfrev_b32_e32 v66, 1
	s_mov_b32 s10, exec_lo
	v_cmpx_ne_u16_e32 0x80, v32
	s_cbranch_execz .LBB2_4770
; %bb.4765:                             ;   in Loop: Header=BB2_4419 Depth=2
	v_and_b32_e32 v68, 0x7f, v117
	v_mov_b32_e32 v66, 0x7f800001
	s_mov_b32 s11, exec_lo
	s_delay_alu instid0(VALU_DEP_2)
	v_cmpx_ne_u32_e32 0x7f, v68
	s_cbranch_execz .LBB2_4769
; %bb.4766:                             ;   in Loop: Header=BB2_4419 Depth=2
	v_and_b32_e32 v32, 7, v32
	v_lshrrev_b32_e32 v66, 3, v68
	s_mov_b32 s29, exec_lo
	v_cmpx_gt_u32_e32 8, v68
; %bb.4767:                             ;   in Loop: Header=BB2_4419 Depth=2
	s_delay_alu instid0(VALU_DEP_3) | instskip(NEXT) | instid1(VALU_DEP_1)
	v_clz_i32_u32_e32 v66, v32
	v_min_u32_e32 v66, 32, v66
	s_delay_alu instid0(VALU_DEP_1) | instskip(NEXT) | instid1(VALU_DEP_1)
	v_subrev_nc_u32_e32 v68, 28, v66
	v_lshlrev_b64_e32 v[68:69], v68, v[32:33]
	s_delay_alu instid0(VALU_DEP_1)
	v_dual_sub_nc_u32 v66, 29, v66 :: v_dual_bitop2_b32 v32, 7, v68 bitop3:0x40
; %bb.4768:                             ;   in Loop: Header=BB2_4419 Depth=2
	s_or_b32 exec_lo, exec_lo, s29
	s_delay_alu instid0(VALU_DEP_1) | instskip(NEXT) | instid1(VALU_DEP_2)
	v_dual_lshlrev_b32 v68, 24, v117 :: v_dual_lshlrev_b32 v32, 20, v32
	v_lshl_add_u32 v66, v66, 23, 0x3c000000
	s_delay_alu instid0(VALU_DEP_2) | instskip(NEXT) | instid1(VALU_DEP_1)
	v_and_b32_e32 v68, 0x80000000, v68
	v_or3_b32 v66, v32, v68, v66
.LBB2_4769:                             ;   in Loop: Header=BB2_4419 Depth=2
	s_or_b32 exec_lo, exec_lo, s11
.LBB2_4770:                             ;   in Loop: Header=BB2_4419 Depth=2
	s_delay_alu instid0(SALU_CYCLE_1)
	s_or_b32 exec_lo, exec_lo, s10
.LBB2_4771:                             ;   in Loop: Header=BB2_4419 Depth=2
	s_delay_alu instid0(SALU_CYCLE_1) | instskip(NEXT) | instid1(VALU_DEP_1)
	s_or_b32 exec_lo, exec_lo, s7
	v_add_f32_e32 v66, v67, v66
                                        ; implicit-def: $vgpr86
	s_mov_b32 s7, exec_lo
	s_delay_alu instid0(VALU_DEP_1) | instskip(SKIP_1) | instid1(VALU_DEP_2)
	v_and_b32_e32 v32, 0x7f800000, v66
	v_lshrrev_b32_e32 v67, 24, v66
	v_cmpx_ne_u64_e32 0x7f800000, v[32:33]
	s_xor_b32 s10, exec_lo, s7
	s_cbranch_execz .LBB2_4789
; %bb.4772:                             ;   in Loop: Header=BB2_4419 Depth=2
	v_and_b32_e32 v32, 0x7fffffff, v66
	v_and_b32_e32 v117, 0x80, v67
                                        ; implicit-def: $vgpr86
	s_mov_b32 s7, exec_lo
	s_delay_alu instid0(VALU_DEP_2)
	v_cmpx_gt_u64_e32 0x43e00001, v[32:33]
	s_xor_b32 s11, exec_lo, s7
	s_cbranch_execz .LBB2_4786
; %bb.4773:                             ;   in Loop: Header=BB2_4419 Depth=2
	v_mov_b32_e32 v86, 0
	s_mov_b32 s29, exec_lo
	v_cmpx_ne_u32_e32 0, v66
	s_cbranch_execz .LBB2_4785
; %bb.4774:                             ;   in Loop: Header=BB2_4419 Depth=2
	v_bfe_u32 v86, v66, 23, 8
	s_delay_alu instid0(VALU_DEP_1) | instskip(SKIP_1) | instid1(VALU_DEP_2)
	v_sub_nc_u32_e32 v32, 0x79, v86
	v_cmp_gt_u32_e32 vcc_lo, 0x7a, v86
	v_cndmask_b32_e32 v32, 0, v32, vcc_lo
	v_cmp_eq_u32_e32 vcc_lo, 0, v86
	s_delay_alu instid0(VALU_DEP_2) | instskip(SKIP_1) | instid1(VALU_DEP_2)
	v_cndmask_b32_e64 v118, v32, 0x78, vcc_lo
	v_and_b32_e32 v32, 0x7fffff, v66
	v_add_nc_u32_e32 v66, 20, v118
	s_delay_alu instid0(VALU_DEP_2) | instskip(SKIP_1) | instid1(VALU_DEP_3)
	v_or_b32_e32 v68, 0x800000, v32
	v_add_nc_u32_e32 v69, 19, v118
	v_lshlrev_b64_e64 v[66:67], v66, -1
	s_delay_alu instid0(VALU_DEP_3) | instskip(NEXT) | instid1(VALU_DEP_3)
	v_cndmask_b32_e32 v32, v68, v32, vcc_lo
	v_lshlrev_b64_e64 v[68:69], v69, 1
	s_delay_alu instid0(VALU_DEP_3) | instskip(NEXT) | instid1(VALU_DEP_3)
	v_bfi_b32 v41, v67, 0, 0
	v_bfi_b32 v40, v66, 0, v32
	v_lshrrev_b64 v[66:67], v118, v[32:33]
	s_delay_alu instid0(VALU_DEP_2) | instskip(NEXT) | instid1(VALU_DEP_2)
	v_cmp_eq_u64_e64 s7, v[40:41], v[68:69]
	v_mov_b64_e32 v[68:69], v[66:67]
	s_and_saveexec_b32 s40, s7
; %bb.4775:                             ;   in Loop: Header=BB2_4419 Depth=2
	v_bfe_u32 v32, v66, 20, 1
	s_delay_alu instid0(VALU_DEP_1) | instskip(NEXT) | instid1(VALU_DEP_1)
	v_add_nc_u64_e32 v[68:69], v[66:67], v[32:33]
	v_add_nc_u64_e32 v[68:69], -1, v[68:69]
; %bb.4776:                             ;   in Loop: Header=BB2_4419 Depth=2
	s_or_b32 exec_lo, exec_lo, s40
	v_add_nc_u32_e32 v32, 0xffffff81, v86
	v_lshrrev_b32_e32 v67, 23, v66
	s_mov_b32 s7, exec_lo
	s_delay_alu instid0(VALU_DEP_2) | instskip(NEXT) | instid1(VALU_DEP_1)
	v_cndmask_b32_e64 v32, v32, 0xffffff82, vcc_lo
	v_add3_u32 v69, v118, v32, v67
	v_and_b32_e32 v32, 0xfffff, v68
                                        ; implicit-def: $vgpr68
	s_delay_alu instid0(VALU_DEP_1) | instskip(NEXT) | instid1(VALU_DEP_1)
	v_dual_add_nc_u32 v86, 6, v69 :: v_dual_add_nc_u32 v32, v32, v66
                                        ; implicit-def: $vgpr66_vgpr67
	v_cmpx_ne_u32_e32 0, v86
	s_xor_b32 s7, exec_lo, s7
; %bb.4777:                             ;   in Loop: Header=BB2_4419 Depth=2
	s_delay_alu instid0(VALU_DEP_2) | instskip(SKIP_1) | instid1(VALU_DEP_1)
	v_cmp_lt_u64_e32 vcc_lo, 0xffffff, v[32:33]
	v_add_nc_u32_e32 v66, 7, v69
	v_cndmask_b32_e32 v68, v86, v66, vcc_lo
	v_cndmask_b32_e64 v66, 0, 1, vcc_lo
	s_delay_alu instid0(VALU_DEP_1)
	v_lshrrev_b64 v[66:67], v66, v[32:33]
; %bb.4778:                             ;   in Loop: Header=BB2_4419 Depth=2
	s_and_not1_saveexec_b32 s7, s7
; %bb.4779:                             ;   in Loop: Header=BB2_4419 Depth=2
	v_mov_b64_e32 v[66:67], v[32:33]
	v_bfe_u32 v68, v32, 23, 1
; %bb.4780:                             ;   in Loop: Header=BB2_4419 Depth=2
	s_or_b32 exec_lo, exec_lo, s7
	s_delay_alu instid0(VALU_DEP_2) | instskip(NEXT) | instid1(VALU_DEP_2)
	v_lshrrev_b64 v[66:67], 20, v[66:67]
	v_cmp_gt_i32_e32 vcc_lo, 16, v68
	v_cmp_ne_u32_e64 s7, 0, v68
                                        ; implicit-def: $vgpr86
	s_delay_alu instid0(VALU_DEP_3) | instskip(NEXT) | instid1(VALU_DEP_1)
	v_dual_cndmask_b32 v67, 0, v67 :: v_dual_cndmask_b32 v66, 7, v66
	v_cmp_ne_u64_e32 vcc_lo, 0, v[66:67]
	s_or_b32 s7, s7, vcc_lo
	s_delay_alu instid0(SALU_CYCLE_1) | instskip(NEXT) | instid1(SALU_CYCLE_1)
	s_and_saveexec_b32 s40, s7
	s_xor_b32 s7, exec_lo, s40
; %bb.4781:                             ;   in Loop: Header=BB2_4419 Depth=2
	v_min_i32_e32 v32, 15, v68
	s_delay_alu instid0(VALU_DEP_1) | instskip(NEXT) | instid1(VALU_DEP_1)
	v_lshl_or_b32 v32, v32, 3, v117
                                        ; implicit-def: $vgpr117
	v_and_or_b32 v86, v66, 7, v32
; %bb.4782:                             ;   in Loop: Header=BB2_4419 Depth=2
	s_and_not1_saveexec_b32 s7, s7
; %bb.4783:                             ;   in Loop: Header=BB2_4419 Depth=2
	v_mov_b32_e32 v86, v117
; %bb.4784:                             ;   in Loop: Header=BB2_4419 Depth=2
	s_or_b32 exec_lo, exec_lo, s7
.LBB2_4785:                             ;   in Loop: Header=BB2_4419 Depth=2
	s_delay_alu instid0(SALU_CYCLE_1)
	s_or_b32 exec_lo, exec_lo, s29
                                        ; implicit-def: $vgpr117
.LBB2_4786:                             ;   in Loop: Header=BB2_4419 Depth=2
	s_and_not1_saveexec_b32 s7, s11
; %bb.4787:                             ;   in Loop: Header=BB2_4419 Depth=2
	v_or_b32_e32 v86, 0x7e, v117
; %bb.4788:                             ;   in Loop: Header=BB2_4419 Depth=2
	s_or_b32 exec_lo, exec_lo, s7
                                        ; implicit-def: $vgpr67
.LBB2_4789:                             ;   in Loop: Header=BB2_4419 Depth=2
	s_and_not1_saveexec_b32 s7, s10
; %bb.4790:                             ;   in Loop: Header=BB2_4419 Depth=2
	v_or_b32_e32 v86, 0x7f, v67
; %bb.4791:                             ;   in Loop: Header=BB2_4419 Depth=2
	s_or_b32 exec_lo, exec_lo, s7
	v_and_b32_e32 v32, 0xff, v85
	v_dual_mov_b32 v66, 0 :: v_dual_mov_b32 v67, 0
	s_mov_b32 s7, exec_lo
	s_delay_alu instid0(VALU_DEP_2)
	v_cmpx_ne_u16_e32 0, v32
	s_cbranch_execz .LBB2_4799
; %bb.4792:                             ;   in Loop: Header=BB2_4419 Depth=2
	v_bfrev_b32_e32 v67, 1
	s_mov_b32 s10, exec_lo
	v_cmpx_ne_u16_e32 0x80, v32
	s_cbranch_execz .LBB2_4798
; %bb.4793:                             ;   in Loop: Header=BB2_4419 Depth=2
	v_and_b32_e32 v68, 0x7f, v85
	v_mov_b32_e32 v67, 0x7f800001
	s_mov_b32 s11, exec_lo
	s_delay_alu instid0(VALU_DEP_2)
	v_cmpx_ne_u32_e32 0x7f, v68
	s_cbranch_execz .LBB2_4797
; %bb.4794:                             ;   in Loop: Header=BB2_4419 Depth=2
	v_and_b32_e32 v32, 7, v32
	v_lshrrev_b32_e32 v67, 3, v68
	s_mov_b32 s29, exec_lo
	v_cmpx_gt_u32_e32 8, v68
; %bb.4795:                             ;   in Loop: Header=BB2_4419 Depth=2
	s_delay_alu instid0(VALU_DEP_3) | instskip(NEXT) | instid1(VALU_DEP_1)
	v_clz_i32_u32_e32 v67, v32
	v_min_u32_e32 v67, 32, v67
	s_delay_alu instid0(VALU_DEP_1) | instskip(NEXT) | instid1(VALU_DEP_1)
	v_subrev_nc_u32_e32 v68, 28, v67
	v_lshlrev_b64_e32 v[68:69], v68, v[32:33]
	s_delay_alu instid0(VALU_DEP_1)
	v_dual_sub_nc_u32 v67, 29, v67 :: v_dual_bitop2_b32 v32, 7, v68 bitop3:0x40
; %bb.4796:                             ;   in Loop: Header=BB2_4419 Depth=2
	s_or_b32 exec_lo, exec_lo, s29
	s_delay_alu instid0(VALU_DEP_1) | instskip(NEXT) | instid1(VALU_DEP_2)
	v_dual_lshlrev_b32 v68, 24, v85 :: v_dual_lshlrev_b32 v32, 20, v32
	v_lshl_add_u32 v67, v67, 23, 0x3c000000
	s_delay_alu instid0(VALU_DEP_2) | instskip(NEXT) | instid1(VALU_DEP_1)
	v_and_b32_e32 v68, 0x80000000, v68
	v_or3_b32 v67, v32, v68, v67
.LBB2_4797:                             ;   in Loop: Header=BB2_4419 Depth=2
	s_or_b32 exec_lo, exec_lo, s11
.LBB2_4798:                             ;   in Loop: Header=BB2_4419 Depth=2
	s_delay_alu instid0(SALU_CYCLE_1)
	s_or_b32 exec_lo, exec_lo, s10
.LBB2_4799:                             ;   in Loop: Header=BB2_4419 Depth=2
	s_delay_alu instid0(SALU_CYCLE_1) | instskip(SKIP_3) | instid1(VALU_DEP_1)
	s_or_b32 exec_lo, exec_lo, s7
	s_wait_loadcnt_dscnt 0x303
	v_and_b32_e32 v32, 0xff, v116
	s_mov_b32 s7, exec_lo
	v_cmpx_ne_u16_e32 0, v32
	s_cbranch_execz .LBB2_4807
; %bb.4800:                             ;   in Loop: Header=BB2_4419 Depth=2
	v_bfrev_b32_e32 v66, 1
	s_mov_b32 s10, exec_lo
	v_cmpx_ne_u16_e32 0x80, v32
	s_cbranch_execz .LBB2_4806
; %bb.4801:                             ;   in Loop: Header=BB2_4419 Depth=2
	v_and_b32_e32 v68, 0x7f, v116
	v_mov_b32_e32 v66, 0x7f800001
	s_mov_b32 s11, exec_lo
	s_delay_alu instid0(VALU_DEP_2)
	v_cmpx_ne_u32_e32 0x7f, v68
	s_cbranch_execz .LBB2_4805
; %bb.4802:                             ;   in Loop: Header=BB2_4419 Depth=2
	v_and_b32_e32 v32, 7, v32
	v_lshrrev_b32_e32 v66, 3, v68
	s_mov_b32 s29, exec_lo
	v_cmpx_gt_u32_e32 8, v68
; %bb.4803:                             ;   in Loop: Header=BB2_4419 Depth=2
	s_delay_alu instid0(VALU_DEP_3) | instskip(NEXT) | instid1(VALU_DEP_1)
	v_clz_i32_u32_e32 v66, v32
	v_min_u32_e32 v66, 32, v66
	s_delay_alu instid0(VALU_DEP_1) | instskip(NEXT) | instid1(VALU_DEP_1)
	v_subrev_nc_u32_e32 v68, 28, v66
	v_lshlrev_b64_e32 v[68:69], v68, v[32:33]
	s_delay_alu instid0(VALU_DEP_1)
	v_dual_sub_nc_u32 v66, 29, v66 :: v_dual_bitop2_b32 v32, 7, v68 bitop3:0x40
; %bb.4804:                             ;   in Loop: Header=BB2_4419 Depth=2
	s_or_b32 exec_lo, exec_lo, s29
	v_lshlrev_b32_e32 v68, 24, v116
	s_delay_alu instid0(VALU_DEP_2) | instskip(NEXT) | instid1(VALU_DEP_3)
	v_lshlrev_b32_e32 v32, 20, v32
	v_lshl_add_u32 v66, v66, 23, 0x3c000000
	s_delay_alu instid0(VALU_DEP_3) | instskip(NEXT) | instid1(VALU_DEP_1)
	v_and_b32_e32 v68, 0x80000000, v68
	v_or3_b32 v66, v32, v68, v66
.LBB2_4805:                             ;   in Loop: Header=BB2_4419 Depth=2
	s_or_b32 exec_lo, exec_lo, s11
.LBB2_4806:                             ;   in Loop: Header=BB2_4419 Depth=2
	s_delay_alu instid0(SALU_CYCLE_1)
	s_or_b32 exec_lo, exec_lo, s10
.LBB2_4807:                             ;   in Loop: Header=BB2_4419 Depth=2
	s_delay_alu instid0(SALU_CYCLE_1) | instskip(NEXT) | instid1(VALU_DEP_1)
	s_or_b32 exec_lo, exec_lo, s7
	v_add_f32_e32 v66, v67, v66
                                        ; implicit-def: $vgpr85
	s_mov_b32 s7, exec_lo
	s_delay_alu instid0(VALU_DEP_1) | instskip(SKIP_1) | instid1(VALU_DEP_2)
	v_and_b32_e32 v32, 0x7f800000, v66
	v_lshrrev_b32_e32 v67, 24, v66
	v_cmpx_ne_u64_e32 0x7f800000, v[32:33]
	s_xor_b32 s10, exec_lo, s7
	s_cbranch_execz .LBB2_4825
; %bb.4808:                             ;   in Loop: Header=BB2_4419 Depth=2
	v_and_b32_e32 v32, 0x7fffffff, v66
	v_and_b32_e32 v116, 0x80, v67
                                        ; implicit-def: $vgpr85
	s_mov_b32 s7, exec_lo
	s_delay_alu instid0(VALU_DEP_2)
	v_cmpx_gt_u64_e32 0x43e00001, v[32:33]
	s_xor_b32 s11, exec_lo, s7
	s_cbranch_execz .LBB2_4822
; %bb.4809:                             ;   in Loop: Header=BB2_4419 Depth=2
	v_mov_b32_e32 v85, 0
	s_mov_b32 s29, exec_lo
	v_cmpx_ne_u32_e32 0, v66
	s_cbranch_execz .LBB2_4821
; %bb.4810:                             ;   in Loop: Header=BB2_4419 Depth=2
	v_bfe_u32 v85, v66, 23, 8
	s_delay_alu instid0(VALU_DEP_1) | instskip(SKIP_1) | instid1(VALU_DEP_2)
	v_sub_nc_u32_e32 v32, 0x79, v85
	v_cmp_gt_u32_e32 vcc_lo, 0x7a, v85
	v_cndmask_b32_e32 v32, 0, v32, vcc_lo
	v_cmp_eq_u32_e32 vcc_lo, 0, v85
	s_delay_alu instid0(VALU_DEP_2) | instskip(SKIP_1) | instid1(VALU_DEP_2)
	v_cndmask_b32_e64 v117, v32, 0x78, vcc_lo
	v_and_b32_e32 v32, 0x7fffff, v66
	v_add_nc_u32_e32 v66, 20, v117
	s_delay_alu instid0(VALU_DEP_2) | instskip(SKIP_1) | instid1(VALU_DEP_3)
	v_or_b32_e32 v68, 0x800000, v32
	v_add_nc_u32_e32 v69, 19, v117
	v_lshlrev_b64_e64 v[66:67], v66, -1
	s_delay_alu instid0(VALU_DEP_3) | instskip(NEXT) | instid1(VALU_DEP_3)
	v_cndmask_b32_e32 v32, v68, v32, vcc_lo
	v_lshlrev_b64_e64 v[68:69], v69, 1
	s_delay_alu instid0(VALU_DEP_3) | instskip(NEXT) | instid1(VALU_DEP_3)
	v_bfi_b32 v119, v67, 0, 0
	v_bfi_b32 v118, v66, 0, v32
	v_lshrrev_b64 v[66:67], v117, v[32:33]
	s_delay_alu instid0(VALU_DEP_2) | instskip(NEXT) | instid1(VALU_DEP_2)
	v_cmp_eq_u64_e64 s7, v[118:119], v[68:69]
	v_mov_b64_e32 v[68:69], v[66:67]
	s_and_saveexec_b32 s40, s7
; %bb.4811:                             ;   in Loop: Header=BB2_4419 Depth=2
	v_bfe_u32 v32, v66, 20, 1
	s_delay_alu instid0(VALU_DEP_1) | instskip(NEXT) | instid1(VALU_DEP_1)
	v_add_nc_u64_e32 v[68:69], v[66:67], v[32:33]
	v_add_nc_u64_e32 v[68:69], -1, v[68:69]
; %bb.4812:                             ;   in Loop: Header=BB2_4419 Depth=2
	s_or_b32 exec_lo, exec_lo, s40
	v_add_nc_u32_e32 v32, 0xffffff81, v85
	v_lshrrev_b32_e32 v67, 23, v66
	s_mov_b32 s7, exec_lo
	s_delay_alu instid0(VALU_DEP_2) | instskip(NEXT) | instid1(VALU_DEP_1)
	v_cndmask_b32_e64 v32, v32, 0xffffff82, vcc_lo
	v_add3_u32 v69, v117, v32, v67
	v_and_b32_e32 v32, 0xfffff, v68
                                        ; implicit-def: $vgpr68
	s_delay_alu instid0(VALU_DEP_1) | instskip(NEXT) | instid1(VALU_DEP_1)
	v_dual_add_nc_u32 v85, 6, v69 :: v_dual_add_nc_u32 v32, v32, v66
                                        ; implicit-def: $vgpr66_vgpr67
	v_cmpx_ne_u32_e32 0, v85
	s_xor_b32 s7, exec_lo, s7
; %bb.4813:                             ;   in Loop: Header=BB2_4419 Depth=2
	s_delay_alu instid0(VALU_DEP_2) | instskip(SKIP_1) | instid1(VALU_DEP_1)
	v_cmp_lt_u64_e32 vcc_lo, 0xffffff, v[32:33]
	v_add_nc_u32_e32 v66, 7, v69
	v_cndmask_b32_e32 v68, v85, v66, vcc_lo
	v_cndmask_b32_e64 v66, 0, 1, vcc_lo
	s_delay_alu instid0(VALU_DEP_1)
	v_lshrrev_b64 v[66:67], v66, v[32:33]
; %bb.4814:                             ;   in Loop: Header=BB2_4419 Depth=2
	s_and_not1_saveexec_b32 s7, s7
; %bb.4815:                             ;   in Loop: Header=BB2_4419 Depth=2
	v_mov_b64_e32 v[66:67], v[32:33]
	v_bfe_u32 v68, v32, 23, 1
; %bb.4816:                             ;   in Loop: Header=BB2_4419 Depth=2
	s_or_b32 exec_lo, exec_lo, s7
	s_delay_alu instid0(VALU_DEP_2) | instskip(NEXT) | instid1(VALU_DEP_2)
	v_lshrrev_b64 v[66:67], 20, v[66:67]
	v_cmp_gt_i32_e32 vcc_lo, 16, v68
	v_cmp_ne_u32_e64 s7, 0, v68
                                        ; implicit-def: $vgpr85
	s_delay_alu instid0(VALU_DEP_3) | instskip(NEXT) | instid1(VALU_DEP_1)
	v_dual_cndmask_b32 v67, 0, v67 :: v_dual_cndmask_b32 v66, 7, v66
	v_cmp_ne_u64_e32 vcc_lo, 0, v[66:67]
	s_or_b32 s7, s7, vcc_lo
	s_delay_alu instid0(SALU_CYCLE_1) | instskip(NEXT) | instid1(SALU_CYCLE_1)
	s_and_saveexec_b32 s40, s7
	s_xor_b32 s7, exec_lo, s40
; %bb.4817:                             ;   in Loop: Header=BB2_4419 Depth=2
	v_min_i32_e32 v32, 15, v68
	s_delay_alu instid0(VALU_DEP_1) | instskip(NEXT) | instid1(VALU_DEP_1)
	v_lshl_or_b32 v32, v32, 3, v116
                                        ; implicit-def: $vgpr116
	v_and_or_b32 v85, v66, 7, v32
; %bb.4818:                             ;   in Loop: Header=BB2_4419 Depth=2
	s_and_not1_saveexec_b32 s7, s7
; %bb.4819:                             ;   in Loop: Header=BB2_4419 Depth=2
	v_mov_b32_e32 v85, v116
; %bb.4820:                             ;   in Loop: Header=BB2_4419 Depth=2
	s_or_b32 exec_lo, exec_lo, s7
.LBB2_4821:                             ;   in Loop: Header=BB2_4419 Depth=2
	s_delay_alu instid0(SALU_CYCLE_1)
	s_or_b32 exec_lo, exec_lo, s29
                                        ; implicit-def: $vgpr116
.LBB2_4822:                             ;   in Loop: Header=BB2_4419 Depth=2
	s_and_not1_saveexec_b32 s7, s11
; %bb.4823:                             ;   in Loop: Header=BB2_4419 Depth=2
	v_or_b32_e32 v85, 0x7e, v116
; %bb.4824:                             ;   in Loop: Header=BB2_4419 Depth=2
	s_or_b32 exec_lo, exec_lo, s7
                                        ; implicit-def: $vgpr67
.LBB2_4825:                             ;   in Loop: Header=BB2_4419 Depth=2
	s_and_not1_saveexec_b32 s7, s10
; %bb.4826:                             ;   in Loop: Header=BB2_4419 Depth=2
	v_or_b32_e32 v85, 0x7f, v67
; %bb.4827:                             ;   in Loop: Header=BB2_4419 Depth=2
	s_or_b32 exec_lo, exec_lo, s7
	v_and_b32_e32 v32, 0xff, v84
	v_dual_mov_b32 v66, 0 :: v_dual_mov_b32 v67, 0
	s_mov_b32 s7, exec_lo
	s_delay_alu instid0(VALU_DEP_2)
	v_cmpx_ne_u16_e32 0, v32
	s_cbranch_execz .LBB2_4835
; %bb.4828:                             ;   in Loop: Header=BB2_4419 Depth=2
	v_bfrev_b32_e32 v67, 1
	s_mov_b32 s10, exec_lo
	v_cmpx_ne_u16_e32 0x80, v32
	s_cbranch_execz .LBB2_4834
; %bb.4829:                             ;   in Loop: Header=BB2_4419 Depth=2
	v_and_b32_e32 v68, 0x7f, v84
	v_mov_b32_e32 v67, 0x7f800001
	s_mov_b32 s11, exec_lo
	s_delay_alu instid0(VALU_DEP_2)
	v_cmpx_ne_u32_e32 0x7f, v68
	s_cbranch_execz .LBB2_4833
; %bb.4830:                             ;   in Loop: Header=BB2_4419 Depth=2
	v_and_b32_e32 v32, 7, v32
	v_lshrrev_b32_e32 v67, 3, v68
	s_mov_b32 s29, exec_lo
	v_cmpx_gt_u32_e32 8, v68
; %bb.4831:                             ;   in Loop: Header=BB2_4419 Depth=2
	s_delay_alu instid0(VALU_DEP_3) | instskip(NEXT) | instid1(VALU_DEP_1)
	v_clz_i32_u32_e32 v67, v32
	v_min_u32_e32 v67, 32, v67
	s_delay_alu instid0(VALU_DEP_1) | instskip(NEXT) | instid1(VALU_DEP_1)
	v_subrev_nc_u32_e32 v68, 28, v67
	v_lshlrev_b64_e32 v[68:69], v68, v[32:33]
	s_delay_alu instid0(VALU_DEP_1)
	v_dual_sub_nc_u32 v67, 29, v67 :: v_dual_bitop2_b32 v32, 7, v68 bitop3:0x40
; %bb.4832:                             ;   in Loop: Header=BB2_4419 Depth=2
	s_or_b32 exec_lo, exec_lo, s29
	v_lshlrev_b32_e32 v68, 24, v84
	s_delay_alu instid0(VALU_DEP_2) | instskip(NEXT) | instid1(VALU_DEP_3)
	v_lshlrev_b32_e32 v32, 20, v32
	v_lshl_add_u32 v67, v67, 23, 0x3c000000
	s_delay_alu instid0(VALU_DEP_3) | instskip(NEXT) | instid1(VALU_DEP_1)
	v_and_b32_e32 v68, 0x80000000, v68
	v_or3_b32 v67, v32, v68, v67
.LBB2_4833:                             ;   in Loop: Header=BB2_4419 Depth=2
	s_or_b32 exec_lo, exec_lo, s11
.LBB2_4834:                             ;   in Loop: Header=BB2_4419 Depth=2
	s_delay_alu instid0(SALU_CYCLE_1)
	s_or_b32 exec_lo, exec_lo, s10
.LBB2_4835:                             ;   in Loop: Header=BB2_4419 Depth=2
	s_delay_alu instid0(SALU_CYCLE_1) | instskip(SKIP_3) | instid1(VALU_DEP_1)
	s_or_b32 exec_lo, exec_lo, s7
	s_wait_loadcnt_dscnt 0x202
	v_and_b32_e32 v32, 0xff, v115
	s_mov_b32 s7, exec_lo
	v_cmpx_ne_u16_e32 0, v32
	s_cbranch_execz .LBB2_4843
; %bb.4836:                             ;   in Loop: Header=BB2_4419 Depth=2
	v_bfrev_b32_e32 v66, 1
	s_mov_b32 s10, exec_lo
	v_cmpx_ne_u16_e32 0x80, v32
	s_cbranch_execz .LBB2_4842
; %bb.4837:                             ;   in Loop: Header=BB2_4419 Depth=2
	v_and_b32_e32 v68, 0x7f, v115
	v_mov_b32_e32 v66, 0x7f800001
	s_mov_b32 s11, exec_lo
	s_delay_alu instid0(VALU_DEP_2)
	v_cmpx_ne_u32_e32 0x7f, v68
	s_cbranch_execz .LBB2_4841
; %bb.4838:                             ;   in Loop: Header=BB2_4419 Depth=2
	v_and_b32_e32 v32, 7, v32
	v_lshrrev_b32_e32 v66, 3, v68
	s_mov_b32 s29, exec_lo
	v_cmpx_gt_u32_e32 8, v68
; %bb.4839:                             ;   in Loop: Header=BB2_4419 Depth=2
	s_delay_alu instid0(VALU_DEP_3) | instskip(NEXT) | instid1(VALU_DEP_1)
	v_clz_i32_u32_e32 v66, v32
	v_min_u32_e32 v66, 32, v66
	s_delay_alu instid0(VALU_DEP_1) | instskip(NEXT) | instid1(VALU_DEP_1)
	v_subrev_nc_u32_e32 v68, 28, v66
	v_lshlrev_b64_e32 v[68:69], v68, v[32:33]
	s_delay_alu instid0(VALU_DEP_1)
	v_dual_sub_nc_u32 v66, 29, v66 :: v_dual_bitop2_b32 v32, 7, v68 bitop3:0x40
; %bb.4840:                             ;   in Loop: Header=BB2_4419 Depth=2
	s_or_b32 exec_lo, exec_lo, s29
	s_delay_alu instid0(VALU_DEP_1) | instskip(NEXT) | instid1(VALU_DEP_2)
	v_dual_lshlrev_b32 v68, 24, v115 :: v_dual_lshlrev_b32 v32, 20, v32
	v_lshl_add_u32 v66, v66, 23, 0x3c000000
	s_delay_alu instid0(VALU_DEP_2) | instskip(NEXT) | instid1(VALU_DEP_1)
	v_and_b32_e32 v68, 0x80000000, v68
	v_or3_b32 v66, v32, v68, v66
.LBB2_4841:                             ;   in Loop: Header=BB2_4419 Depth=2
	s_or_b32 exec_lo, exec_lo, s11
.LBB2_4842:                             ;   in Loop: Header=BB2_4419 Depth=2
	s_delay_alu instid0(SALU_CYCLE_1)
	s_or_b32 exec_lo, exec_lo, s10
.LBB2_4843:                             ;   in Loop: Header=BB2_4419 Depth=2
	s_delay_alu instid0(SALU_CYCLE_1) | instskip(NEXT) | instid1(VALU_DEP_1)
	s_or_b32 exec_lo, exec_lo, s7
	v_add_f32_e32 v66, v67, v66
                                        ; implicit-def: $vgpr84
	s_mov_b32 s7, exec_lo
	s_delay_alu instid0(VALU_DEP_1) | instskip(SKIP_1) | instid1(VALU_DEP_2)
	v_and_b32_e32 v32, 0x7f800000, v66
	v_lshrrev_b32_e32 v67, 24, v66
	v_cmpx_ne_u64_e32 0x7f800000, v[32:33]
	s_xor_b32 s10, exec_lo, s7
	s_cbranch_execz .LBB2_4861
; %bb.4844:                             ;   in Loop: Header=BB2_4419 Depth=2
	v_and_b32_e32 v32, 0x7fffffff, v66
	v_and_b32_e32 v115, 0x80, v67
                                        ; implicit-def: $vgpr84
	s_mov_b32 s7, exec_lo
	s_delay_alu instid0(VALU_DEP_2)
	v_cmpx_gt_u64_e32 0x43e00001, v[32:33]
	s_xor_b32 s11, exec_lo, s7
	s_cbranch_execz .LBB2_4858
; %bb.4845:                             ;   in Loop: Header=BB2_4419 Depth=2
	v_mov_b32_e32 v84, 0
	s_mov_b32 s29, exec_lo
	v_cmpx_ne_u32_e32 0, v66
	s_cbranch_execz .LBB2_4857
; %bb.4846:                             ;   in Loop: Header=BB2_4419 Depth=2
	v_bfe_u32 v84, v66, 23, 8
	s_delay_alu instid0(VALU_DEP_1) | instskip(SKIP_1) | instid1(VALU_DEP_2)
	v_sub_nc_u32_e32 v32, 0x79, v84
	v_cmp_gt_u32_e32 vcc_lo, 0x7a, v84
	v_cndmask_b32_e32 v32, 0, v32, vcc_lo
	v_cmp_eq_u32_e32 vcc_lo, 0, v84
	s_delay_alu instid0(VALU_DEP_2) | instskip(SKIP_1) | instid1(VALU_DEP_2)
	v_cndmask_b32_e64 v116, v32, 0x78, vcc_lo
	v_and_b32_e32 v32, 0x7fffff, v66
	v_dual_add_nc_u32 v66, 20, v116 :: v_dual_add_nc_u32 v69, 19, v116
	s_delay_alu instid0(VALU_DEP_2) | instskip(NEXT) | instid1(VALU_DEP_2)
	v_or_b32_e32 v68, 0x800000, v32
	v_lshlrev_b64_e64 v[66:67], v66, -1
	s_delay_alu instid0(VALU_DEP_2) | instskip(NEXT) | instid1(VALU_DEP_4)
	v_cndmask_b32_e32 v32, v68, v32, vcc_lo
	v_lshlrev_b64_e64 v[68:69], v69, 1
	s_delay_alu instid0(VALU_DEP_3) | instskip(NEXT) | instid1(VALU_DEP_3)
	v_bfi_b32 v119, v67, 0, 0
	v_bfi_b32 v118, v66, 0, v32
	v_lshrrev_b64 v[66:67], v116, v[32:33]
	s_delay_alu instid0(VALU_DEP_2) | instskip(NEXT) | instid1(VALU_DEP_2)
	v_cmp_eq_u64_e64 s7, v[118:119], v[68:69]
	v_mov_b64_e32 v[68:69], v[66:67]
	s_and_saveexec_b32 s40, s7
; %bb.4847:                             ;   in Loop: Header=BB2_4419 Depth=2
	v_bfe_u32 v32, v66, 20, 1
	s_delay_alu instid0(VALU_DEP_1) | instskip(NEXT) | instid1(VALU_DEP_1)
	v_add_nc_u64_e32 v[68:69], v[66:67], v[32:33]
	v_add_nc_u64_e32 v[68:69], -1, v[68:69]
; %bb.4848:                             ;   in Loop: Header=BB2_4419 Depth=2
	s_or_b32 exec_lo, exec_lo, s40
	v_add_nc_u32_e32 v32, 0xffffff81, v84
	v_lshrrev_b32_e32 v67, 23, v66
	s_mov_b32 s7, exec_lo
	s_delay_alu instid0(VALU_DEP_2) | instskip(NEXT) | instid1(VALU_DEP_1)
	v_cndmask_b32_e64 v32, v32, 0xffffff82, vcc_lo
	v_add3_u32 v69, v116, v32, v67
	v_and_b32_e32 v32, 0xfffff, v68
                                        ; implicit-def: $vgpr68
	s_delay_alu instid0(VALU_DEP_1) | instskip(NEXT) | instid1(VALU_DEP_1)
	v_dual_add_nc_u32 v84, 6, v69 :: v_dual_add_nc_u32 v32, v32, v66
                                        ; implicit-def: $vgpr66_vgpr67
	v_cmpx_ne_u32_e32 0, v84
	s_xor_b32 s7, exec_lo, s7
; %bb.4849:                             ;   in Loop: Header=BB2_4419 Depth=2
	s_delay_alu instid0(VALU_DEP_2) | instskip(SKIP_1) | instid1(VALU_DEP_1)
	v_cmp_lt_u64_e32 vcc_lo, 0xffffff, v[32:33]
	v_add_nc_u32_e32 v66, 7, v69
	v_cndmask_b32_e32 v68, v84, v66, vcc_lo
	v_cndmask_b32_e64 v66, 0, 1, vcc_lo
	s_delay_alu instid0(VALU_DEP_1)
	v_lshrrev_b64 v[66:67], v66, v[32:33]
; %bb.4850:                             ;   in Loop: Header=BB2_4419 Depth=2
	s_and_not1_saveexec_b32 s7, s7
; %bb.4851:                             ;   in Loop: Header=BB2_4419 Depth=2
	v_mov_b64_e32 v[66:67], v[32:33]
	v_bfe_u32 v68, v32, 23, 1
; %bb.4852:                             ;   in Loop: Header=BB2_4419 Depth=2
	s_or_b32 exec_lo, exec_lo, s7
	s_delay_alu instid0(VALU_DEP_2) | instskip(NEXT) | instid1(VALU_DEP_2)
	v_lshrrev_b64 v[66:67], 20, v[66:67]
	v_cmp_gt_i32_e32 vcc_lo, 16, v68
	v_cmp_ne_u32_e64 s7, 0, v68
                                        ; implicit-def: $vgpr84
	s_delay_alu instid0(VALU_DEP_3) | instskip(NEXT) | instid1(VALU_DEP_1)
	v_dual_cndmask_b32 v67, 0, v67 :: v_dual_cndmask_b32 v66, 7, v66
	v_cmp_ne_u64_e32 vcc_lo, 0, v[66:67]
	s_or_b32 s7, s7, vcc_lo
	s_delay_alu instid0(SALU_CYCLE_1) | instskip(NEXT) | instid1(SALU_CYCLE_1)
	s_and_saveexec_b32 s40, s7
	s_xor_b32 s7, exec_lo, s40
; %bb.4853:                             ;   in Loop: Header=BB2_4419 Depth=2
	v_min_i32_e32 v32, 15, v68
	s_delay_alu instid0(VALU_DEP_1) | instskip(NEXT) | instid1(VALU_DEP_1)
	v_lshl_or_b32 v32, v32, 3, v115
                                        ; implicit-def: $vgpr115
	v_and_or_b32 v84, v66, 7, v32
; %bb.4854:                             ;   in Loop: Header=BB2_4419 Depth=2
	s_and_not1_saveexec_b32 s7, s7
; %bb.4855:                             ;   in Loop: Header=BB2_4419 Depth=2
	v_mov_b32_e32 v84, v115
; %bb.4856:                             ;   in Loop: Header=BB2_4419 Depth=2
	s_or_b32 exec_lo, exec_lo, s7
.LBB2_4857:                             ;   in Loop: Header=BB2_4419 Depth=2
	s_delay_alu instid0(SALU_CYCLE_1)
	s_or_b32 exec_lo, exec_lo, s29
                                        ; implicit-def: $vgpr115
.LBB2_4858:                             ;   in Loop: Header=BB2_4419 Depth=2
	s_and_not1_saveexec_b32 s7, s11
; %bb.4859:                             ;   in Loop: Header=BB2_4419 Depth=2
	v_or_b32_e32 v84, 0x7e, v115
; %bb.4860:                             ;   in Loop: Header=BB2_4419 Depth=2
	s_or_b32 exec_lo, exec_lo, s7
                                        ; implicit-def: $vgpr67
.LBB2_4861:                             ;   in Loop: Header=BB2_4419 Depth=2
	s_and_not1_saveexec_b32 s7, s10
; %bb.4862:                             ;   in Loop: Header=BB2_4419 Depth=2
	v_or_b32_e32 v84, 0x7f, v67
; %bb.4863:                             ;   in Loop: Header=BB2_4419 Depth=2
	s_or_b32 exec_lo, exec_lo, s7
	v_and_b32_e32 v32, 0xff, v83
	v_dual_mov_b32 v66, 0 :: v_dual_mov_b32 v67, 0
	s_mov_b32 s7, exec_lo
	s_delay_alu instid0(VALU_DEP_2)
	v_cmpx_ne_u16_e32 0, v32
	s_cbranch_execz .LBB2_4871
; %bb.4864:                             ;   in Loop: Header=BB2_4419 Depth=2
	v_bfrev_b32_e32 v67, 1
	s_mov_b32 s10, exec_lo
	v_cmpx_ne_u16_e32 0x80, v32
	s_cbranch_execz .LBB2_4870
; %bb.4865:                             ;   in Loop: Header=BB2_4419 Depth=2
	v_and_b32_e32 v68, 0x7f, v83
	v_mov_b32_e32 v67, 0x7f800001
	s_mov_b32 s11, exec_lo
	s_delay_alu instid0(VALU_DEP_2)
	v_cmpx_ne_u32_e32 0x7f, v68
	s_cbranch_execz .LBB2_4869
; %bb.4866:                             ;   in Loop: Header=BB2_4419 Depth=2
	v_and_b32_e32 v32, 7, v32
	v_lshrrev_b32_e32 v67, 3, v68
	s_mov_b32 s29, exec_lo
	v_cmpx_gt_u32_e32 8, v68
; %bb.4867:                             ;   in Loop: Header=BB2_4419 Depth=2
	s_delay_alu instid0(VALU_DEP_3) | instskip(NEXT) | instid1(VALU_DEP_1)
	v_clz_i32_u32_e32 v67, v32
	v_min_u32_e32 v67, 32, v67
	s_delay_alu instid0(VALU_DEP_1) | instskip(NEXT) | instid1(VALU_DEP_1)
	v_subrev_nc_u32_e32 v68, 28, v67
	v_lshlrev_b64_e32 v[68:69], v68, v[32:33]
	s_delay_alu instid0(VALU_DEP_1)
	v_dual_sub_nc_u32 v67, 29, v67 :: v_dual_bitop2_b32 v32, 7, v68 bitop3:0x40
; %bb.4868:                             ;   in Loop: Header=BB2_4419 Depth=2
	s_or_b32 exec_lo, exec_lo, s29
	s_delay_alu instid0(VALU_DEP_1) | instskip(NEXT) | instid1(VALU_DEP_2)
	v_dual_lshlrev_b32 v68, 24, v83 :: v_dual_lshlrev_b32 v32, 20, v32
	v_lshl_add_u32 v67, v67, 23, 0x3c000000
	s_delay_alu instid0(VALU_DEP_2) | instskip(NEXT) | instid1(VALU_DEP_1)
	v_and_b32_e32 v68, 0x80000000, v68
	v_or3_b32 v67, v32, v68, v67
.LBB2_4869:                             ;   in Loop: Header=BB2_4419 Depth=2
	s_or_b32 exec_lo, exec_lo, s11
.LBB2_4870:                             ;   in Loop: Header=BB2_4419 Depth=2
	s_delay_alu instid0(SALU_CYCLE_1)
	s_or_b32 exec_lo, exec_lo, s10
.LBB2_4871:                             ;   in Loop: Header=BB2_4419 Depth=2
	s_delay_alu instid0(SALU_CYCLE_1) | instskip(SKIP_3) | instid1(VALU_DEP_1)
	s_or_b32 exec_lo, exec_lo, s7
	s_wait_loadcnt_dscnt 0x101
	v_and_b32_e32 v32, 0xff, v113
	s_mov_b32 s7, exec_lo
	v_cmpx_ne_u16_e32 0, v32
	s_cbranch_execz .LBB2_4879
; %bb.4872:                             ;   in Loop: Header=BB2_4419 Depth=2
	v_bfrev_b32_e32 v66, 1
	s_mov_b32 s10, exec_lo
	v_cmpx_ne_u16_e32 0x80, v32
	s_cbranch_execz .LBB2_4878
; %bb.4873:                             ;   in Loop: Header=BB2_4419 Depth=2
	v_and_b32_e32 v68, 0x7f, v113
	v_mov_b32_e32 v66, 0x7f800001
	s_mov_b32 s11, exec_lo
	s_delay_alu instid0(VALU_DEP_2)
	v_cmpx_ne_u32_e32 0x7f, v68
	s_cbranch_execz .LBB2_4877
; %bb.4874:                             ;   in Loop: Header=BB2_4419 Depth=2
	v_and_b32_e32 v32, 7, v32
	v_lshrrev_b32_e32 v66, 3, v68
	s_mov_b32 s29, exec_lo
	v_cmpx_gt_u32_e32 8, v68
; %bb.4875:                             ;   in Loop: Header=BB2_4419 Depth=2
	s_delay_alu instid0(VALU_DEP_3) | instskip(NEXT) | instid1(VALU_DEP_1)
	v_clz_i32_u32_e32 v66, v32
	v_min_u32_e32 v66, 32, v66
	s_delay_alu instid0(VALU_DEP_1) | instskip(NEXT) | instid1(VALU_DEP_1)
	v_subrev_nc_u32_e32 v68, 28, v66
	v_lshlrev_b64_e32 v[68:69], v68, v[32:33]
	s_delay_alu instid0(VALU_DEP_1)
	v_dual_sub_nc_u32 v66, 29, v66 :: v_dual_bitop2_b32 v32, 7, v68 bitop3:0x40
; %bb.4876:                             ;   in Loop: Header=BB2_4419 Depth=2
	s_or_b32 exec_lo, exec_lo, s29
	s_delay_alu instid0(VALU_DEP_1) | instskip(NEXT) | instid1(VALU_DEP_2)
	v_dual_lshlrev_b32 v68, 24, v113 :: v_dual_lshlrev_b32 v32, 20, v32
	v_lshl_add_u32 v66, v66, 23, 0x3c000000
	s_delay_alu instid0(VALU_DEP_2) | instskip(NEXT) | instid1(VALU_DEP_1)
	v_and_b32_e32 v68, 0x80000000, v68
	v_or3_b32 v66, v32, v68, v66
.LBB2_4877:                             ;   in Loop: Header=BB2_4419 Depth=2
	s_or_b32 exec_lo, exec_lo, s11
.LBB2_4878:                             ;   in Loop: Header=BB2_4419 Depth=2
	s_delay_alu instid0(SALU_CYCLE_1)
	s_or_b32 exec_lo, exec_lo, s10
.LBB2_4879:                             ;   in Loop: Header=BB2_4419 Depth=2
	s_delay_alu instid0(SALU_CYCLE_1) | instskip(NEXT) | instid1(VALU_DEP_1)
	s_or_b32 exec_lo, exec_lo, s7
	v_add_f32_e32 v66, v67, v66
                                        ; implicit-def: $vgpr83
	s_mov_b32 s7, exec_lo
	s_delay_alu instid0(VALU_DEP_1) | instskip(SKIP_1) | instid1(VALU_DEP_2)
	v_and_b32_e32 v32, 0x7f800000, v66
	v_lshrrev_b32_e32 v67, 24, v66
	v_cmpx_ne_u64_e32 0x7f800000, v[32:33]
	s_xor_b32 s10, exec_lo, s7
	s_cbranch_execz .LBB2_4897
; %bb.4880:                             ;   in Loop: Header=BB2_4419 Depth=2
	v_and_b32_e32 v32, 0x7fffffff, v66
	v_and_b32_e32 v113, 0x80, v67
                                        ; implicit-def: $vgpr83
	s_mov_b32 s7, exec_lo
	s_delay_alu instid0(VALU_DEP_2)
	v_cmpx_gt_u64_e32 0x43e00001, v[32:33]
	s_xor_b32 s11, exec_lo, s7
	s_cbranch_execz .LBB2_4894
; %bb.4881:                             ;   in Loop: Header=BB2_4419 Depth=2
	v_mov_b32_e32 v83, 0
	s_mov_b32 s29, exec_lo
	v_cmpx_ne_u32_e32 0, v66
	s_cbranch_execz .LBB2_4893
; %bb.4882:                             ;   in Loop: Header=BB2_4419 Depth=2
	v_bfe_u32 v83, v66, 23, 8
	s_delay_alu instid0(VALU_DEP_1) | instskip(SKIP_1) | instid1(VALU_DEP_2)
	v_sub_nc_u32_e32 v32, 0x79, v83
	v_cmp_gt_u32_e32 vcc_lo, 0x7a, v83
	v_cndmask_b32_e32 v32, 0, v32, vcc_lo
	v_cmp_eq_u32_e32 vcc_lo, 0, v83
	s_delay_alu instid0(VALU_DEP_2) | instskip(SKIP_1) | instid1(VALU_DEP_2)
	v_cndmask_b32_e64 v115, v32, 0x78, vcc_lo
	v_and_b32_e32 v32, 0x7fffff, v66
	v_add_nc_u32_e32 v66, 20, v115
	s_delay_alu instid0(VALU_DEP_2) | instskip(SKIP_1) | instid1(VALU_DEP_3)
	v_or_b32_e32 v68, 0x800000, v32
	v_add_nc_u32_e32 v69, 19, v115
	v_lshlrev_b64_e64 v[66:67], v66, -1
	s_delay_alu instid0(VALU_DEP_3) | instskip(NEXT) | instid1(VALU_DEP_3)
	v_cndmask_b32_e32 v32, v68, v32, vcc_lo
	v_lshlrev_b64_e64 v[68:69], v69, 1
	s_delay_alu instid0(VALU_DEP_3) | instskip(NEXT) | instid1(VALU_DEP_3)
	v_bfi_b32 v117, v67, 0, 0
	v_bfi_b32 v116, v66, 0, v32
	v_lshrrev_b64 v[66:67], v115, v[32:33]
	s_delay_alu instid0(VALU_DEP_2) | instskip(NEXT) | instid1(VALU_DEP_2)
	v_cmp_eq_u64_e64 s7, v[116:117], v[68:69]
	v_mov_b64_e32 v[68:69], v[66:67]
	s_and_saveexec_b32 s40, s7
; %bb.4883:                             ;   in Loop: Header=BB2_4419 Depth=2
	v_bfe_u32 v32, v66, 20, 1
	s_delay_alu instid0(VALU_DEP_1) | instskip(NEXT) | instid1(VALU_DEP_1)
	v_add_nc_u64_e32 v[68:69], v[66:67], v[32:33]
	v_add_nc_u64_e32 v[68:69], -1, v[68:69]
; %bb.4884:                             ;   in Loop: Header=BB2_4419 Depth=2
	s_or_b32 exec_lo, exec_lo, s40
	v_add_nc_u32_e32 v32, 0xffffff81, v83
	v_lshrrev_b32_e32 v67, 23, v66
	s_mov_b32 s7, exec_lo
	s_delay_alu instid0(VALU_DEP_2) | instskip(NEXT) | instid1(VALU_DEP_1)
	v_cndmask_b32_e64 v32, v32, 0xffffff82, vcc_lo
	v_add3_u32 v69, v115, v32, v67
	v_and_b32_e32 v32, 0xfffff, v68
                                        ; implicit-def: $vgpr68
	s_delay_alu instid0(VALU_DEP_1) | instskip(NEXT) | instid1(VALU_DEP_1)
	v_dual_add_nc_u32 v83, 6, v69 :: v_dual_add_nc_u32 v32, v32, v66
                                        ; implicit-def: $vgpr66_vgpr67
	v_cmpx_ne_u32_e32 0, v83
	s_xor_b32 s7, exec_lo, s7
; %bb.4885:                             ;   in Loop: Header=BB2_4419 Depth=2
	s_delay_alu instid0(VALU_DEP_2) | instskip(SKIP_1) | instid1(VALU_DEP_1)
	v_cmp_lt_u64_e32 vcc_lo, 0xffffff, v[32:33]
	v_add_nc_u32_e32 v66, 7, v69
	v_cndmask_b32_e32 v68, v83, v66, vcc_lo
	v_cndmask_b32_e64 v66, 0, 1, vcc_lo
	s_delay_alu instid0(VALU_DEP_1)
	v_lshrrev_b64 v[66:67], v66, v[32:33]
; %bb.4886:                             ;   in Loop: Header=BB2_4419 Depth=2
	s_and_not1_saveexec_b32 s7, s7
; %bb.4887:                             ;   in Loop: Header=BB2_4419 Depth=2
	v_mov_b64_e32 v[66:67], v[32:33]
	v_bfe_u32 v68, v32, 23, 1
; %bb.4888:                             ;   in Loop: Header=BB2_4419 Depth=2
	s_or_b32 exec_lo, exec_lo, s7
	s_delay_alu instid0(VALU_DEP_2) | instskip(NEXT) | instid1(VALU_DEP_2)
	v_lshrrev_b64 v[66:67], 20, v[66:67]
	v_cmp_gt_i32_e32 vcc_lo, 16, v68
	v_cmp_ne_u32_e64 s7, 0, v68
                                        ; implicit-def: $vgpr83
	s_delay_alu instid0(VALU_DEP_3) | instskip(NEXT) | instid1(VALU_DEP_1)
	v_dual_cndmask_b32 v67, 0, v67 :: v_dual_cndmask_b32 v66, 7, v66
	v_cmp_ne_u64_e32 vcc_lo, 0, v[66:67]
	s_or_b32 s7, s7, vcc_lo
	s_delay_alu instid0(SALU_CYCLE_1) | instskip(NEXT) | instid1(SALU_CYCLE_1)
	s_and_saveexec_b32 s40, s7
	s_xor_b32 s7, exec_lo, s40
; %bb.4889:                             ;   in Loop: Header=BB2_4419 Depth=2
	v_min_i32_e32 v32, 15, v68
	s_delay_alu instid0(VALU_DEP_1) | instskip(NEXT) | instid1(VALU_DEP_1)
	v_lshl_or_b32 v32, v32, 3, v113
                                        ; implicit-def: $vgpr113
	v_and_or_b32 v83, v66, 7, v32
; %bb.4890:                             ;   in Loop: Header=BB2_4419 Depth=2
	s_and_not1_saveexec_b32 s7, s7
; %bb.4891:                             ;   in Loop: Header=BB2_4419 Depth=2
	v_mov_b32_e32 v83, v113
; %bb.4892:                             ;   in Loop: Header=BB2_4419 Depth=2
	s_or_b32 exec_lo, exec_lo, s7
.LBB2_4893:                             ;   in Loop: Header=BB2_4419 Depth=2
	s_delay_alu instid0(SALU_CYCLE_1)
	s_or_b32 exec_lo, exec_lo, s29
                                        ; implicit-def: $vgpr113
.LBB2_4894:                             ;   in Loop: Header=BB2_4419 Depth=2
	s_and_not1_saveexec_b32 s7, s11
; %bb.4895:                             ;   in Loop: Header=BB2_4419 Depth=2
	v_or_b32_e32 v83, 0x7e, v113
; %bb.4896:                             ;   in Loop: Header=BB2_4419 Depth=2
	s_or_b32 exec_lo, exec_lo, s7
                                        ; implicit-def: $vgpr67
.LBB2_4897:                             ;   in Loop: Header=BB2_4419 Depth=2
	s_and_not1_saveexec_b32 s7, s10
; %bb.4898:                             ;   in Loop: Header=BB2_4419 Depth=2
	v_or_b32_e32 v83, 0x7f, v67
; %bb.4899:                             ;   in Loop: Header=BB2_4419 Depth=2
	s_or_b32 exec_lo, exec_lo, s7
	v_and_b32_e32 v32, 0xff, v80
	v_dual_mov_b32 v66, 0 :: v_dual_mov_b32 v67, 0
	s_mov_b32 s7, exec_lo
	s_delay_alu instid0(VALU_DEP_2)
	v_cmpx_ne_u16_e32 0, v32
	s_cbranch_execz .LBB2_4907
; %bb.4900:                             ;   in Loop: Header=BB2_4419 Depth=2
	v_bfrev_b32_e32 v67, 1
	s_mov_b32 s10, exec_lo
	v_cmpx_ne_u16_e32 0x80, v32
	s_cbranch_execz .LBB2_4906
; %bb.4901:                             ;   in Loop: Header=BB2_4419 Depth=2
	v_and_b32_e32 v68, 0x7f, v80
	v_mov_b32_e32 v67, 0x7f800001
	s_mov_b32 s11, exec_lo
	s_delay_alu instid0(VALU_DEP_2)
	v_cmpx_ne_u32_e32 0x7f, v68
	s_cbranch_execz .LBB2_4905
; %bb.4902:                             ;   in Loop: Header=BB2_4419 Depth=2
	v_and_b32_e32 v32, 7, v32
	v_lshrrev_b32_e32 v67, 3, v68
	s_mov_b32 s29, exec_lo
	v_cmpx_gt_u32_e32 8, v68
; %bb.4903:                             ;   in Loop: Header=BB2_4419 Depth=2
	s_delay_alu instid0(VALU_DEP_3) | instskip(NEXT) | instid1(VALU_DEP_1)
	v_clz_i32_u32_e32 v67, v32
	v_min_u32_e32 v67, 32, v67
	s_delay_alu instid0(VALU_DEP_1) | instskip(NEXT) | instid1(VALU_DEP_1)
	v_subrev_nc_u32_e32 v68, 28, v67
	v_lshlrev_b64_e32 v[68:69], v68, v[32:33]
	s_delay_alu instid0(VALU_DEP_1)
	v_dual_sub_nc_u32 v67, 29, v67 :: v_dual_bitop2_b32 v32, 7, v68 bitop3:0x40
; %bb.4904:                             ;   in Loop: Header=BB2_4419 Depth=2
	s_or_b32 exec_lo, exec_lo, s29
	v_lshlrev_b32_e32 v68, 24, v80
	s_delay_alu instid0(VALU_DEP_2) | instskip(NEXT) | instid1(VALU_DEP_3)
	v_lshlrev_b32_e32 v32, 20, v32
	v_lshl_add_u32 v67, v67, 23, 0x3c000000
	s_delay_alu instid0(VALU_DEP_3) | instskip(NEXT) | instid1(VALU_DEP_1)
	v_and_b32_e32 v68, 0x80000000, v68
	v_or3_b32 v67, v32, v68, v67
.LBB2_4905:                             ;   in Loop: Header=BB2_4419 Depth=2
	s_or_b32 exec_lo, exec_lo, s11
.LBB2_4906:                             ;   in Loop: Header=BB2_4419 Depth=2
	s_delay_alu instid0(SALU_CYCLE_1)
	s_or_b32 exec_lo, exec_lo, s10
.LBB2_4907:                             ;   in Loop: Header=BB2_4419 Depth=2
	s_delay_alu instid0(SALU_CYCLE_1) | instskip(SKIP_3) | instid1(VALU_DEP_1)
	s_or_b32 exec_lo, exec_lo, s7
	s_wait_loadcnt_dscnt 0x0
	v_and_b32_e32 v32, 0xff, v81
	s_mov_b32 s7, exec_lo
	v_cmpx_ne_u16_e32 0, v32
	s_cbranch_execz .LBB2_4915
; %bb.4908:                             ;   in Loop: Header=BB2_4419 Depth=2
	v_bfrev_b32_e32 v66, 1
	s_mov_b32 s10, exec_lo
	v_cmpx_ne_u16_e32 0x80, v32
	s_cbranch_execz .LBB2_4914
; %bb.4909:                             ;   in Loop: Header=BB2_4419 Depth=2
	v_and_b32_e32 v68, 0x7f, v81
	v_mov_b32_e32 v66, 0x7f800001
	s_mov_b32 s11, exec_lo
	s_delay_alu instid0(VALU_DEP_2)
	v_cmpx_ne_u32_e32 0x7f, v68
	s_cbranch_execz .LBB2_4913
; %bb.4910:                             ;   in Loop: Header=BB2_4419 Depth=2
	v_and_b32_e32 v32, 7, v32
	v_lshrrev_b32_e32 v66, 3, v68
	s_mov_b32 s29, exec_lo
	v_cmpx_gt_u32_e32 8, v68
; %bb.4911:                             ;   in Loop: Header=BB2_4419 Depth=2
	s_delay_alu instid0(VALU_DEP_3) | instskip(NEXT) | instid1(VALU_DEP_1)
	v_clz_i32_u32_e32 v66, v32
	v_min_u32_e32 v66, 32, v66
	s_delay_alu instid0(VALU_DEP_1) | instskip(NEXT) | instid1(VALU_DEP_1)
	v_subrev_nc_u32_e32 v68, 28, v66
	v_lshlrev_b64_e32 v[68:69], v68, v[32:33]
	s_delay_alu instid0(VALU_DEP_1)
	v_dual_sub_nc_u32 v66, 29, v66 :: v_dual_bitop2_b32 v32, 7, v68 bitop3:0x40
; %bb.4912:                             ;   in Loop: Header=BB2_4419 Depth=2
	s_or_b32 exec_lo, exec_lo, s29
	s_delay_alu instid0(VALU_DEP_1) | instskip(NEXT) | instid1(VALU_DEP_2)
	v_dual_lshlrev_b32 v68, 24, v81 :: v_dual_lshlrev_b32 v32, 20, v32
	v_lshl_add_u32 v66, v66, 23, 0x3c000000
	s_delay_alu instid0(VALU_DEP_2) | instskip(NEXT) | instid1(VALU_DEP_1)
	v_and_b32_e32 v68, 0x80000000, v68
	v_or3_b32 v66, v32, v68, v66
.LBB2_4913:                             ;   in Loop: Header=BB2_4419 Depth=2
	s_or_b32 exec_lo, exec_lo, s11
.LBB2_4914:                             ;   in Loop: Header=BB2_4419 Depth=2
	s_delay_alu instid0(SALU_CYCLE_1)
	s_or_b32 exec_lo, exec_lo, s10
.LBB2_4915:                             ;   in Loop: Header=BB2_4419 Depth=2
	s_delay_alu instid0(SALU_CYCLE_1) | instskip(NEXT) | instid1(VALU_DEP_1)
	s_or_b32 exec_lo, exec_lo, s7
	v_add_f32_e32 v66, v67, v66
	s_delay_alu instid0(VALU_DEP_1) | instskip(SKIP_1) | instid1(VALU_DEP_2)
	v_and_b32_e32 v32, 0x7f800000, v66
	v_lshrrev_b32_e32 v67, 24, v66
	v_cmp_ne_u64_e32 vcc_lo, 0x7f800000, v[32:33]
                                        ; implicit-def: $vgpr32
	s_and_saveexec_b32 s7, vcc_lo
	s_delay_alu instid0(SALU_CYCLE_1)
	s_xor_b32 s10, exec_lo, s7
	s_cbranch_execz .LBB2_4933
; %bb.4916:                             ;   in Loop: Header=BB2_4419 Depth=2
	v_and_b32_e32 v32, 0x7fffffff, v66
	v_and_b32_e32 v80, 0x80, v67
	s_delay_alu instid0(VALU_DEP_2) | instskip(SKIP_1) | instid1(SALU_CYCLE_1)
	v_cmp_gt_u64_e32 vcc_lo, 0x43e00001, v[32:33]
                                        ; implicit-def: $vgpr32
	s_and_saveexec_b32 s7, vcc_lo
	s_xor_b32 s11, exec_lo, s7
	s_cbranch_execz .LBB2_4930
; %bb.4917:                             ;   in Loop: Header=BB2_4419 Depth=2
	v_mov_b32_e32 v32, 0
	s_mov_b32 s29, exec_lo
	v_cmpx_ne_u32_e32 0, v66
	s_cbranch_execz .LBB2_4929
; %bb.4918:                             ;   in Loop: Header=BB2_4419 Depth=2
	v_bfe_u32 v81, v66, 23, 8
	s_delay_alu instid0(VALU_DEP_1) | instskip(SKIP_1) | instid1(VALU_DEP_2)
	v_sub_nc_u32_e32 v32, 0x79, v81
	v_cmp_gt_u32_e32 vcc_lo, 0x7a, v81
	v_cndmask_b32_e32 v32, 0, v32, vcc_lo
	v_cmp_eq_u32_e32 vcc_lo, 0, v81
	s_delay_alu instid0(VALU_DEP_2) | instskip(SKIP_1) | instid1(VALU_DEP_2)
	v_cndmask_b32_e64 v113, v32, 0x78, vcc_lo
	v_and_b32_e32 v32, 0x7fffff, v66
	v_add_nc_u32_e32 v66, 20, v113
	s_delay_alu instid0(VALU_DEP_2) | instskip(SKIP_1) | instid1(VALU_DEP_3)
	v_or_b32_e32 v68, 0x800000, v32
	v_add_nc_u32_e32 v69, 19, v113
	v_lshlrev_b64_e64 v[66:67], v66, -1
	s_delay_alu instid0(VALU_DEP_3) | instskip(NEXT) | instid1(VALU_DEP_3)
	v_cndmask_b32_e32 v32, v68, v32, vcc_lo
	v_lshlrev_b64_e64 v[68:69], v69, 1
	s_delay_alu instid0(VALU_DEP_3) | instskip(NEXT) | instid1(VALU_DEP_3)
	v_bfi_b32 v117, v67, 0, 0
	v_bfi_b32 v116, v66, 0, v32
	v_lshrrev_b64 v[66:67], v113, v[32:33]
	s_delay_alu instid0(VALU_DEP_2) | instskip(NEXT) | instid1(VALU_DEP_2)
	v_cmp_eq_u64_e64 s7, v[116:117], v[68:69]
	v_mov_b64_e32 v[68:69], v[66:67]
	s_and_saveexec_b32 s40, s7
; %bb.4919:                             ;   in Loop: Header=BB2_4419 Depth=2
	v_bfe_u32 v32, v66, 20, 1
	s_delay_alu instid0(VALU_DEP_1) | instskip(NEXT) | instid1(VALU_DEP_1)
	v_add_nc_u64_e32 v[68:69], v[66:67], v[32:33]
	v_add_nc_u64_e32 v[68:69], -1, v[68:69]
; %bb.4920:                             ;   in Loop: Header=BB2_4419 Depth=2
	s_or_b32 exec_lo, exec_lo, s40
	v_add_nc_u32_e32 v32, 0xffffff81, v81
	v_lshrrev_b32_e32 v67, 23, v66
	s_mov_b32 s7, exec_lo
	s_delay_alu instid0(VALU_DEP_2) | instskip(NEXT) | instid1(VALU_DEP_1)
	v_cndmask_b32_e64 v32, v32, 0xffffff82, vcc_lo
	v_add3_u32 v69, v113, v32, v67
	v_and_b32_e32 v32, 0xfffff, v68
                                        ; implicit-def: $vgpr68
	s_delay_alu instid0(VALU_DEP_1) | instskip(NEXT) | instid1(VALU_DEP_1)
	v_dual_add_nc_u32 v81, 6, v69 :: v_dual_add_nc_u32 v32, v32, v66
                                        ; implicit-def: $vgpr66_vgpr67
	v_cmpx_ne_u32_e32 0, v81
	s_xor_b32 s7, exec_lo, s7
; %bb.4921:                             ;   in Loop: Header=BB2_4419 Depth=2
	s_delay_alu instid0(VALU_DEP_2) | instskip(SKIP_1) | instid1(VALU_DEP_1)
	v_cmp_lt_u64_e32 vcc_lo, 0xffffff, v[32:33]
	v_add_nc_u32_e32 v66, 7, v69
	v_cndmask_b32_e32 v68, v81, v66, vcc_lo
	v_cndmask_b32_e64 v66, 0, 1, vcc_lo
	s_delay_alu instid0(VALU_DEP_1)
	v_lshrrev_b64 v[66:67], v66, v[32:33]
; %bb.4922:                             ;   in Loop: Header=BB2_4419 Depth=2
	s_and_not1_saveexec_b32 s7, s7
; %bb.4923:                             ;   in Loop: Header=BB2_4419 Depth=2
	v_mov_b64_e32 v[66:67], v[32:33]
	v_bfe_u32 v68, v32, 23, 1
; %bb.4924:                             ;   in Loop: Header=BB2_4419 Depth=2
	s_or_b32 exec_lo, exec_lo, s7
	s_delay_alu instid0(VALU_DEP_2) | instskip(NEXT) | instid1(VALU_DEP_2)
	v_lshrrev_b64 v[66:67], 20, v[66:67]
	v_cmp_gt_i32_e32 vcc_lo, 16, v68
	v_cmp_ne_u32_e64 s7, 0, v68
                                        ; implicit-def: $vgpr32
	s_delay_alu instid0(VALU_DEP_3) | instskip(NEXT) | instid1(VALU_DEP_1)
	v_dual_cndmask_b32 v67, 0, v67 :: v_dual_cndmask_b32 v66, 7, v66
	v_cmp_ne_u64_e32 vcc_lo, 0, v[66:67]
	s_or_b32 s7, s7, vcc_lo
	s_delay_alu instid0(SALU_CYCLE_1) | instskip(NEXT) | instid1(SALU_CYCLE_1)
	s_and_saveexec_b32 s40, s7
	s_xor_b32 s7, exec_lo, s40
; %bb.4925:                             ;   in Loop: Header=BB2_4419 Depth=2
	v_min_i32_e32 v32, 15, v68
	s_delay_alu instid0(VALU_DEP_1) | instskip(NEXT) | instid1(VALU_DEP_1)
	v_lshl_or_b32 v32, v32, 3, v80
                                        ; implicit-def: $vgpr80
	v_and_or_b32 v32, v66, 7, v32
; %bb.4926:                             ;   in Loop: Header=BB2_4419 Depth=2
	s_and_not1_saveexec_b32 s7, s7
; %bb.4927:                             ;   in Loop: Header=BB2_4419 Depth=2
	v_mov_b32_e32 v32, v80
; %bb.4928:                             ;   in Loop: Header=BB2_4419 Depth=2
	s_or_b32 exec_lo, exec_lo, s7
.LBB2_4929:                             ;   in Loop: Header=BB2_4419 Depth=2
	s_delay_alu instid0(SALU_CYCLE_1)
	s_or_b32 exec_lo, exec_lo, s29
                                        ; implicit-def: $vgpr80
.LBB2_4930:                             ;   in Loop: Header=BB2_4419 Depth=2
	s_and_not1_saveexec_b32 s7, s11
; %bb.4931:                             ;   in Loop: Header=BB2_4419 Depth=2
	v_or_b32_e32 v32, 0x7e, v80
; %bb.4932:                             ;   in Loop: Header=BB2_4419 Depth=2
	s_or_b32 exec_lo, exec_lo, s7
                                        ; implicit-def: $vgpr67
.LBB2_4933:                             ;   in Loop: Header=BB2_4419 Depth=2
	s_and_not1_saveexec_b32 s7, s10
	s_cbranch_execz .LBB2_4418
; %bb.4934:                             ;   in Loop: Header=BB2_4419 Depth=2
	v_or_b32_e32 v32, 0x7f, v67
	s_branch .LBB2_4418
.LBB2_4935:                             ;   in Loop: Header=BB2_2573 Depth=1
	s_or_b32 exec_lo, exec_lo, s28
.LBB2_4936:                             ;   in Loop: Header=BB2_2573 Depth=1
	s_delay_alu instid0(SALU_CYCLE_1) | instskip(SKIP_1) | instid1(VALU_DEP_1)
	s_or_b32 exec_lo, exec_lo, s27
	v_and_b32_e32 v10, 0x3fffff00, v112
	v_cmp_ne_u32_e32 vcc_lo, v112, v10
	s_and_b32 exec_lo, exec_lo, vcc_lo
	s_cbranch_execz .LBB2_5008
; %bb.4937:                             ;   in Loop: Header=BB2_2573 Depth=1
	v_dual_lshlrev_b32 v11, 5, v70 :: v_dual_lshlrev_b32 v12, 5, v71
	s_delay_alu instid0(VALU_DEP_1) | instskip(NEXT) | instid1(VALU_DEP_1)
	v_sub_nc_u32_e32 v11, v30, v11
	v_sub_nc_u32_e32 v11, v11, v12
	v_and_b32_e32 v12, 0xff, v112
	s_delay_alu instid0(VALU_DEP_1) | instskip(NEXT) | instid1(VALU_DEP_1)
	v_sub_nc_u32_e32 v30, v12, v11
	v_cmp_lt_i32_e32 vcc_lo, 0, v30
	s_and_b32 exec_lo, exec_lo, vcc_lo
	s_cbranch_execz .LBB2_5008
; %bb.4938:                             ;   in Loop: Header=BB2_2573 Depth=1
	s_trap 2
	ds_load_b128 v[64:67], v0
	ds_load_b64 v[68:69], v0
	v_add3_u32 v70, v10, v101, v11
	s_mov_b32 s27, 0
	s_delay_alu instid0(VALU_DEP_1) | instskip(SKIP_1) | instid1(VALU_DEP_1)
	v_ashrrev_i32_e32 v71, 31, v70
	s_wait_dscnt 0x1
	v_add_nc_u64_e32 v[10:11], v[64:65], v[70:71]
	v_add_nc_u64_e32 v[12:13], v[66:67], v[70:71]
	s_wait_dscnt 0x0
	v_add_nc_u64_e32 v[64:65], v[68:69], v[70:71]
	s_branch .LBB2_4940
.LBB2_4939:                             ;   in Loop: Header=BB2_4940 Depth=2
	s_or_b32 exec_lo, exec_lo, s7
	v_sub_nc_u32_e32 v30, v30, v50
	flat_store_b8 v[64:65], v32 th:TH_STORE_NT
	v_add_nc_u64_e32 v[10:11], v[10:11], v[50:51]
	v_add_nc_u64_e32 v[12:13], v[12:13], v[50:51]
	s_wait_xcnt 0x0
	v_add_nc_u64_e32 v[64:65], v[64:65], v[50:51]
	v_cmp_gt_i32_e32 vcc_lo, 1, v30
	s_or_b32 s27, vcc_lo, s27
	s_delay_alu instid0(SALU_CYCLE_1)
	s_and_not1_b32 exec_lo, exec_lo, s27
	s_cbranch_execz .LBB2_5008
.LBB2_4940:                             ;   Parent Loop BB2_2573 Depth=1
                                        ; =>  This Inner Loop Header: Depth=2
	s_trap 2
	ds_load_b64 v[66:67], v0
	s_mov_b32 s7, 0
	s_wait_dscnt 0x0
	v_and_b32_e32 v32, 0xff, v66
	v_readfirstlane_b32 s10, v66
	v_readfirstlane_b32 s11, v67
	s_delay_alu instid0(VALU_DEP_3)
	v_cmp_eq_u32_e32 vcc_lo, 0, v32
	s_cbranch_vccnz .LBB2_4944
; %bb.4941:                             ;   in Loop: Header=BB2_4940 Depth=2
	v_cmp_eq_u32_e32 vcc_lo, 0x80, v32
	s_brev_b32 s7, 1
	s_cbranch_vccnz .LBB2_4944
; %bb.4942:                             ;   in Loop: Header=BB2_4940 Depth=2
	s_and_b32 s28, s10, 0x7f
	s_mov_b32 s7, 0x7f800001
	s_cmp_eq_u32 s28, 0x7f
	s_cbranch_scc1 .LBB2_4944
; %bb.4943:                             ;   in Loop: Header=BB2_4940 Depth=2
	s_and_b32 s7, s10, 7
	s_lshr_b32 s29, s28, 3
	s_clz_i32_u32 s7, s7
	s_delay_alu instid0(SALU_CYCLE_1) | instskip(NEXT) | instid1(SALU_CYCLE_1)
	s_min_u32 s7, s7, 32
	s_sub_co_i32 s40, s7, 28
	s_sub_co_i32 s7, 29, s7
	s_cmp_lt_u32 s28, 8
	s_cselect_b32 s28, s40, 0
	s_cselect_b32 s7, s7, s29
	s_lshl_b64 s[28:29], s[10:11], s28
	s_lshl_b32 s10, s10, 24
	s_lshl_b32 s11, s28, 20
	;; [unrolled: 1-line block ×3, first 2 shown]
	s_and_b32 s11, s11, 0x700000
	s_and_b32 s10, s10, 0x80000000
	s_add_co_i32 s7, s7, 0x3c000000
	s_or_b32 s10, s11, s10
	s_delay_alu instid0(SALU_CYCLE_1)
	s_or_b32 s7, s7, s10
.LBB2_4944:                             ;   in Loop: Header=BB2_4940 Depth=2
	flat_load_u8 v66, v[10:11] th:TH_LOAD_NT
	v_mov_b32_e32 v32, 0
	s_mov_b32 s10, exec_lo
	s_wait_loadcnt_dscnt 0x0
	v_cmpx_ne_u16_e32 0, v66
	s_cbranch_execz .LBB2_4952
; %bb.4945:                             ;   in Loop: Header=BB2_4940 Depth=2
	v_bfrev_b32_e32 v32, 1
	s_mov_b32 s11, exec_lo
	v_cmpx_ne_u16_e32 0x80, v66
	s_cbranch_execz .LBB2_4951
; %bb.4946:                             ;   in Loop: Header=BB2_4940 Depth=2
	v_and_b32_e32 v67, 0xffff, v66
	v_mov_b32_e32 v32, 0x7f800001
	s_mov_b32 s28, exec_lo
	s_delay_alu instid0(VALU_DEP_2) | instskip(NEXT) | instid1(VALU_DEP_1)
	v_and_b32_e32 v68, 0x7f, v67
	v_cmpx_ne_u32_e32 0x7f, v68
	s_cbranch_execz .LBB2_4950
; %bb.4947:                             ;   in Loop: Header=BB2_4940 Depth=2
	v_dual_lshrrev_b32 v67, 3, v68 :: v_dual_bitop2_b32 v32, 7, v67 bitop3:0x40
	s_mov_b32 s29, exec_lo
	v_cmpx_gt_u32_e32 8, v68
; %bb.4948:                             ;   in Loop: Header=BB2_4940 Depth=2
	s_delay_alu instid0(VALU_DEP_2) | instskip(NEXT) | instid1(VALU_DEP_1)
	v_clz_i32_u32_e32 v67, v32
	v_min_u32_e32 v67, 32, v67
	s_delay_alu instid0(VALU_DEP_1) | instskip(NEXT) | instid1(VALU_DEP_1)
	v_subrev_nc_u32_e32 v68, 28, v67
	v_lshlrev_b64_e32 v[68:69], v68, v[32:33]
	s_delay_alu instid0(VALU_DEP_1)
	v_dual_sub_nc_u32 v67, 29, v67 :: v_dual_bitop2_b32 v32, 7, v68 bitop3:0x40
; %bb.4949:                             ;   in Loop: Header=BB2_4940 Depth=2
	s_or_b32 exec_lo, exec_lo, s29
	s_delay_alu instid0(VALU_DEP_1) | instskip(NEXT) | instid1(VALU_DEP_2)
	v_dual_lshlrev_b32 v66, 24, v66 :: v_dual_lshlrev_b32 v32, 20, v32
	v_lshl_add_u32 v67, v67, 23, 0x3c000000
	s_delay_alu instid0(VALU_DEP_2) | instskip(NEXT) | instid1(VALU_DEP_1)
	v_and_b32_e32 v66, 0x80000000, v66
	v_or3_b32 v32, v32, v66, v67
.LBB2_4950:                             ;   in Loop: Header=BB2_4940 Depth=2
	s_or_b32 exec_lo, exec_lo, s28
.LBB2_4951:                             ;   in Loop: Header=BB2_4940 Depth=2
	s_delay_alu instid0(SALU_CYCLE_1)
	s_or_b32 exec_lo, exec_lo, s11
.LBB2_4952:                             ;   in Loop: Header=BB2_4940 Depth=2
	s_delay_alu instid0(SALU_CYCLE_1) | instskip(NEXT) | instid1(VALU_DEP_1)
	s_or_b32 exec_lo, exec_lo, s10
	v_mul_f32_e32 v66, s7, v32
                                        ; implicit-def: $vgpr67
	s_mov_b32 s7, exec_lo
	s_delay_alu instid0(VALU_DEP_1) | instskip(SKIP_1) | instid1(VALU_DEP_2)
	v_and_b32_e32 v32, 0x7f800000, v66
	v_lshrrev_b32_e32 v68, 24, v66
	v_cmpx_ne_u64_e32 0x7f800000, v[32:33]
	s_xor_b32 s10, exec_lo, s7
	s_cbranch_execz .LBB2_4970
; %bb.4953:                             ;   in Loop: Header=BB2_4940 Depth=2
	v_and_b32_e32 v32, 0x7fffffff, v66
	v_and_b32_e32 v70, 0x80, v68
                                        ; implicit-def: $vgpr67
	s_mov_b32 s7, exec_lo
	s_delay_alu instid0(VALU_DEP_2)
	v_cmpx_gt_u64_e32 0x43e00001, v[32:33]
	s_xor_b32 s11, exec_lo, s7
	s_cbranch_execz .LBB2_4967
; %bb.4954:                             ;   in Loop: Header=BB2_4940 Depth=2
	v_mov_b32_e32 v67, 0
	s_mov_b32 s28, exec_lo
	v_cmpx_ne_u32_e32 0, v66
	s_cbranch_execz .LBB2_4966
; %bb.4955:                             ;   in Loop: Header=BB2_4940 Depth=2
	v_bfe_u32 v71, v66, 23, 8
	s_delay_alu instid0(VALU_DEP_1) | instskip(SKIP_1) | instid1(VALU_DEP_2)
	v_sub_nc_u32_e32 v32, 0x79, v71
	v_cmp_gt_u32_e32 vcc_lo, 0x7a, v71
	v_cndmask_b32_e32 v32, 0, v32, vcc_lo
	v_cmp_eq_u32_e32 vcc_lo, 0, v71
	s_delay_alu instid0(VALU_DEP_2) | instskip(SKIP_1) | instid1(VALU_DEP_2)
	v_cndmask_b32_e64 v80, v32, 0x78, vcc_lo
	v_and_b32_e32 v32, 0x7fffff, v66
	v_dual_add_nc_u32 v66, 20, v80 :: v_dual_add_nc_u32 v69, 19, v80
	s_delay_alu instid0(VALU_DEP_2) | instskip(NEXT) | instid1(VALU_DEP_2)
	v_or_b32_e32 v68, 0x800000, v32
	v_lshlrev_b64_e64 v[66:67], v66, -1
	s_delay_alu instid0(VALU_DEP_2) | instskip(NEXT) | instid1(VALU_DEP_4)
	v_cndmask_b32_e32 v32, v68, v32, vcc_lo
	v_lshlrev_b64_e64 v[68:69], v69, 1
	s_delay_alu instid0(VALU_DEP_3) | instskip(NEXT) | instid1(VALU_DEP_3)
	v_bfi_b32 v83, v67, 0, 0
	v_bfi_b32 v82, v66, 0, v32
	v_lshrrev_b64 v[66:67], v80, v[32:33]
	s_delay_alu instid0(VALU_DEP_2) | instskip(NEXT) | instid1(VALU_DEP_2)
	v_cmp_eq_u64_e64 s7, v[82:83], v[68:69]
	v_mov_b64_e32 v[68:69], v[66:67]
	s_and_saveexec_b32 s29, s7
; %bb.4956:                             ;   in Loop: Header=BB2_4940 Depth=2
	v_bfe_u32 v32, v66, 20, 1
	s_delay_alu instid0(VALU_DEP_1) | instskip(NEXT) | instid1(VALU_DEP_1)
	v_add_nc_u64_e32 v[68:69], v[66:67], v[32:33]
	v_add_nc_u64_e32 v[68:69], -1, v[68:69]
; %bb.4957:                             ;   in Loop: Header=BB2_4940 Depth=2
	s_or_b32 exec_lo, exec_lo, s29
	v_add_nc_u32_e32 v32, 0xffffff81, v71
	v_lshrrev_b32_e32 v67, 23, v66
	s_mov_b32 s7, exec_lo
	s_delay_alu instid0(VALU_DEP_2) | instskip(NEXT) | instid1(VALU_DEP_1)
	v_cndmask_b32_e64 v32, v32, 0xffffff82, vcc_lo
	v_add3_u32 v69, v80, v32, v67
	v_and_b32_e32 v32, 0xfffff, v68
                                        ; implicit-def: $vgpr68
	s_delay_alu instid0(VALU_DEP_1) | instskip(NEXT) | instid1(VALU_DEP_1)
	v_dual_add_nc_u32 v71, 6, v69 :: v_dual_add_nc_u32 v32, v32, v66
                                        ; implicit-def: $vgpr66_vgpr67
	v_cmpx_ne_u32_e32 0, v71
	s_xor_b32 s7, exec_lo, s7
; %bb.4958:                             ;   in Loop: Header=BB2_4940 Depth=2
	s_delay_alu instid0(VALU_DEP_2) | instskip(SKIP_1) | instid1(VALU_DEP_1)
	v_cmp_lt_u64_e32 vcc_lo, 0xffffff, v[32:33]
	v_add_nc_u32_e32 v66, 7, v69
	v_cndmask_b32_e32 v68, v71, v66, vcc_lo
	v_cndmask_b32_e64 v66, 0, 1, vcc_lo
	s_delay_alu instid0(VALU_DEP_1)
	v_lshrrev_b64 v[66:67], v66, v[32:33]
; %bb.4959:                             ;   in Loop: Header=BB2_4940 Depth=2
	s_and_not1_saveexec_b32 s7, s7
; %bb.4960:                             ;   in Loop: Header=BB2_4940 Depth=2
	v_mov_b64_e32 v[66:67], v[32:33]
	v_bfe_u32 v68, v32, 23, 1
; %bb.4961:                             ;   in Loop: Header=BB2_4940 Depth=2
	s_or_b32 exec_lo, exec_lo, s7
	s_delay_alu instid0(VALU_DEP_2) | instskip(NEXT) | instid1(VALU_DEP_2)
	v_lshrrev_b64 v[66:67], 20, v[66:67]
	v_cmp_gt_i32_e32 vcc_lo, 16, v68
	v_cmp_ne_u32_e64 s7, 0, v68
	s_delay_alu instid0(VALU_DEP_3) | instskip(NEXT) | instid1(VALU_DEP_1)
	v_dual_cndmask_b32 v67, 0, v67 :: v_dual_cndmask_b32 v66, 7, v66
	v_cmp_ne_u64_e32 vcc_lo, 0, v[66:67]
                                        ; implicit-def: $vgpr67
	s_or_b32 s7, s7, vcc_lo
	s_delay_alu instid0(SALU_CYCLE_1) | instskip(NEXT) | instid1(SALU_CYCLE_1)
	s_and_saveexec_b32 s29, s7
	s_xor_b32 s7, exec_lo, s29
; %bb.4962:                             ;   in Loop: Header=BB2_4940 Depth=2
	v_min_i32_e32 v32, 15, v68
	s_delay_alu instid0(VALU_DEP_1) | instskip(NEXT) | instid1(VALU_DEP_1)
	v_lshl_or_b32 v32, v32, 3, v70
                                        ; implicit-def: $vgpr70
	v_and_or_b32 v67, v66, 7, v32
; %bb.4963:                             ;   in Loop: Header=BB2_4940 Depth=2
	s_and_not1_saveexec_b32 s7, s7
; %bb.4964:                             ;   in Loop: Header=BB2_4940 Depth=2
	v_mov_b32_e32 v67, v70
; %bb.4965:                             ;   in Loop: Header=BB2_4940 Depth=2
	s_or_b32 exec_lo, exec_lo, s7
.LBB2_4966:                             ;   in Loop: Header=BB2_4940 Depth=2
	s_delay_alu instid0(SALU_CYCLE_1)
	s_or_b32 exec_lo, exec_lo, s28
                                        ; implicit-def: $vgpr70
.LBB2_4967:                             ;   in Loop: Header=BB2_4940 Depth=2
	s_and_not1_saveexec_b32 s7, s11
; %bb.4968:                             ;   in Loop: Header=BB2_4940 Depth=2
	v_or_b32_e32 v67, 0x7e, v70
; %bb.4969:                             ;   in Loop: Header=BB2_4940 Depth=2
	s_or_b32 exec_lo, exec_lo, s7
                                        ; implicit-def: $vgpr68
.LBB2_4970:                             ;   in Loop: Header=BB2_4940 Depth=2
	s_and_not1_saveexec_b32 s7, s10
; %bb.4971:                             ;   in Loop: Header=BB2_4940 Depth=2
	v_or_b32_e32 v67, 0x7f, v68
; %bb.4972:                             ;   in Loop: Header=BB2_4940 Depth=2
	s_or_b32 exec_lo, exec_lo, s7
	flat_load_u8 v66, v[12:13] th:TH_LOAD_NT
	v_and_b32_e32 v32, 0xff, v67
	v_dual_mov_b32 v68, 0 :: v_dual_mov_b32 v69, 0
	s_mov_b32 s7, exec_lo
	s_wait_xcnt 0x0
	s_delay_alu instid0(VALU_DEP_2)
	v_cmpx_ne_u16_e32 0, v32
	s_cbranch_execz .LBB2_4980
; %bb.4973:                             ;   in Loop: Header=BB2_4940 Depth=2
	v_bfrev_b32_e32 v69, 1
	s_mov_b32 s10, exec_lo
	v_cmpx_ne_u16_e32 0x80, v32
	s_cbranch_execz .LBB2_4979
; %bb.4974:                             ;   in Loop: Header=BB2_4940 Depth=2
	v_and_b32_e32 v70, 0x7f, v67
	v_mov_b32_e32 v69, 0x7f800001
	s_mov_b32 s11, exec_lo
	s_delay_alu instid0(VALU_DEP_2)
	v_cmpx_ne_u32_e32 0x7f, v70
	s_cbranch_execz .LBB2_4978
; %bb.4975:                             ;   in Loop: Header=BB2_4940 Depth=2
	v_dual_lshrrev_b32 v69, 3, v70 :: v_dual_bitop2_b32 v32, 7, v32 bitop3:0x40
	s_mov_b32 s28, exec_lo
	v_cmpx_gt_u32_e32 8, v70
; %bb.4976:                             ;   in Loop: Header=BB2_4940 Depth=2
	s_delay_alu instid0(VALU_DEP_2) | instskip(NEXT) | instid1(VALU_DEP_1)
	v_clz_i32_u32_e32 v69, v32
	v_min_u32_e32 v69, 32, v69
	s_delay_alu instid0(VALU_DEP_1) | instskip(NEXT) | instid1(VALU_DEP_1)
	v_subrev_nc_u32_e32 v70, 28, v69
	v_lshlrev_b64_e32 v[70:71], v70, v[32:33]
	s_delay_alu instid0(VALU_DEP_1)
	v_dual_sub_nc_u32 v69, 29, v69 :: v_dual_bitop2_b32 v32, 7, v70 bitop3:0x40
; %bb.4977:                             ;   in Loop: Header=BB2_4940 Depth=2
	s_or_b32 exec_lo, exec_lo, s28
	s_delay_alu instid0(VALU_DEP_1) | instskip(NEXT) | instid1(VALU_DEP_2)
	v_dual_lshlrev_b32 v67, 24, v67 :: v_dual_lshlrev_b32 v32, 20, v32
	v_lshl_add_u32 v69, v69, 23, 0x3c000000
	s_delay_alu instid0(VALU_DEP_2) | instskip(NEXT) | instid1(VALU_DEP_1)
	v_and_b32_e32 v67, 0x80000000, v67
	v_or3_b32 v69, v32, v67, v69
.LBB2_4978:                             ;   in Loop: Header=BB2_4940 Depth=2
	s_or_b32 exec_lo, exec_lo, s11
.LBB2_4979:                             ;   in Loop: Header=BB2_4940 Depth=2
	s_delay_alu instid0(SALU_CYCLE_1)
	s_or_b32 exec_lo, exec_lo, s10
.LBB2_4980:                             ;   in Loop: Header=BB2_4940 Depth=2
	s_delay_alu instid0(SALU_CYCLE_1) | instskip(SKIP_3) | instid1(VALU_DEP_1)
	s_or_b32 exec_lo, exec_lo, s7
	s_wait_loadcnt_dscnt 0x0
	v_and_b32_e32 v32, 0xff, v66
	s_mov_b32 s7, exec_lo
	v_cmpx_ne_u16_e32 0, v32
	s_cbranch_execz .LBB2_4988
; %bb.4981:                             ;   in Loop: Header=BB2_4940 Depth=2
	v_bfrev_b32_e32 v68, 1
	s_mov_b32 s10, exec_lo
	v_cmpx_ne_u16_e32 0x80, v32
	s_cbranch_execz .LBB2_4987
; %bb.4982:                             ;   in Loop: Header=BB2_4940 Depth=2
	v_and_b32_e32 v70, 0x7f, v66
	v_mov_b32_e32 v68, 0x7f800001
	s_mov_b32 s11, exec_lo
	s_delay_alu instid0(VALU_DEP_2)
	v_cmpx_ne_u32_e32 0x7f, v70
	s_cbranch_execz .LBB2_4986
; %bb.4983:                             ;   in Loop: Header=BB2_4940 Depth=2
	v_dual_lshrrev_b32 v67, 3, v70 :: v_dual_bitop2_b32 v32, 7, v32 bitop3:0x40
	s_mov_b32 s28, exec_lo
	v_cmpx_gt_u32_e32 8, v70
; %bb.4984:                             ;   in Loop: Header=BB2_4940 Depth=2
	s_delay_alu instid0(VALU_DEP_2) | instskip(NEXT) | instid1(VALU_DEP_1)
	v_clz_i32_u32_e32 v67, v32
	v_min_u32_e32 v67, 32, v67
	s_delay_alu instid0(VALU_DEP_1) | instskip(NEXT) | instid1(VALU_DEP_1)
	v_subrev_nc_u32_e32 v68, 28, v67
	v_lshlrev_b64_e32 v[70:71], v68, v[32:33]
	s_delay_alu instid0(VALU_DEP_1)
	v_dual_sub_nc_u32 v67, 29, v67 :: v_dual_bitop2_b32 v32, 7, v70 bitop3:0x40
; %bb.4985:                             ;   in Loop: Header=BB2_4940 Depth=2
	s_or_b32 exec_lo, exec_lo, s28
	s_delay_alu instid0(VALU_DEP_1) | instskip(NEXT) | instid1(VALU_DEP_2)
	v_dual_lshlrev_b32 v66, 24, v66 :: v_dual_lshlrev_b32 v32, 20, v32
	v_lshl_add_u32 v67, v67, 23, 0x3c000000
	s_delay_alu instid0(VALU_DEP_2) | instskip(NEXT) | instid1(VALU_DEP_1)
	v_and_b32_e32 v66, 0x80000000, v66
	v_or3_b32 v68, v32, v66, v67
.LBB2_4986:                             ;   in Loop: Header=BB2_4940 Depth=2
	s_or_b32 exec_lo, exec_lo, s11
.LBB2_4987:                             ;   in Loop: Header=BB2_4940 Depth=2
	s_delay_alu instid0(SALU_CYCLE_1)
	s_or_b32 exec_lo, exec_lo, s10
.LBB2_4988:                             ;   in Loop: Header=BB2_4940 Depth=2
	s_delay_alu instid0(SALU_CYCLE_1) | instskip(NEXT) | instid1(VALU_DEP_1)
	s_or_b32 exec_lo, exec_lo, s7
	v_add_f32_e32 v66, v69, v68
	s_delay_alu instid0(VALU_DEP_1) | instskip(SKIP_1) | instid1(VALU_DEP_2)
	v_and_b32_e32 v32, 0x7f800000, v66
	v_lshrrev_b32_e32 v67, 24, v66
	v_cmp_ne_u64_e32 vcc_lo, 0x7f800000, v[32:33]
                                        ; implicit-def: $vgpr32
	s_and_saveexec_b32 s7, vcc_lo
	s_delay_alu instid0(SALU_CYCLE_1)
	s_xor_b32 s10, exec_lo, s7
	s_cbranch_execz .LBB2_5006
; %bb.4989:                             ;   in Loop: Header=BB2_4940 Depth=2
	v_and_b32_e32 v32, 0x7fffffff, v66
	v_and_b32_e32 v70, 0x80, v67
	s_delay_alu instid0(VALU_DEP_2) | instskip(SKIP_1) | instid1(SALU_CYCLE_1)
	v_cmp_gt_u64_e32 vcc_lo, 0x43e00001, v[32:33]
                                        ; implicit-def: $vgpr32
	s_and_saveexec_b32 s7, vcc_lo
	s_xor_b32 s11, exec_lo, s7
	s_cbranch_execz .LBB2_5003
; %bb.4990:                             ;   in Loop: Header=BB2_4940 Depth=2
	v_mov_b32_e32 v32, 0
	s_mov_b32 s28, exec_lo
	v_cmpx_ne_u32_e32 0, v66
	s_cbranch_execz .LBB2_5002
; %bb.4991:                             ;   in Loop: Header=BB2_4940 Depth=2
	v_bfe_u32 v71, v66, 23, 8
	s_delay_alu instid0(VALU_DEP_1) | instskip(SKIP_1) | instid1(VALU_DEP_2)
	v_sub_nc_u32_e32 v32, 0x79, v71
	v_cmp_gt_u32_e32 vcc_lo, 0x7a, v71
	v_cndmask_b32_e32 v32, 0, v32, vcc_lo
	v_cmp_eq_u32_e32 vcc_lo, 0, v71
	s_delay_alu instid0(VALU_DEP_2) | instskip(SKIP_1) | instid1(VALU_DEP_2)
	v_cndmask_b32_e64 v80, v32, 0x78, vcc_lo
	v_and_b32_e32 v32, 0x7fffff, v66
	v_dual_add_nc_u32 v66, 20, v80 :: v_dual_add_nc_u32 v69, 19, v80
	s_delay_alu instid0(VALU_DEP_2) | instskip(NEXT) | instid1(VALU_DEP_2)
	v_or_b32_e32 v68, 0x800000, v32
	v_lshlrev_b64_e64 v[66:67], v66, -1
	s_delay_alu instid0(VALU_DEP_2) | instskip(NEXT) | instid1(VALU_DEP_4)
	v_cndmask_b32_e32 v32, v68, v32, vcc_lo
	v_lshlrev_b64_e64 v[68:69], v69, 1
	s_delay_alu instid0(VALU_DEP_3) | instskip(NEXT) | instid1(VALU_DEP_3)
	v_bfi_b32 v83, v67, 0, 0
	v_bfi_b32 v82, v66, 0, v32
	v_lshrrev_b64 v[66:67], v80, v[32:33]
	s_delay_alu instid0(VALU_DEP_2) | instskip(NEXT) | instid1(VALU_DEP_2)
	v_cmp_eq_u64_e64 s7, v[82:83], v[68:69]
	v_mov_b64_e32 v[68:69], v[66:67]
	s_and_saveexec_b32 s29, s7
; %bb.4992:                             ;   in Loop: Header=BB2_4940 Depth=2
	v_bfe_u32 v32, v66, 20, 1
	s_delay_alu instid0(VALU_DEP_1) | instskip(NEXT) | instid1(VALU_DEP_1)
	v_add_nc_u64_e32 v[68:69], v[66:67], v[32:33]
	v_add_nc_u64_e32 v[68:69], -1, v[68:69]
; %bb.4993:                             ;   in Loop: Header=BB2_4940 Depth=2
	s_or_b32 exec_lo, exec_lo, s29
	v_add_nc_u32_e32 v32, 0xffffff81, v71
	v_lshrrev_b32_e32 v67, 23, v66
	s_mov_b32 s7, exec_lo
	s_delay_alu instid0(VALU_DEP_2) | instskip(NEXT) | instid1(VALU_DEP_1)
	v_cndmask_b32_e64 v32, v32, 0xffffff82, vcc_lo
	v_add3_u32 v69, v80, v32, v67
	v_and_b32_e32 v32, 0xfffff, v68
                                        ; implicit-def: $vgpr68
	s_delay_alu instid0(VALU_DEP_1) | instskip(NEXT) | instid1(VALU_DEP_1)
	v_dual_add_nc_u32 v71, 6, v69 :: v_dual_add_nc_u32 v32, v32, v66
                                        ; implicit-def: $vgpr66_vgpr67
	v_cmpx_ne_u32_e32 0, v71
	s_xor_b32 s7, exec_lo, s7
; %bb.4994:                             ;   in Loop: Header=BB2_4940 Depth=2
	s_delay_alu instid0(VALU_DEP_2) | instskip(SKIP_1) | instid1(VALU_DEP_1)
	v_cmp_lt_u64_e32 vcc_lo, 0xffffff, v[32:33]
	v_add_nc_u32_e32 v66, 7, v69
	v_cndmask_b32_e32 v68, v71, v66, vcc_lo
	v_cndmask_b32_e64 v66, 0, 1, vcc_lo
	s_delay_alu instid0(VALU_DEP_1)
	v_lshrrev_b64 v[66:67], v66, v[32:33]
; %bb.4995:                             ;   in Loop: Header=BB2_4940 Depth=2
	s_and_not1_saveexec_b32 s7, s7
; %bb.4996:                             ;   in Loop: Header=BB2_4940 Depth=2
	v_mov_b64_e32 v[66:67], v[32:33]
	v_bfe_u32 v68, v32, 23, 1
; %bb.4997:                             ;   in Loop: Header=BB2_4940 Depth=2
	s_or_b32 exec_lo, exec_lo, s7
	s_delay_alu instid0(VALU_DEP_2) | instskip(NEXT) | instid1(VALU_DEP_2)
	v_lshrrev_b64 v[66:67], 20, v[66:67]
	v_cmp_gt_i32_e32 vcc_lo, 16, v68
	v_cmp_ne_u32_e64 s7, 0, v68
                                        ; implicit-def: $vgpr32
	s_delay_alu instid0(VALU_DEP_3) | instskip(NEXT) | instid1(VALU_DEP_1)
	v_dual_cndmask_b32 v67, 0, v67 :: v_dual_cndmask_b32 v66, 7, v66
	v_cmp_ne_u64_e32 vcc_lo, 0, v[66:67]
	s_or_b32 s7, s7, vcc_lo
	s_delay_alu instid0(SALU_CYCLE_1) | instskip(NEXT) | instid1(SALU_CYCLE_1)
	s_and_saveexec_b32 s29, s7
	s_xor_b32 s7, exec_lo, s29
; %bb.4998:                             ;   in Loop: Header=BB2_4940 Depth=2
	v_min_i32_e32 v32, 15, v68
	s_delay_alu instid0(VALU_DEP_1) | instskip(NEXT) | instid1(VALU_DEP_1)
	v_lshl_or_b32 v32, v32, 3, v70
                                        ; implicit-def: $vgpr70
	v_and_or_b32 v32, v66, 7, v32
; %bb.4999:                             ;   in Loop: Header=BB2_4940 Depth=2
	s_and_not1_saveexec_b32 s7, s7
; %bb.5000:                             ;   in Loop: Header=BB2_4940 Depth=2
	v_mov_b32_e32 v32, v70
; %bb.5001:                             ;   in Loop: Header=BB2_4940 Depth=2
	s_or_b32 exec_lo, exec_lo, s7
.LBB2_5002:                             ;   in Loop: Header=BB2_4940 Depth=2
	s_delay_alu instid0(SALU_CYCLE_1)
	s_or_b32 exec_lo, exec_lo, s28
                                        ; implicit-def: $vgpr70
.LBB2_5003:                             ;   in Loop: Header=BB2_4940 Depth=2
	s_and_not1_saveexec_b32 s7, s11
; %bb.5004:                             ;   in Loop: Header=BB2_4940 Depth=2
	v_or_b32_e32 v32, 0x7e, v70
; %bb.5005:                             ;   in Loop: Header=BB2_4940 Depth=2
	s_or_b32 exec_lo, exec_lo, s7
                                        ; implicit-def: $vgpr67
.LBB2_5006:                             ;   in Loop: Header=BB2_4940 Depth=2
	s_and_not1_saveexec_b32 s7, s10
	s_cbranch_execz .LBB2_4939
; %bb.5007:                             ;   in Loop: Header=BB2_4940 Depth=2
	v_or_b32_e32 v32, 0x7f, v67
	s_branch .LBB2_4939
.LBB2_5008:                             ;   in Loop: Header=BB2_2573 Depth=1
	s_or_b32 exec_lo, exec_lo, s26
	v_cmp_ne_u32_e64 s7, 0, v100
	s_and_saveexec_b32 s10, s2
	s_cbranch_execz .LBB2_5027
.LBB2_5009:                             ;   in Loop: Header=BB2_2573 Depth=1
	s_and_saveexec_b32 s11, s3
	s_delay_alu instid0(SALU_CYCLE_1)
	s_xor_b32 s11, exec_lo, s11
	s_cbranch_execz .LBB2_5024
; %bb.5010:                             ;   in Loop: Header=BB2_2573 Depth=1
	s_and_saveexec_b32 s26, s4
	s_cbranch_execz .LBB2_5023
; %bb.5011:                             ;   in Loop: Header=BB2_2573 Depth=1
	s_mov_b32 s28, exec_lo
	s_mov_b32 s27, exec_lo
	v_mbcnt_lo_u32_b32 v10, s28, 0
	global_wb scope:SCOPE_DEV
	s_wait_storecnt 0x0
	s_wait_loadcnt_dscnt 0x0
	global_inv scope:SCOPE_DEV
	v_cmpx_eq_u32_e32 0, v10
	s_cbranch_execz .LBB2_5013
; %bb.5012:                             ;   in Loop: Header=BB2_2573 Depth=1
	s_bcnt1_i32_b32 s28, s28
	s_delay_alu instid0(SALU_CYCLE_1)
	v_mov_b32_e32 v32, s28
	s_wait_loadcnt 0x0
	ds_add_u64 v0, v[32:33]
	s_trap 2
.LBB2_5013:                             ;   in Loop: Header=BB2_2573 Depth=1
	s_or_b32 exec_lo, exec_lo, s27
	s_trap 2
	ds_load_b64 v[10:11], v0
	s_wait_dscnt 0x0
	v_add_nc_u64_e32 v[24:25], v[24:25], v[34:35]
	s_mov_b32 s27, exec_lo
	s_delay_alu instid0(VALU_DEP_1)
	v_cmpx_lt_u64_e64 v[10:11], v[24:25]
	s_cbranch_execz .LBB2_5022
; %bb.5014:                             ;   in Loop: Header=BB2_2573 Depth=1
	s_mov_b32 s28, 0
	s_mov_b32 s41, 0
                                        ; implicit-def: $sgpr29
                                        ; implicit-def: $sgpr40
	s_branch .LBB2_5016
.LBB2_5015:                             ;   in Loop: Header=BB2_5016 Depth=2
	s_or_b32 exec_lo, exec_lo, s43
	s_delay_alu instid0(SALU_CYCLE_1) | instskip(NEXT) | instid1(SALU_CYCLE_1)
	s_and_b32 s42, exec_lo, s44
	s_or_b32 s28, s42, s28
	s_and_not1_b32 s29, s29, exec_lo
	s_and_b32 s42, s40, exec_lo
	s_delay_alu instid0(SALU_CYCLE_1)
	s_or_b32 s29, s29, s42
	s_and_not1_b32 exec_lo, exec_lo, s28
	s_cbranch_execz .LBB2_5020
.LBB2_5016:                             ;   Parent Loop BB2_2573 Depth=1
                                        ; =>  This Inner Loop Header: Depth=2
	s_add_co_i32 s41, s41, 1
	s_delay_alu instid0(SALU_CYCLE_1) | instskip(SKIP_1) | instid1(SALU_CYCLE_1)
	s_cmp_lg_u32 s41, 0x2710
	s_cselect_b32 s42, -1, 0
	s_and_b32 vcc_lo, exec_lo, s42
	s_cbranch_vccz .LBB2_5018
; %bb.5017:                             ;   in Loop: Header=BB2_5016 Depth=2
	s_mov_b32 s44, -1
	s_or_b32 s40, s40, exec_lo
	s_and_saveexec_b32 s43, s42
	s_cbranch_execz .LBB2_5015
	s_branch .LBB2_5019
.LBB2_5018:                             ;   in Loop: Header=BB2_5016 Depth=2
	s_trap 2
	ds_load_b64 v[10:11], v0
	s_and_not1_b32 s42, s42, exec_lo
	s_mov_b32 s41, 0
	s_wait_loadcnt_dscnt 0x0
	flat_load_b32 v10, v[10:11] scope:SCOPE_SYS
	s_wait_loadcnt_dscnt 0x0
	global_inv scope:SCOPE_SYS
	v_cmp_eq_u32_e32 vcc_lo, 0, v10
	s_and_b32 s43, vcc_lo, exec_lo
	s_delay_alu instid0(SALU_CYCLE_1)
	s_or_b32 s42, s42, s43
	s_mov_b32 s44, -1
	s_or_b32 s40, s40, exec_lo
	s_and_saveexec_b32 s43, s42
	s_cbranch_execz .LBB2_5015
.LBB2_5019:                             ;   in Loop: Header=BB2_5016 Depth=2
	s_sleep 1
	s_trap 2
	ds_load_b64 v[10:11], v0
	s_wait_dscnt 0x0
	s_and_not1_b32 s40, s40, exec_lo
	v_cmp_ge_u64_e32 vcc_lo, v[10:11], v[24:25]
	s_or_not1_b32 s44, vcc_lo, exec_lo
	s_branch .LBB2_5015
.LBB2_5020:                             ;   in Loop: Header=BB2_2573 Depth=1
	s_or_b32 exec_lo, exec_lo, s28
	s_and_saveexec_b32 s28, s29
	s_delay_alu instid0(SALU_CYCLE_1)
	s_xor_b32 s28, exec_lo, s28
	s_cbranch_execz .LBB2_5022
; %bb.5021:                             ;   in Loop: Header=BB2_2573 Depth=1
	ds_store_b32 v0, v98
	s_trap 2
.LBB2_5022:                             ;   in Loop: Header=BB2_2573 Depth=1
	s_or_b32 exec_lo, exec_lo, s27
	;;#ASMSTART
	s_wakeup
	;;#ASMEND
.LBB2_5023:                             ;   in Loop: Header=BB2_2573 Depth=1
	s_or_b32 exec_lo, exec_lo, s26
.LBB2_5024:                             ;   in Loop: Header=BB2_2573 Depth=1
	s_and_not1_saveexec_b32 s11, s11
	s_cbranch_execz .LBB2_5026
; %bb.5025:                             ;   in Loop: Header=BB2_2573 Depth=1
	global_wb scope:SCOPE_DEV
	s_wait_storecnt 0x0
	s_wait_loadcnt_dscnt 0x0
	global_inv scope:SCOPE_DEV
	s_barrier_signal -1
	s_barrier_wait -1
.LBB2_5026:                             ;   in Loop: Header=BB2_2573 Depth=1
	s_or_b32 exec_lo, exec_lo, s11
.LBB2_5027:                             ;   in Loop: Header=BB2_2573 Depth=1
	s_delay_alu instid0(SALU_CYCLE_1) | instskip(SKIP_1) | instid1(VALU_DEP_1)
	s_or_b32 exec_lo, exec_lo, s10
	v_and_b32_e32 v10, 16, v102
	v_cmp_ne_u32_e32 vcc_lo, 0, v10
	s_and_b32 s10, vcc_lo, s7
	s_delay_alu instid0(SALU_CYCLE_1)
	s_and_saveexec_b32 s7, s10
	s_cbranch_execz .LBB2_5029
; %bb.5028:                             ;   in Loop: Header=BB2_2573 Depth=1
	global_wb scope:SCOPE_SYS
	s_wait_storecnt 0x0
	s_wait_loadcnt_dscnt 0x0
	global_inv scope:SCOPE_SYS
.LBB2_5029:                             ;   in Loop: Header=BB2_2573 Depth=1
	s_or_b32 exec_lo, exec_lo, s7
	v_and_b32_e32 v10, 32, v102
	s_mov_b32 s7, exec_lo
	s_delay_alu instid0(VALU_DEP_1)
	v_cmpx_ne_u32_e32 0, v10
	s_cbranch_execz .LBB2_5031
; %bb.5030:                             ;   in Loop: Header=BB2_2573 Depth=1
	v_add_nc_u64_e32 v[8:9], 1, v[8:9]
	global_wb scope:SCOPE_SYS
	s_wait_storecnt 0x0
	s_wait_loadcnt_dscnt 0x0
	flat_store_b64 v[18:19], v[8:9] scope:SCOPE_SYS
.LBB2_5031:                             ;   in Loop: Header=BB2_2573 Depth=1
	s_wait_xcnt 0x0
	s_or_b32 exec_lo, exec_lo, s7
	v_mov_b32_e32 v30, v55
.LBB2_5032:                             ;   in Loop: Header=BB2_2573 Depth=1
	s_or_b32 exec_lo, exec_lo, s25
	s_and_saveexec_b32 s10, s24
	s_cbranch_execz .LBB2_2572
; %bb.5033:                             ;   in Loop: Header=BB2_2573 Depth=1
	v_and_b32_e32 v10, 4, v102
	s_mov_b32 s11, exec_lo
	s_delay_alu instid0(VALU_DEP_1)
	v_cmpx_ne_u32_e32 0, v10
	s_cbranch_execz .LBB2_5055
; %bb.5034:                             ;   in Loop: Header=BB2_2573 Depth=1
	v_add_nc_u64_e32 v[10:11], 1, v[8:9]
	s_mov_b32 s24, exec_lo
	s_wait_loadcnt 0x0
	s_delay_alu instid0(VALU_DEP_1)
	v_cmpx_lt_u64_e64 v[26:27], v[10:11]
	s_cbranch_execz .LBB2_5046
; %bb.5035:                             ;   in Loop: Header=BB2_2573 Depth=1
	v_and_b32_e32 v9, 64, v102
	s_mov_b32 s25, 0
	s_mov_b32 s29, 0
                                        ; implicit-def: $sgpr26
                                        ; implicit-def: $sgpr27
                                        ; implicit-def: $sgpr28
	s_delay_alu instid0(VALU_DEP_1)
	v_cmp_eq_u32_e32 vcc_lo, 0, v9
	s_branch .LBB2_5038
.LBB2_5036:                             ;   in Loop: Header=BB2_5038 Depth=2
	s_or_b32 exec_lo, exec_lo, s44
	s_delay_alu instid0(SALU_CYCLE_1)
	s_and_not1_b32 s7, s28, exec_lo
	s_and_b32 s28, s42, exec_lo
	s_and_not1_b32 s27, s27, exec_lo
	s_and_b32 s41, s41, exec_lo
	s_or_b32 s28, s7, s28
	s_or_b32 s27, s27, s41
.LBB2_5037:                             ;   in Loop: Header=BB2_5038 Depth=2
	s_or_b32 exec_lo, exec_lo, s40
	s_delay_alu instid0(SALU_CYCLE_1) | instskip(NEXT) | instid1(SALU_CYCLE_1)
	s_and_b32 s7, exec_lo, s27
	s_or_b32 s25, s7, s25
	s_and_not1_b32 s7, s26, exec_lo
	s_and_b32 s26, s28, exec_lo
	s_delay_alu instid0(SALU_CYCLE_1)
	s_or_b32 s26, s7, s26
	s_and_not1_b32 exec_lo, exec_lo, s25
	s_cbranch_execz .LBB2_5043
.LBB2_5038:                             ;   Parent Loop BB2_2573 Depth=1
                                        ; =>  This Inner Loop Header: Depth=2
	s_sleep 1
	s_wait_loadcnt_dscnt 0x0
	flat_load_b64 v[26:27], v[18:19] scope:SCOPE_SYS
	s_or_b32 s28, s28, exec_lo
	s_or_b32 s27, s27, exec_lo
                                        ; implicit-def: $vgpr9
	s_wait_xcnt 0x0
	s_and_saveexec_b32 s40, vcc_lo
	s_cbranch_execz .LBB2_5037
; %bb.5039:                             ;   in Loop: Header=BB2_5038 Depth=2
	s_cmp_lt_i32 s29, 0x270f
	s_mov_b32 s41, -1
	s_cselect_b32 s43, -1, 0
	s_cmp_gt_i32 s29, 0x270e
	s_cbranch_scc0 .LBB2_5041
; %bb.5040:                             ;   in Loop: Header=BB2_5038 Depth=2
	s_trap 2
	ds_load_b64 v[12:13], v0
	s_and_not1_b32 s29, s43, exec_lo
	s_mov_b32 s42, 0
	s_wait_storecnt 0x0
	s_wait_loadcnt_dscnt 0x0
	flat_load_b32 v9, v[12:13] scope:SCOPE_SYS
	s_wait_loadcnt_dscnt 0x0
	global_inv scope:SCOPE_SYS
	v_cmp_eq_u32_e64 s7, 0, v9
	s_and_b32 s7, s7, exec_lo
	s_delay_alu instid0(SALU_CYCLE_1)
	s_or_b32 s43, s29, s7
	s_mov_b32 s29, 0
	s_and_saveexec_b32 s44, s43
	s_cbranch_execz .LBB2_5036
	s_branch .LBB2_5042
.LBB2_5041:                             ;   in Loop: Header=BB2_5038 Depth=2
	s_add_co_i32 s29, s29, 1
	s_mov_b32 s42, -1
                                        ; implicit-def: $vgpr9
	s_and_saveexec_b32 s44, s43
	s_cbranch_execz .LBB2_5036
.LBB2_5042:                             ;   in Loop: Header=BB2_5038 Depth=2
	s_wait_loadcnt_dscnt 0x0
	v_cmp_ge_u64_e64 s7, v[26:27], v[10:11]
	s_or_b32 s42, s42, exec_lo
	s_or_not1_b32 s41, s7, exec_lo
	s_branch .LBB2_5036
.LBB2_5043:                             ;   in Loop: Header=BB2_2573 Depth=1
	s_or_b32 exec_lo, exec_lo, s25
	s_xor_b32 s7, s26, -1
	s_delay_alu instid0(SALU_CYCLE_1) | instskip(NEXT) | instid1(SALU_CYCLE_1)
	s_and_saveexec_b32 s25, s7
	s_xor_b32 s7, exec_lo, s25
	s_cbranch_execz .LBB2_5045
; %bb.5044:                             ;   in Loop: Header=BB2_2573 Depth=1
	v_or_b32_e32 v102, 64, v102
	s_wait_storecnt 0x0
	s_wait_loadcnt_dscnt 0x0
	ds_store_b32 v0, v9
	s_trap 2
.LBB2_5045:                             ;   in Loop: Header=BB2_2573 Depth=1
	s_or_b32 exec_lo, exec_lo, s7
.LBB2_5046:                             ;   in Loop: Header=BB2_2573 Depth=1
	s_delay_alu instid0(SALU_CYCLE_1) | instskip(SKIP_4) | instid1(VALU_DEP_2)
	s_or_b32 exec_lo, exec_lo, s24
	v_and_b32_e32 v9, 0x100, v102
	v_and_b32_e32 v32, 7, v8
	s_mov_b32 s7, -1
	;;#ASMSTART
	s_wakeup
	;;#ASMEND
	v_cmp_ne_u32_e32 vcc_lo, 0, v9
                                        ; implicit-def: $vgpr8_vgpr9
	s_and_saveexec_b32 s24, vcc_lo
	s_cbranch_execz .LBB2_5050
; %bb.5047:                             ;   in Loop: Header=BB2_2573 Depth=1
	v_mad_nc_u64_u32 v[12:13], v32, 24, v[6:7]
	flat_load_b32 v8, v[12:13]
	s_wait_loadcnt_dscnt 0x0
	v_cmp_eq_u32_e64 s7, 1, v8
	v_cmp_ne_u32_e32 vcc_lo, 1, v8
                                        ; implicit-def: $vgpr8_vgpr9
	s_wait_xcnt 0x0
	s_and_saveexec_b32 s25, s7
	s_cbranch_execz .LBB2_5049
; %bb.5048:                             ;   in Loop: Header=BB2_2573 Depth=1
	flat_load_b32 v8, v[12:13] offset:4 scope:SCOPE_SYS
	s_wait_loadcnt_dscnt 0x0
	v_ashrrev_i32_e32 v9, 31, v8
.LBB2_5049:                             ;   in Loop: Header=BB2_2573 Depth=1
	s_wait_xcnt 0x0
	s_or_b32 exec_lo, exec_lo, s25
	s_delay_alu instid0(SALU_CYCLE_1)
	s_or_not1_b32 s7, vcc_lo, exec_lo
.LBB2_5050:                             ;   in Loop: Header=BB2_2573 Depth=1
	s_or_b32 exec_lo, exec_lo, s24
	s_and_saveexec_b32 s24, s7
; %bb.5051:                             ;   in Loop: Header=BB2_2573 Depth=1
	v_mul_u64_e32 v[8:9], v[32:33], v[20:21]
; %bb.5052:                             ;   in Loop: Header=BB2_2573 Depth=1
	s_or_b32 exec_lo, exec_lo, s24
	s_delay_alu instid0(VALU_DEP_1)
	v_add_nc_u64_e32 v[8:9], v[22:23], v[8:9]
	v_and_b32_e32 v12, 0x2000, v102
	s_mov_b32 s7, exec_lo
	ds_store_b64 v0, v[8:9] offset:728
	v_cmpx_ne_u32_e32 0, v12
	s_cbranch_execz .LBB2_5054
; %bb.5053:                             ;   in Loop: Header=BB2_2573 Depth=1
	ds_load_b64 v[8:9], v0 offset:872
	s_wait_dscnt 0x0
	v_add_nc_u64_e32 v[8:9], 1, v[8:9]
	ds_store_b64 v0, v[8:9] offset:872
.LBB2_5054:                             ;   in Loop: Header=BB2_2573 Depth=1
	s_or_b32 exec_lo, exec_lo, s7
	v_mov_b64_e32 v[8:9], v[10:11]
.LBB2_5055:                             ;   in Loop: Header=BB2_2573 Depth=1
	s_or_b32 exec_lo, exec_lo, s11
	s_and_saveexec_b32 s7, s2
	s_cbranch_execz .LBB2_5074
; %bb.5056:                             ;   in Loop: Header=BB2_2573 Depth=1
	s_and_saveexec_b32 s11, s3
	s_delay_alu instid0(SALU_CYCLE_1)
	s_xor_b32 s11, exec_lo, s11
	s_cbranch_execz .LBB2_5071
; %bb.5057:                             ;   in Loop: Header=BB2_2573 Depth=1
	s_and_saveexec_b32 s24, s4
	s_cbranch_execz .LBB2_5070
; %bb.5058:                             ;   in Loop: Header=BB2_2573 Depth=1
	s_mov_b32 s26, exec_lo
	s_mov_b32 s25, exec_lo
	v_mbcnt_lo_u32_b32 v10, s26, 0
	global_wb scope:SCOPE_DEV
	s_wait_storecnt 0x0
	s_wait_loadcnt_dscnt 0x0
	global_inv scope:SCOPE_DEV
	v_cmpx_eq_u32_e32 0, v10
	s_cbranch_execz .LBB2_5060
; %bb.5059:                             ;   in Loop: Header=BB2_2573 Depth=1
	s_bcnt1_i32_b32 s26, s26
	s_delay_alu instid0(SALU_CYCLE_1)
	v_mov_b32_e32 v32, s26
	s_wait_loadcnt 0x0
	ds_add_u64 v0, v[32:33]
	s_trap 2
.LBB2_5060:                             ;   in Loop: Header=BB2_2573 Depth=1
	s_or_b32 exec_lo, exec_lo, s25
	s_trap 2
	ds_load_b64 v[10:11], v0
	s_wait_dscnt 0x0
	v_add_nc_u64_e32 v[24:25], v[24:25], v[34:35]
	s_mov_b32 s25, exec_lo
	s_delay_alu instid0(VALU_DEP_1)
	v_cmpx_lt_u64_e64 v[10:11], v[24:25]
	s_cbranch_execz .LBB2_5069
; %bb.5061:                             ;   in Loop: Header=BB2_2573 Depth=1
	s_mov_b32 s26, 0
	s_mov_b32 s29, 0
                                        ; implicit-def: $sgpr27
                                        ; implicit-def: $sgpr28
	s_branch .LBB2_5063
.LBB2_5062:                             ;   in Loop: Header=BB2_5063 Depth=2
	s_or_b32 exec_lo, exec_lo, s41
	s_delay_alu instid0(SALU_CYCLE_1) | instskip(NEXT) | instid1(SALU_CYCLE_1)
	s_and_b32 s40, exec_lo, s42
	s_or_b32 s26, s40, s26
	s_and_not1_b32 s27, s27, exec_lo
	s_and_b32 s40, s28, exec_lo
	s_delay_alu instid0(SALU_CYCLE_1)
	s_or_b32 s27, s27, s40
	s_and_not1_b32 exec_lo, exec_lo, s26
	s_cbranch_execz .LBB2_5067
.LBB2_5063:                             ;   Parent Loop BB2_2573 Depth=1
                                        ; =>  This Inner Loop Header: Depth=2
	s_add_co_i32 s29, s29, 1
	s_delay_alu instid0(SALU_CYCLE_1) | instskip(SKIP_1) | instid1(SALU_CYCLE_1)
	s_cmp_lg_u32 s29, 0x2710
	s_cselect_b32 s40, -1, 0
	s_and_b32 vcc_lo, exec_lo, s40
	s_cbranch_vccz .LBB2_5065
; %bb.5064:                             ;   in Loop: Header=BB2_5063 Depth=2
	s_mov_b32 s42, -1
	s_or_b32 s28, s28, exec_lo
	s_and_saveexec_b32 s41, s40
	s_cbranch_execz .LBB2_5062
	s_branch .LBB2_5066
.LBB2_5065:                             ;   in Loop: Header=BB2_5063 Depth=2
	s_trap 2
	ds_load_b64 v[10:11], v0
	s_and_not1_b32 s40, s40, exec_lo
	s_mov_b32 s29, 0
	s_wait_loadcnt_dscnt 0x0
	flat_load_b32 v10, v[10:11] scope:SCOPE_SYS
	s_wait_loadcnt_dscnt 0x0
	global_inv scope:SCOPE_SYS
	v_cmp_eq_u32_e32 vcc_lo, 0, v10
	s_and_b32 s41, vcc_lo, exec_lo
	s_delay_alu instid0(SALU_CYCLE_1)
	s_or_b32 s40, s40, s41
	s_mov_b32 s42, -1
	s_or_b32 s28, s28, exec_lo
	s_and_saveexec_b32 s41, s40
	s_cbranch_execz .LBB2_5062
.LBB2_5066:                             ;   in Loop: Header=BB2_5063 Depth=2
	s_sleep 1
	s_trap 2
	ds_load_b64 v[10:11], v0
	s_wait_dscnt 0x0
	s_and_not1_b32 s28, s28, exec_lo
	v_cmp_ge_u64_e32 vcc_lo, v[10:11], v[24:25]
	s_or_not1_b32 s42, vcc_lo, exec_lo
	s_branch .LBB2_5062
.LBB2_5067:                             ;   in Loop: Header=BB2_2573 Depth=1
	s_or_b32 exec_lo, exec_lo, s26
	s_and_saveexec_b32 s26, s27
	s_delay_alu instid0(SALU_CYCLE_1)
	s_xor_b32 s26, exec_lo, s26
	s_cbranch_execz .LBB2_5069
; %bb.5068:                             ;   in Loop: Header=BB2_2573 Depth=1
	ds_store_b32 v0, v98
	s_trap 2
.LBB2_5069:                             ;   in Loop: Header=BB2_2573 Depth=1
	s_or_b32 exec_lo, exec_lo, s25
	;;#ASMSTART
	s_wakeup
	;;#ASMEND
.LBB2_5070:                             ;   in Loop: Header=BB2_2573 Depth=1
	s_or_b32 exec_lo, exec_lo, s24
.LBB2_5071:                             ;   in Loop: Header=BB2_2573 Depth=1
	s_and_not1_saveexec_b32 s11, s11
	s_cbranch_execz .LBB2_5073
; %bb.5072:                             ;   in Loop: Header=BB2_2573 Depth=1
	global_wb scope:SCOPE_DEV
	s_wait_storecnt 0x0
	s_wait_loadcnt_dscnt 0x0
	global_inv scope:SCOPE_DEV
	s_barrier_signal -1
	s_barrier_wait -1
.LBB2_5073:                             ;   in Loop: Header=BB2_2573 Depth=1
	s_or_b32 exec_lo, exec_lo, s11
.LBB2_5074:                             ;   in Loop: Header=BB2_2573 Depth=1
	s_delay_alu instid0(SALU_CYCLE_1) | instskip(SKIP_3) | instid1(VALU_DEP_1)
	s_or_b32 exec_lo, exec_lo, s7
	s_trap 2
	ds_load_b32 v10, v0
	v_sub_nc_u32_e32 v11, v54, v30
	v_min_i32_e32 v11, v55, v11
	s_delay_alu instid0(VALU_DEP_1) | instskip(SKIP_4) | instid1(VALU_DEP_1)
	v_cmp_lt_i32_e32 vcc_lo, 0, v11
	s_wait_dscnt 0x0
	v_readfirstlane_b32 s7, v10
	v_and_b32_e32 v10, 16, v102
	s_cmp_eq_u32 s7, 0
	v_cmp_ne_u32_e64 s7, 0, v10
	s_cselect_b32 s11, -1, 0
	s_delay_alu instid0(SALU_CYCLE_1) | instskip(NEXT) | instid1(SALU_CYCLE_1)
	s_and_b32 s11, vcc_lo, s11
	s_and_b32 s11, s7, s11
	s_delay_alu instid0(SALU_CYCLE_1)
	s_and_saveexec_b32 s7, s11
	s_cbranch_execz .LBB2_5076
; %bb.5075:                             ;   in Loop: Header=BB2_2573 Depth=1
	global_wb scope:SCOPE_SYS
	s_wait_loadcnt 0x0
	s_wait_storecnt 0x0
	global_inv scope:SCOPE_SYS
.LBB2_5076:                             ;   in Loop: Header=BB2_2573 Depth=1
	s_or_b32 exec_lo, exec_lo, s7
	v_and_b32_e32 v10, 32, v102
	s_mov_b32 s7, exec_lo
	s_delay_alu instid0(VALU_DEP_1)
	v_cmpx_ne_u32_e32 0, v10
	s_cbranch_execz .LBB2_2571
; %bb.5077:                             ;   in Loop: Header=BB2_2573 Depth=1
	v_add_nc_u64_e32 v[8:9], 1, v[8:9]
	global_wb scope:SCOPE_SYS
	s_wait_loadcnt 0x0
	s_wait_storecnt 0x0
	flat_store_b64 v[18:19], v[8:9] scope:SCOPE_SYS
	s_branch .LBB2_2571
.LBB2_5078:
	s_or_b32 exec_lo, exec_lo, s21
.LBB2_5079:
	s_delay_alu instid0(SALU_CYCLE_1)
	s_or_b32 exec_lo, exec_lo, s17
.LBB2_5080:
	s_delay_alu instid0(SALU_CYCLE_1)
	s_or_b32 exec_lo, exec_lo, s16
                                        ; implicit-def: $vgpr14_vgpr15
                                        ; implicit-def: $vgpr4_vgpr5
                                        ; implicit-def: $vgpr32_vgpr33
                                        ; implicit-def: $vgpr20
                                        ; implicit-def: $vgpr26_vgpr27
                                        ; implicit-def: $vgpr22_vgpr23
                                        ; implicit-def: $vgpr18_vgpr19
                                        ; implicit-def: $vgpr0
                                        ; implicit-def: $vgpr38
                                        ; implicit-def: $vgpr28_vgpr29
.LBB2_5081:
	s_and_not1_saveexec_b32 s14, s20
	s_cbranch_execz .LBB2_6657
; %bb.5082:
	v_mov_b64_e32 v[24:25], 0
	s_mov_b32 s15, exec_lo
	v_cmpx_ne_u64_e32 0, v[4:5]
	s_cbranch_execz .LBB2_6656
; %bb.5083:
	v_dual_ashrrev_i32 v21, 31, v20 :: v_dual_bitop2_b32 v10, 31, v31 bitop3:0x40
	v_dual_mov_b32 v35, 0 :: v_dual_bitop2_b32 v30, 31, v0 bitop3:0x40
	v_dual_lshrrev_b32 v100, 5, v0 :: v_dual_lshrrev_b32 v36, 5, v1
	s_delay_alu instid0(VALU_DEP_3)
	v_cmp_eq_u32_e64 s4, 0, v10
	s_ashr_i32 s2, s19, 31
	v_lshlrev_b32_e32 v10, 4, v30
	s_lshr_b32 s2, s2, 24
	v_cmp_eq_u32_e32 vcc_lo, 32, v1
	v_mov_b64_e32 v[54:55], 0
	v_cmp_ne_u64_e64 s7, 0, v[32:33]
	v_lshl_or_b32 v34, v100, 10, v10
	v_mov_b64_e32 v[64:65], 0
	v_mov_b64_e32 v[24:25], 0
	v_cmp_ge_u32_e64 s1, v0, v1
	s_add_co_i32 s19, s19, s2
	v_mov_b64_e32 v[66:67], v[34:35]
	v_cmp_ne_u32_e64 s2, 32, v1
	v_cmp_ne_u32_e64 s3, v1, v103
	v_mov_b32_e32 v37, v35
	v_cmp_eq_u32_e64 s5, 0, v30
	v_cmp_lt_u32_e64 s6, v30, v38
	v_dual_mov_b32 v39, v35 :: v_dual_lshlrev_b32 v38, 10, v36
	v_dual_mov_b32 v49, v35 :: v_dual_lshlrev_b32 v48, 9, v36
	;; [unrolled: 1-line block ×3, first 2 shown]
	v_and_b32_e32 v52, 0x1fe0, v1
	v_dual_mov_b32 v53, v35 :: v_dual_mov_b32 v101, 1
	s_mov_b64 s[12:13], 0xffffffffffffff
	s_ashr_i32 s17, s19, 8
	s_mov_b32 s16, 0
	s_xor_b32 s19, vcc_lo, -1
	s_trap 2
	s_branch .LBB2_5087
.LBB2_5084:                             ;   in Loop: Header=BB2_5087 Depth=1
	s_wait_xcnt 0x0
	s_or_b32 exec_lo, exec_lo, s20
	v_add_nc_u64_e32 v[8:9], 1, v[8:9]
	global_wb scope:SCOPE_SYS
	s_wait_storecnt 0x0
	s_wait_loadcnt_dscnt 0x0
	flat_store_b64 v[18:19], v[8:9] scope:SCOPE_SYS
.LBB2_5085:                             ;   in Loop: Header=BB2_5087 Depth=1
	s_wait_xcnt 0x0
	s_or_b32 exec_lo, exec_lo, s10
.LBB2_5086:                             ;   in Loop: Header=BB2_5087 Depth=1
	s_delay_alu instid0(SALU_CYCLE_1) | instskip(SKIP_1) | instid1(VALU_DEP_1)
	s_or_b32 exec_lo, exec_lo, s11
	v_add_nc_u64_e32 v[64:65], v[64:65], v[28:29]
	v_cmp_ge_u64_e32 vcc_lo, v[64:65], v[4:5]
	s_or_b32 s16, vcc_lo, s16
	s_delay_alu instid0(SALU_CYCLE_1)
	s_and_not1_b32 exec_lo, exec_lo, s16
	s_cbranch_execz .LBB2_6655
.LBB2_5087:                             ; =>This Loop Header: Depth=1
                                        ;     Child Loop BB2_5095 Depth 2
                                        ;     Child Loop BB2_5120 Depth 2
	;; [unrolled: 1-line block ×10, first 2 shown]
	v_sub_nc_u64_e32 v[10:11], v[4:5], v[64:65]
	s_delay_alu instid0(VALU_DEP_1) | instskip(NEXT) | instid1(VALU_DEP_1)
	v_min_u64 v[68:69], v[28:29], v[10:11]
	v_add_nc_u32_e32 v10, 15, v68
	s_delay_alu instid0(VALU_DEP_2) | instskip(NEXT) | instid1(VALU_DEP_2)
	v_cmp_eq_u64_e32 vcc_lo, 0, v[68:69]
	v_and_b32_e32 v10, 0x7ffffff0, v10
	s_or_b32 s20, s1, vcc_lo
	s_delay_alu instid0(SALU_CYCLE_1) | instskip(NEXT) | instid1(VALU_DEP_1)
	s_xor_b32 s10, s20, -1
	v_dual_mov_b32 v10, v35 :: v_dual_max_i32 v70, s17, v10
	s_and_saveexec_b32 s21, s10
	s_cbranch_execz .LBB2_6608
; %bb.5088:                             ;   in Loop: Header=BB2_5087 Depth=1
	s_and_saveexec_b32 s10, s0
	s_cbranch_execz .LBB2_5090
; %bb.5089:                             ;   in Loop: Header=BB2_5087 Depth=1
	s_trap 2
	ds_load_b64 v[10:11], v0
	s_wait_dscnt 0x0
	v_add_nc_u64_e32 v[10:11], v[10:11], v[14:15]
	s_delay_alu instid0(VALU_DEP_1)
	v_add_nc_u64_e32 v[10:11], v[10:11], v[64:65]
	ds_store_b64 v0, v[10:11]
	ds_store_b64 v0, v[54:55]
.LBB2_5090:                             ;   in Loop: Header=BB2_5087 Depth=1
	s_or_b32 exec_lo, exec_lo, s10
	v_and_b32_e32 v10, 8, v102
	v_min_u32_e32 v70, v70, v68
	s_mov_b32 s11, exec_lo
	s_delay_alu instid0(VALU_DEP_2)
	v_cmpx_ne_u32_e32 0, v10
	s_cbranch_execz .LBB2_5112
; %bb.5091:                             ;   in Loop: Header=BB2_5087 Depth=1
	s_wait_loadcnt 0x0
	v_add_nc_u64_e32 v[12:13], 8, v[26:27]
	v_add_nc_u64_e32 v[10:11], 1, v[8:9]
	s_mov_b32 s22, exec_lo
	s_delay_alu instid0(VALU_DEP_1)
	v_cmpx_lt_u64_e64 v[12:13], v[10:11]
	s_cbranch_execz .LBB2_5103
; %bb.5092:                             ;   in Loop: Header=BB2_5087 Depth=1
	v_and_b32_e32 v9, 64, v102
	s_mov_b32 s23, 0
	s_mov_b32 s27, 0
                                        ; implicit-def: $sgpr24
                                        ; implicit-def: $sgpr25
                                        ; implicit-def: $sgpr26
	s_delay_alu instid0(VALU_DEP_1)
	v_cmp_eq_u32_e32 vcc_lo, 0, v9
	s_branch .LBB2_5095
.LBB2_5093:                             ;   in Loop: Header=BB2_5095 Depth=2
	s_or_b32 exec_lo, exec_lo, s42
	s_delay_alu instid0(SALU_CYCLE_1)
	s_and_not1_b32 s10, s26, exec_lo
	s_and_b32 s26, s40, exec_lo
	s_and_not1_b32 s25, s25, exec_lo
	s_and_b32 s29, s29, exec_lo
	s_or_b32 s26, s10, s26
	s_or_b32 s25, s25, s29
.LBB2_5094:                             ;   in Loop: Header=BB2_5095 Depth=2
	s_or_b32 exec_lo, exec_lo, s28
	s_delay_alu instid0(SALU_CYCLE_1) | instskip(NEXT) | instid1(SALU_CYCLE_1)
	s_and_b32 s10, exec_lo, s25
	s_or_b32 s23, s10, s23
	s_and_not1_b32 s10, s24, exec_lo
	s_and_b32 s24, s26, exec_lo
	s_delay_alu instid0(SALU_CYCLE_1)
	s_or_b32 s24, s10, s24
	s_and_not1_b32 exec_lo, exec_lo, s23
	s_cbranch_execz .LBB2_5100
.LBB2_5095:                             ;   Parent Loop BB2_5087 Depth=1
                                        ; =>  This Inner Loop Header: Depth=2
	s_sleep 1
	s_wait_loadcnt_dscnt 0x0
	flat_load_b64 v[26:27], v[18:19] scope:SCOPE_SYS
	s_or_b32 s26, s26, exec_lo
	s_or_b32 s25, s25, exec_lo
                                        ; implicit-def: $vgpr9
	s_wait_xcnt 0x0
	s_and_saveexec_b32 s28, vcc_lo
	s_cbranch_execz .LBB2_5094
; %bb.5096:                             ;   in Loop: Header=BB2_5095 Depth=2
	s_cmp_lt_i32 s27, 0x270f
	s_mov_b32 s29, -1
	s_cselect_b32 s41, -1, 0
	s_cmp_gt_i32 s27, 0x270e
	s_cbranch_scc0 .LBB2_5098
; %bb.5097:                             ;   in Loop: Header=BB2_5095 Depth=2
	s_trap 2
	ds_load_b64 v[12:13], v0
	s_and_not1_b32 s27, s41, exec_lo
	s_mov_b32 s40, 0
	s_wait_storecnt 0x0
	s_wait_loadcnt_dscnt 0x0
	flat_load_b32 v9, v[12:13] scope:SCOPE_SYS
	s_wait_loadcnt_dscnt 0x0
	global_inv scope:SCOPE_SYS
	v_cmp_eq_u32_e64 s10, 0, v9
	s_and_b32 s10, s10, exec_lo
	s_delay_alu instid0(SALU_CYCLE_1)
	s_or_b32 s41, s27, s10
	s_mov_b32 s27, 0
	s_and_saveexec_b32 s42, s41
	s_cbranch_execz .LBB2_5093
	s_branch .LBB2_5099
.LBB2_5098:                             ;   in Loop: Header=BB2_5095 Depth=2
	s_add_co_i32 s27, s27, 1
	s_mov_b32 s40, -1
                                        ; implicit-def: $vgpr9
	s_and_saveexec_b32 s42, s41
	s_cbranch_execz .LBB2_5093
.LBB2_5099:                             ;   in Loop: Header=BB2_5095 Depth=2
	s_wait_loadcnt_dscnt 0x0
	v_add_nc_u64_e32 v[12:13], 8, v[26:27]
	s_or_b32 s40, s40, exec_lo
	s_delay_alu instid0(VALU_DEP_1)
	v_cmp_ge_u64_e64 s10, v[12:13], v[10:11]
	s_or_not1_b32 s29, s10, exec_lo
	s_branch .LBB2_5093
.LBB2_5100:                             ;   in Loop: Header=BB2_5087 Depth=1
	s_or_b32 exec_lo, exec_lo, s23
	s_xor_b32 s10, s24, -1
	s_delay_alu instid0(SALU_CYCLE_1) | instskip(NEXT) | instid1(SALU_CYCLE_1)
	s_and_saveexec_b32 s23, s10
	s_xor_b32 s10, exec_lo, s23
	s_cbranch_execz .LBB2_5102
; %bb.5101:                             ;   in Loop: Header=BB2_5087 Depth=1
	v_or_b32_e32 v102, 64, v102
	s_wait_storecnt 0x0
	s_wait_loadcnt_dscnt 0x0
	ds_store_b32 v0, v9
	s_trap 2
.LBB2_5102:                             ;   in Loop: Header=BB2_5087 Depth=1
	s_or_b32 exec_lo, exec_lo, s10
.LBB2_5103:                             ;   in Loop: Header=BB2_5087 Depth=1
	s_delay_alu instid0(SALU_CYCLE_1) | instskip(SKIP_4) | instid1(VALU_DEP_2)
	s_or_b32 exec_lo, exec_lo, s22
	v_and_b32_e32 v9, 0x100, v102
	v_and_b32_e32 v34, 7, v8
	s_mov_b32 s10, -1
	;;#ASMSTART
	s_wakeup
	;;#ASMEND
	v_cmp_ne_u32_e32 vcc_lo, 0, v9
                                        ; implicit-def: $vgpr8_vgpr9
	s_and_saveexec_b32 s22, vcc_lo
	s_cbranch_execz .LBB2_5107
; %bb.5104:                             ;   in Loop: Header=BB2_5087 Depth=1
	v_mad_nc_u64_u32 v[12:13], v34, 24, v[6:7]
	v_mov_b32_e32 v71, v35
	s_clause 0x1
	flat_load_b32 v8, v[12:13]
	flat_store_b64 v[12:13], v[70:71] offset:8
	s_wait_loadcnt_dscnt 0x1
	v_cmp_eq_u32_e64 s10, 1, v8
	v_cmp_ne_u32_e32 vcc_lo, 1, v8
                                        ; implicit-def: $vgpr8_vgpr9
	s_wait_xcnt 0x0
	s_and_saveexec_b32 s23, s10
	s_cbranch_execz .LBB2_5106
; %bb.5105:                             ;   in Loop: Header=BB2_5087 Depth=1
	flat_load_b32 v8, v[12:13] offset:4 scope:SCOPE_SYS
	s_wait_loadcnt_dscnt 0x0
	v_ashrrev_i32_e32 v9, 31, v8
.LBB2_5106:                             ;   in Loop: Header=BB2_5087 Depth=1
	s_wait_xcnt 0x0
	s_or_b32 exec_lo, exec_lo, s23
	s_delay_alu instid0(SALU_CYCLE_1)
	s_or_not1_b32 s10, vcc_lo, exec_lo
.LBB2_5107:                             ;   in Loop: Header=BB2_5087 Depth=1
	s_or_b32 exec_lo, exec_lo, s22
	s_and_saveexec_b32 s22, s10
; %bb.5108:                             ;   in Loop: Header=BB2_5087 Depth=1
	v_mul_u64_e32 v[8:9], v[34:35], v[20:21]
; %bb.5109:                             ;   in Loop: Header=BB2_5087 Depth=1
	s_or_b32 exec_lo, exec_lo, s22
	s_delay_alu instid0(VALU_DEP_1)
	v_add_nc_u64_e32 v[8:9], v[22:23], v[8:9]
	v_and_b32_e32 v12, 0x2000, v102
	s_mov_b32 s10, exec_lo
	ds_store_b64 v0, v[8:9] offset:784
	v_cmpx_ne_u32_e32 0, v12
	s_cbranch_execz .LBB2_5111
; %bb.5110:                             ;   in Loop: Header=BB2_5087 Depth=1
	ds_load_b64 v[8:9], v0 offset:872
	s_wait_dscnt 0x0
	v_add_nc_u64_e32 v[8:9], 1, v[8:9]
	ds_store_b64 v0, v[8:9] offset:872
.LBB2_5111:                             ;   in Loop: Header=BB2_5087 Depth=1
	s_or_b32 exec_lo, exec_lo, s10
	v_mov_b64_e32 v[8:9], v[10:11]
.LBB2_5112:                             ;   in Loop: Header=BB2_5087 Depth=1
	s_or_b32 exec_lo, exec_lo, s11
	s_and_saveexec_b32 s10, s2
	s_cbranch_execz .LBB2_5131
; %bb.5113:                             ;   in Loop: Header=BB2_5087 Depth=1
	s_and_saveexec_b32 s11, s3
	s_delay_alu instid0(SALU_CYCLE_1)
	s_xor_b32 s11, exec_lo, s11
	s_cbranch_execz .LBB2_5128
; %bb.5114:                             ;   in Loop: Header=BB2_5087 Depth=1
	s_and_saveexec_b32 s22, s4
	s_cbranch_execz .LBB2_5127
; %bb.5115:                             ;   in Loop: Header=BB2_5087 Depth=1
	s_mov_b32 s24, exec_lo
	s_mov_b32 s23, exec_lo
	v_mbcnt_lo_u32_b32 v10, s24, 0
	global_wb scope:SCOPE_DEV
	s_wait_storecnt 0x0
	s_wait_loadcnt_dscnt 0x0
	global_inv scope:SCOPE_DEV
	v_cmpx_eq_u32_e32 0, v10
	s_cbranch_execz .LBB2_5117
; %bb.5116:                             ;   in Loop: Header=BB2_5087 Depth=1
	s_bcnt1_i32_b32 s24, s24
	s_delay_alu instid0(SALU_CYCLE_1)
	v_mov_b32_e32 v34, s24
	s_wait_loadcnt 0x0
	ds_add_u64 v0, v[34:35]
	s_trap 2
.LBB2_5117:                             ;   in Loop: Header=BB2_5087 Depth=1
	s_or_b32 exec_lo, exec_lo, s23
	s_trap 2
	ds_load_b64 v[10:11], v0
	s_wait_dscnt 0x0
	v_add_nc_u64_e32 v[24:25], v[24:25], v[36:37]
	s_mov_b32 s23, exec_lo
	s_delay_alu instid0(VALU_DEP_1)
	v_cmpx_lt_u64_e64 v[10:11], v[24:25]
	s_cbranch_execz .LBB2_5126
; %bb.5118:                             ;   in Loop: Header=BB2_5087 Depth=1
	s_mov_b32 s24, 0
	s_mov_b32 s27, 0
                                        ; implicit-def: $sgpr25
                                        ; implicit-def: $sgpr26
	s_branch .LBB2_5120
.LBB2_5119:                             ;   in Loop: Header=BB2_5120 Depth=2
	s_or_b32 exec_lo, exec_lo, s29
	s_delay_alu instid0(SALU_CYCLE_1) | instskip(NEXT) | instid1(SALU_CYCLE_1)
	s_and_b32 s28, exec_lo, s40
	s_or_b32 s24, s28, s24
	s_and_not1_b32 s25, s25, exec_lo
	s_and_b32 s28, s26, exec_lo
	s_delay_alu instid0(SALU_CYCLE_1)
	s_or_b32 s25, s25, s28
	s_and_not1_b32 exec_lo, exec_lo, s24
	s_cbranch_execz .LBB2_5124
.LBB2_5120:                             ;   Parent Loop BB2_5087 Depth=1
                                        ; =>  This Inner Loop Header: Depth=2
	s_add_co_i32 s27, s27, 1
	s_delay_alu instid0(SALU_CYCLE_1) | instskip(SKIP_1) | instid1(SALU_CYCLE_1)
	s_cmp_lg_u32 s27, 0x2710
	s_cselect_b32 s28, -1, 0
	s_and_b32 vcc_lo, exec_lo, s28
	s_cbranch_vccz .LBB2_5122
; %bb.5121:                             ;   in Loop: Header=BB2_5120 Depth=2
	s_mov_b32 s40, -1
	s_or_b32 s26, s26, exec_lo
	s_and_saveexec_b32 s29, s28
	s_cbranch_execz .LBB2_5119
	s_branch .LBB2_5123
.LBB2_5122:                             ;   in Loop: Header=BB2_5120 Depth=2
	s_trap 2
	ds_load_b64 v[10:11], v0
	s_and_not1_b32 s28, s28, exec_lo
	s_mov_b32 s27, 0
	s_wait_loadcnt_dscnt 0x0
	flat_load_b32 v10, v[10:11] scope:SCOPE_SYS
	s_wait_loadcnt_dscnt 0x0
	global_inv scope:SCOPE_SYS
	v_cmp_eq_u32_e32 vcc_lo, 0, v10
	s_and_b32 s29, vcc_lo, exec_lo
	s_delay_alu instid0(SALU_CYCLE_1)
	s_or_b32 s28, s28, s29
	s_mov_b32 s40, -1
	s_or_b32 s26, s26, exec_lo
	s_and_saveexec_b32 s29, s28
	s_cbranch_execz .LBB2_5119
.LBB2_5123:                             ;   in Loop: Header=BB2_5120 Depth=2
	s_sleep 1
	s_trap 2
	ds_load_b64 v[10:11], v0
	s_wait_dscnt 0x0
	s_and_not1_b32 s26, s26, exec_lo
	v_cmp_ge_u64_e32 vcc_lo, v[10:11], v[24:25]
	s_or_not1_b32 s40, vcc_lo, exec_lo
	s_branch .LBB2_5119
.LBB2_5124:                             ;   in Loop: Header=BB2_5087 Depth=1
	s_or_b32 exec_lo, exec_lo, s24
	s_and_saveexec_b32 s24, s25
	s_delay_alu instid0(SALU_CYCLE_1)
	s_xor_b32 s24, exec_lo, s24
	s_cbranch_execz .LBB2_5126
; %bb.5125:                             ;   in Loop: Header=BB2_5087 Depth=1
	ds_store_b32 v0, v101
	s_trap 2
.LBB2_5126:                             ;   in Loop: Header=BB2_5087 Depth=1
	s_or_b32 exec_lo, exec_lo, s23
	;;#ASMSTART
	s_wakeup
	;;#ASMEND
.LBB2_5127:                             ;   in Loop: Header=BB2_5087 Depth=1
	s_or_b32 exec_lo, exec_lo, s22
.LBB2_5128:                             ;   in Loop: Header=BB2_5087 Depth=1
	s_and_not1_saveexec_b32 s11, s11
	s_cbranch_execz .LBB2_5130
; %bb.5129:                             ;   in Loop: Header=BB2_5087 Depth=1
	global_wb scope:SCOPE_DEV
	s_wait_storecnt 0x0
	s_wait_loadcnt_dscnt 0x0
	global_inv scope:SCOPE_DEV
	s_barrier_signal -1
	s_barrier_wait -1
.LBB2_5130:                             ;   in Loop: Header=BB2_5087 Depth=1
	s_or_b32 exec_lo, exec_lo, s11
.LBB2_5131:                             ;   in Loop: Header=BB2_5087 Depth=1
	s_delay_alu instid0(SALU_CYCLE_1) | instskip(SKIP_3) | instid1(VALU_DEP_1)
	s_or_b32 exec_lo, exec_lo, s10
	s_trap 2
	ds_load_b32 v10, v0
	v_and_b32_e32 v11, 0x4000, v102
	v_cmp_ne_u32_e32 vcc_lo, 0, v11
	s_and_b32 s11, s19, vcc_lo
	s_delay_alu instid0(SALU_CYCLE_1)
	s_and_saveexec_b32 s10, s11
	s_cbranch_execz .LBB2_5150
; %bb.5132:                             ;   in Loop: Header=BB2_5087 Depth=1
	s_and_saveexec_b32 s11, s3
	s_delay_alu instid0(SALU_CYCLE_1)
	s_xor_b32 s11, exec_lo, s11
	s_cbranch_execz .LBB2_5147
; %bb.5133:                             ;   in Loop: Header=BB2_5087 Depth=1
	s_and_saveexec_b32 s22, s4
	s_cbranch_execz .LBB2_5146
; %bb.5134:                             ;   in Loop: Header=BB2_5087 Depth=1
	s_mov_b32 s24, exec_lo
	s_mov_b32 s23, exec_lo
	v_mbcnt_lo_u32_b32 v11, s24, 0
	global_wb scope:SCOPE_DEV
	s_wait_storecnt 0x0
	s_wait_loadcnt_dscnt 0x0
	global_inv scope:SCOPE_DEV
	v_cmpx_eq_u32_e32 0, v11
	s_cbranch_execz .LBB2_5136
; %bb.5135:                             ;   in Loop: Header=BB2_5087 Depth=1
	s_bcnt1_i32_b32 s24, s24
	s_delay_alu instid0(SALU_CYCLE_1)
	v_mov_b32_e32 v34, s24
	s_wait_loadcnt 0x0
	ds_add_u64 v0, v[34:35]
	s_trap 2
.LBB2_5136:                             ;   in Loop: Header=BB2_5087 Depth=1
	s_or_b32 exec_lo, exec_lo, s23
	s_trap 2
	ds_load_b64 v[12:13], v0
	s_wait_dscnt 0x0
	v_add_nc_u64_e32 v[24:25], v[24:25], v[36:37]
	s_mov_b32 s23, exec_lo
	s_delay_alu instid0(VALU_DEP_1)
	v_cmpx_lt_u64_e64 v[12:13], v[24:25]
	s_cbranch_execz .LBB2_5145
; %bb.5137:                             ;   in Loop: Header=BB2_5087 Depth=1
	s_mov_b32 s24, 0
	s_mov_b32 s27, 0
                                        ; implicit-def: $sgpr25
                                        ; implicit-def: $sgpr26
	s_branch .LBB2_5139
.LBB2_5138:                             ;   in Loop: Header=BB2_5139 Depth=2
	s_or_b32 exec_lo, exec_lo, s29
	s_delay_alu instid0(SALU_CYCLE_1) | instskip(NEXT) | instid1(SALU_CYCLE_1)
	s_and_b32 s28, exec_lo, s40
	s_or_b32 s24, s28, s24
	s_and_not1_b32 s25, s25, exec_lo
	s_and_b32 s28, s26, exec_lo
	s_delay_alu instid0(SALU_CYCLE_1)
	s_or_b32 s25, s25, s28
	s_and_not1_b32 exec_lo, exec_lo, s24
	s_cbranch_execz .LBB2_5143
.LBB2_5139:                             ;   Parent Loop BB2_5087 Depth=1
                                        ; =>  This Inner Loop Header: Depth=2
	s_add_co_i32 s27, s27, 1
	s_delay_alu instid0(SALU_CYCLE_1) | instskip(SKIP_1) | instid1(SALU_CYCLE_1)
	s_cmp_lg_u32 s27, 0x2710
	s_cselect_b32 s28, -1, 0
	s_and_b32 vcc_lo, exec_lo, s28
	s_cbranch_vccz .LBB2_5141
; %bb.5140:                             ;   in Loop: Header=BB2_5139 Depth=2
	s_mov_b32 s40, -1
	s_or_b32 s26, s26, exec_lo
	s_and_saveexec_b32 s29, s28
	s_cbranch_execz .LBB2_5138
	s_branch .LBB2_5142
.LBB2_5141:                             ;   in Loop: Header=BB2_5139 Depth=2
	s_trap 2
	ds_load_b64 v[12:13], v0
	s_and_not1_b32 s28, s28, exec_lo
	s_mov_b32 s27, 0
	s_wait_loadcnt_dscnt 0x0
	flat_load_b32 v11, v[12:13] scope:SCOPE_SYS
	s_wait_loadcnt_dscnt 0x0
	global_inv scope:SCOPE_SYS
	v_cmp_eq_u32_e32 vcc_lo, 0, v11
	s_and_b32 s29, vcc_lo, exec_lo
	s_delay_alu instid0(SALU_CYCLE_1)
	s_or_b32 s28, s28, s29
	s_mov_b32 s40, -1
	s_or_b32 s26, s26, exec_lo
	s_and_saveexec_b32 s29, s28
	s_cbranch_execz .LBB2_5138
.LBB2_5142:                             ;   in Loop: Header=BB2_5139 Depth=2
	s_sleep 1
	s_trap 2
	ds_load_b64 v[12:13], v0
	s_wait_dscnt 0x0
	s_and_not1_b32 s26, s26, exec_lo
	v_cmp_ge_u64_e32 vcc_lo, v[12:13], v[24:25]
	s_or_not1_b32 s40, vcc_lo, exec_lo
	s_branch .LBB2_5138
.LBB2_5143:                             ;   in Loop: Header=BB2_5087 Depth=1
	s_or_b32 exec_lo, exec_lo, s24
	s_and_saveexec_b32 s24, s25
	s_delay_alu instid0(SALU_CYCLE_1)
	s_xor_b32 s24, exec_lo, s24
	s_cbranch_execz .LBB2_5145
; %bb.5144:                             ;   in Loop: Header=BB2_5087 Depth=1
	ds_store_b32 v0, v101
	s_trap 2
.LBB2_5145:                             ;   in Loop: Header=BB2_5087 Depth=1
	s_or_b32 exec_lo, exec_lo, s23
	;;#ASMSTART
	s_wakeup
	;;#ASMEND
.LBB2_5146:                             ;   in Loop: Header=BB2_5087 Depth=1
	s_or_b32 exec_lo, exec_lo, s22
.LBB2_5147:                             ;   in Loop: Header=BB2_5087 Depth=1
	s_and_not1_saveexec_b32 s11, s11
	s_cbranch_execz .LBB2_5149
; %bb.5148:                             ;   in Loop: Header=BB2_5087 Depth=1
	global_wb scope:SCOPE_DEV
	s_wait_storecnt 0x0
	s_wait_loadcnt_dscnt 0x0
	global_inv scope:SCOPE_DEV
	s_barrier_signal -1
	s_barrier_wait -1
.LBB2_5149:                             ;   in Loop: Header=BB2_5087 Depth=1
	s_or_b32 exec_lo, exec_lo, s11
.LBB2_5150:                             ;   in Loop: Header=BB2_5087 Depth=1
	s_delay_alu instid0(SALU_CYCLE_1)
	s_or_b32 exec_lo, exec_lo, s10
	s_trap 2
	ds_load_b64 v[80:81], v0
	s_wait_dscnt 0x0
	v_cmp_eq_u64_e32 vcc_lo, 0, v[80:81]
	s_cbranch_vccnz .LBB2_5158
; %bb.5151:                             ;   in Loop: Header=BB2_5087 Depth=1
	s_trap 2
	ds_load_b64 v[82:83], v0
	s_wait_dscnt 0x0
	v_cmp_eq_u64_e32 vcc_lo, 0, v[82:83]
	s_cbranch_vccnz .LBB2_5158
; %bb.5152:                             ;   in Loop: Header=BB2_5087 Depth=1
	s_mov_b32 s10, -1
	s_and_saveexec_b32 s11, s5
	s_cbranch_execz .LBB2_5154
; %bb.5153:                             ;   in Loop: Header=BB2_5087 Depth=1
	ds_load_b32 v11, v0 offset:720
	s_wait_dscnt 0x0
	v_and_b32_e32 v11, 15, v11
	s_delay_alu instid0(VALU_DEP_1)
	v_cmp_eq_u32_e32 vcc_lo, 0, v11
	s_or_not1_b32 s10, vcc_lo, exec_lo
.LBB2_5154:                             ;   in Loop: Header=BB2_5087 Depth=1
	s_or_b32 exec_lo, exec_lo, s11
	s_and_saveexec_b32 s11, s6
	s_cbranch_execz .LBB2_5156
; %bb.5155:                             ;   in Loop: Header=BB2_5087 Depth=1
	ds_load_b32 v11, v0 offset:784
	s_wait_dscnt 0x0
	v_and_b32_e32 v11, 15, v11
	s_delay_alu instid0(VALU_DEP_1) | instskip(SKIP_3) | instid1(SALU_CYCLE_1)
	v_cmp_eq_u32_e32 vcc_lo, 0, v11
	s_and_b32 s22, s10, vcc_lo
	s_and_not1_b32 s10, s10, exec_lo
	s_and_b32 s22, s22, exec_lo
	s_or_b32 s10, s10, s22
.LBB2_5156:                             ;   in Loop: Header=BB2_5087 Depth=1
	s_or_b32 exec_lo, exec_lo, s11
	v_cmp_eq_u32_e32 vcc_lo, 0, v10
	s_xor_b32 s10, s10, -1
	v_mov_b32_e32 v96, 0
	v_cndmask_b32_e64 v11, 0, 1, s10
	s_mov_b32 s10, -1
	v_dual_cndmask_b32 v69, 0, v70 :: v_dual_mov_b32 v98, v0
	s_delay_alu instid0(VALU_DEP_2) | instskip(NEXT) | instid1(VALU_DEP_2)
	v_cmp_ne_u32_e32 vcc_lo, 0, v11
	v_mov_b32_e32 v97, v69
	s_cbranch_vccz .LBB2_5159
; %bb.5157:                             ;   in Loop: Header=BB2_5087 Depth=1
	s_and_saveexec_b32 s22, s10
	s_cbranch_execnz .LBB2_6314
	s_branch .LBB2_6582
.LBB2_5158:                             ;   in Loop: Header=BB2_5087 Depth=1
	s_mov_b32 s10, 0
	s_and_saveexec_b32 s11, s2
	s_cbranch_execnz .LBB2_6583
	s_branch .LBB2_6601
.LBB2_5159:                             ;   in Loop: Header=BB2_5087 Depth=1
	v_lshrrev_b32_e32 v10, 10, v69
	s_mov_b32 s11, exec_lo
	s_delay_alu instid0(VALU_DEP_1) | instskip(NEXT) | instid1(VALU_DEP_1)
	v_sub_nc_u32_e32 v71, v10, v100
	v_cmpx_lt_i32_e32 0, v71
	s_cbranch_execz .LBB2_5923
; %bb.5160:                             ;   in Loop: Header=BB2_5087 Depth=1
	s_trap 2
	ds_load_b64 v[10:11], v0
	v_mov_b64_e32 v[84:85], v[66:67]
	s_wait_dscnt 0x0
	v_readfirstlane_b32 s24, v10
	v_readfirstlane_b32 s25, v11
	s_and_b32 s10, s24, 7
	s_and_b32 s26, s24, 0x7f
	s_clz_i32_u32 s10, s10
	s_bfe_u32 s22, s24, 0x40003
	s_min_u32 s10, s10, 32
	s_delay_alu instid0(SALU_CYCLE_1)
	s_sub_co_i32 s23, s10, 28
	s_sub_co_i32 s10, 29, s10
	s_cmp_lt_u32 s26, 8
	s_cselect_b32 s10, s10, s22
	s_cselect_b32 s22, s23, 0
	s_lshl_b32 s27, s24, 24
	s_lshl_b64 s[22:23], s[24:25], s22
	s_and_b32 s23, s27, 0x80000000
	s_lshl_b32 s22, s22, 20
	s_lshl_b32 s10, s10, 23
	s_and_b32 s22, s22, 0x700000
	s_add_co_i32 s10, s10, 0x3c000000
	s_or_b32 s22, s22, s23
	s_mov_b32 s23, 0
	s_or_b32 s10, s10, s22
	s_cmp_lg_u32 s26, 0x7f
	s_cselect_b32 s22, s10, 0x7f800001
	s_and_b32 s24, s24, 0xff
	s_delay_alu instid0(SALU_CYCLE_1)
	s_and_b32 s25, 0xffff, s24
	s_branch .LBB2_5162
.LBB2_5161:                             ;   in Loop: Header=BB2_5162 Depth=2
	s_or_b32 exec_lo, exec_lo, s10
	v_lshl_or_b32 v11, v117, 8, v116
	v_dual_lshlrev_b32 v12, 16, v98 :: v_dual_lshlrev_b32 v13, 24, v99
	v_lshl_or_b32 v34, v113, 8, v112
	v_dual_lshlrev_b32 v87, 16, v114 :: v_dual_lshlrev_b32 v99, 24, v45
	v_lshl_or_b32 v116, v43, 8, v42
	s_delay_alu instid0(VALU_DEP_4)
	v_or3_b32 v113, v11, v12, v13
	v_dual_lshlrev_b32 v11, 24, v115 :: v_dual_lshlrev_b32 v115, 16, v44
	v_lshl_or_b32 v12, v119, 8, v118
	v_dual_lshlrev_b32 v13, 16, v40 :: v_dual_lshlrev_b32 v98, 24, v41
	v_lshl_or_b32 v117, v59, 8, v58
	v_dual_lshlrev_b32 v118, 16, v96 :: v_dual_lshlrev_b32 v119, 24, v97
	v_or3_b32 v115, v116, v115, v99
	v_dual_lshlrev_b32 v116, 24, v10 :: v_dual_sub_nc_u32 v71, v71, v36
	v_or3_b32 v112, v34, v87, v11
	v_or3_b32 v114, v12, v13, v98
	;; [unrolled: 1-line block ×3, first 2 shown]
	v_lshl_or_b32 v12, v47, 8, v46
	v_dual_lshlrev_b32 v13, 16, v56 :: v_dual_lshlrev_b32 v34, 24, v57
	v_lshl_or_b32 v87, v61, 8, v60
	v_dual_lshlrev_b32 v98, 16, v62 :: v_dual_lshlrev_b32 v99, 24, v63
	v_lshlrev_b32_e32 v86, 16, v86
	v_lshl_or_b32 v117, v73, 8, v72
	v_add_nc_u64_e32 v[96:97], v[82:83], v[84:85]
	v_cmp_gt_i32_e32 vcc_lo, 1, v71
	v_add_nc_u64_e32 v[84:85], v[84:85], v[38:39]
	v_or3_b32 v10, v12, v13, v34
	v_or3_b32 v12, v87, v98, v99
	;; [unrolled: 1-line block ×3, first 2 shown]
	s_or_b32 s23, vcc_lo, s23
	s_clause 0x1
	global_store_b128 v[96:97], v[112:115], off th:TH_STORE_NT
	global_store_b128 v[96:97], v[10:13], off offset:512 th:TH_STORE_NT
	s_wait_xcnt 0x0
	s_and_not1_b32 exec_lo, exec_lo, s23
	s_cbranch_execz .LBB2_5922
.LBB2_5162:                             ;   Parent Loop BB2_5087 Depth=1
                                        ; =>  This Inner Loop Header: Depth=2
	s_cmp_lt_i32 s24, 0x80
	s_cbranch_scc1 .LBB2_5166
; %bb.5163:                             ;   in Loop: Header=BB2_5162 Depth=2
	s_cmp_eq_u32 s25, 0x80
	s_mov_b32 s10, -1
	s_cbranch_scc0 .LBB2_5165
; %bb.5164:                             ;   in Loop: Header=BB2_5162 Depth=2
	s_mov_b32 s10, 0
.LBB2_5165:                             ;   in Loop: Header=BB2_5162 Depth=2
	s_brev_b32 s26, 1
	s_branch .LBB2_5168
.LBB2_5166:                             ;   in Loop: Header=BB2_5162 Depth=2
	s_mov_b32 s10, 0
	s_brev_b32 s26, 1
	s_cbranch_execz .LBB2_5168
; %bb.5167:                             ;   in Loop: Header=BB2_5162 Depth=2
	s_cmp_lg_u32 s25, 0
	s_mov_b32 s26, 0
	s_cselect_b32 s10, -1, 0
.LBB2_5168:                             ;   in Loop: Header=BB2_5162 Depth=2
	s_delay_alu instid0(SALU_CYCLE_1)
	s_and_not1_b32 vcc_lo, exec_lo, s10
	s_cbranch_vccnz .LBB2_5170
; %bb.5169:                             ;   in Loop: Header=BB2_5162 Depth=2
	s_mov_b32 s26, s22
.LBB2_5170:                             ;   in Loop: Header=BB2_5162 Depth=2
	v_add_nc_u64_e32 v[86:87], v[80:81], v[84:85]
	v_mov_b32_e32 v34, 0
	s_mov_b32 s10, exec_lo
	global_load_b128 v[10:13], v[86:87], off th:TH_LOAD_NT
	s_wait_loadcnt 0x0
	v_and_b32_e32 v96, 0xff, v10
	s_wait_xcnt 0x0
	s_delay_alu instid0(VALU_DEP_1)
	v_cmpx_ne_u16_e32 0, v96
	s_cbranch_execz .LBB2_5176
; %bb.5171:                             ;   in Loop: Header=BB2_5162 Depth=2
	v_bfrev_b32_e32 v34, 1
	s_mov_b32 s27, exec_lo
	v_cmpx_ne_u16_e32 0x80, v96
	s_cbranch_execz .LBB2_5175
; %bb.5172:                             ;   in Loop: Header=BB2_5162 Depth=2
	v_and_b32_e32 v96, 0x7f, v10
	v_mov_b32_e32 v34, 0x7f800001
	s_mov_b32 s28, exec_lo
	s_delay_alu instid0(VALU_DEP_2)
	v_cmpx_ne_u32_e32 0x7f, v96
	s_cbranch_execz .LBB2_5174
; %bb.5173:                             ;   in Loop: Header=BB2_5162 Depth=2
	v_dual_lshrrev_b32 v97, 3, v96 :: v_dual_bitop2_b32 v34, 7, v10 bitop3:0x40
	v_cmp_gt_u32_e32 vcc_lo, 8, v96
	s_delay_alu instid0(VALU_DEP_2) | instskip(NEXT) | instid1(VALU_DEP_1)
	v_clz_i32_u32_e32 v34, v34
	v_min_u32_e32 v34, 32, v34
	s_delay_alu instid0(VALU_DEP_1) | instskip(SKIP_1) | instid1(VALU_DEP_2)
	v_subrev_nc_u32_e32 v98, 28, v34
	v_sub_nc_u32_e32 v34, 29, v34
	v_cndmask_b32_e32 v96, 0, v98, vcc_lo
	s_delay_alu instid0(VALU_DEP_2) | instskip(NEXT) | instid1(VALU_DEP_2)
	v_cndmask_b32_e32 v34, v97, v34, vcc_lo
	v_lshlrev_b64_e32 v[96:97], v96, v[10:11]
	v_lshlrev_b32_e32 v97, 24, v10
	s_delay_alu instid0(VALU_DEP_3) | instskip(NEXT) | instid1(VALU_DEP_2)
	v_lshl_add_u32 v34, v34, 23, 0x3c000000
	v_and_b32_e32 v97, 0x80000000, v97
	s_delay_alu instid0(VALU_DEP_4) | instskip(NEXT) | instid1(VALU_DEP_1)
	v_lshlrev_b32_e32 v96, 20, v96
	v_and_b32_e32 v96, 0x700000, v96
	s_delay_alu instid0(VALU_DEP_1)
	v_or3_b32 v34, v96, v97, v34
.LBB2_5174:                             ;   in Loop: Header=BB2_5162 Depth=2
	s_or_b32 exec_lo, exec_lo, s28
.LBB2_5175:                             ;   in Loop: Header=BB2_5162 Depth=2
	s_delay_alu instid0(SALU_CYCLE_1)
	s_or_b32 exec_lo, exec_lo, s27
.LBB2_5176:                             ;   in Loop: Header=BB2_5162 Depth=2
	s_delay_alu instid0(SALU_CYCLE_1) | instskip(NEXT) | instid1(VALU_DEP_1)
	s_or_b32 exec_lo, exec_lo, s10
	v_mul_f32_e32 v96, s26, v34
                                        ; implicit-def: $vgpr112
	s_mov_b32 s10, exec_lo
	s_delay_alu instid0(VALU_DEP_1) | instskip(SKIP_1) | instid1(VALU_DEP_2)
	v_and_b32_e32 v34, 0x7f800000, v96
	v_lshrrev_b32_e32 v97, 24, v96
	v_cmpx_ne_u64_e32 0x7f800000, v[34:35]
	s_xor_b32 s27, exec_lo, s10
	s_cbranch_execz .LBB2_5190
; %bb.5177:                             ;   in Loop: Header=BB2_5162 Depth=2
	v_and_b32_e32 v34, 0x7fffffff, v96
	v_and_b32_e32 v113, 0x80, v97
                                        ; implicit-def: $vgpr112
	s_mov_b32 s10, exec_lo
	s_delay_alu instid0(VALU_DEP_2)
	v_cmpx_gt_u64_e32 0x43e00001, v[34:35]
	s_xor_b32 s28, exec_lo, s10
	s_cbranch_execz .LBB2_5187
; %bb.5178:                             ;   in Loop: Header=BB2_5162 Depth=2
	v_mov_b32_e32 v112, 0
	s_mov_b32 s29, exec_lo
	v_cmpx_ne_u32_e32 0, v96
	s_cbranch_execz .LBB2_5186
; %bb.5179:                             ;   in Loop: Header=BB2_5162 Depth=2
	v_bfe_u32 v112, v96, 23, 8
	s_delay_alu instid0(VALU_DEP_1) | instskip(SKIP_1) | instid1(VALU_DEP_2)
	v_sub_nc_u32_e32 v34, 0x79, v112
	v_cmp_gt_u32_e32 vcc_lo, 0x7a, v112
	v_cndmask_b32_e32 v34, 0, v34, vcc_lo
	v_cmp_eq_u32_e32 vcc_lo, 0, v112
	s_delay_alu instid0(VALU_DEP_2) | instskip(SKIP_1) | instid1(VALU_DEP_2)
	v_cndmask_b32_e64 v114, v34, 0x78, vcc_lo
	v_and_b32_e32 v34, 0x7fffff, v96
	v_dual_add_nc_u32 v96, 20, v114 :: v_dual_add_nc_u32 v99, 19, v114
	s_delay_alu instid0(VALU_DEP_2) | instskip(NEXT) | instid1(VALU_DEP_2)
	v_or_b32_e32 v98, 0x800000, v34
	v_lshlrev_b64_e64 v[96:97], v96, -1
	s_delay_alu instid0(VALU_DEP_2) | instskip(NEXT) | instid1(VALU_DEP_4)
	v_cndmask_b32_e32 v34, v98, v34, vcc_lo
	v_lshlrev_b64_e64 v[98:99], v99, 1
	s_delay_alu instid0(VALU_DEP_3) | instskip(NEXT) | instid1(VALU_DEP_3)
	v_bfi_b32 v117, v97, 0, 0
	v_bfi_b32 v116, v96, 0, v34
	v_lshrrev_b64 v[96:97], v114, v[34:35]
	s_delay_alu instid0(VALU_DEP_2) | instskip(NEXT) | instid1(VALU_DEP_2)
	v_cmp_eq_u64_e64 s10, v[116:117], v[98:99]
	v_mov_b64_e32 v[98:99], v[96:97]
	s_and_saveexec_b32 s40, s10
; %bb.5180:                             ;   in Loop: Header=BB2_5162 Depth=2
	v_bfe_u32 v34, v96, 20, 1
	s_delay_alu instid0(VALU_DEP_1) | instskip(NEXT) | instid1(VALU_DEP_1)
	v_add_nc_u64_e32 v[98:99], v[96:97], v[34:35]
	v_add_nc_u64_e32 v[98:99], -1, v[98:99]
; %bb.5181:                             ;   in Loop: Header=BB2_5162 Depth=2
	s_or_b32 exec_lo, exec_lo, s40
	v_add_nc_u32_e32 v34, 0xffffff81, v112
	v_lshrrev_b32_e32 v97, 23, v96
	s_mov_b32 s10, exec_lo
	s_delay_alu instid0(VALU_DEP_2) | instskip(NEXT) | instid1(VALU_DEP_1)
	v_cndmask_b32_e64 v34, v34, 0xffffff82, vcc_lo
	v_add3_u32 v99, v114, v34, v97
	v_and_b32_e32 v34, 0xfffff, v98
                                        ; implicit-def: $vgpr98
	s_delay_alu instid0(VALU_DEP_1) | instskip(NEXT) | instid1(VALU_DEP_1)
	v_dual_add_nc_u32 v112, 6, v99 :: v_dual_add_nc_u32 v34, v34, v96
                                        ; implicit-def: $vgpr96_vgpr97
	v_cmpx_ne_u32_e32 0, v112
	s_xor_b32 s10, exec_lo, s10
; %bb.5182:                             ;   in Loop: Header=BB2_5162 Depth=2
	s_delay_alu instid0(VALU_DEP_2) | instskip(SKIP_1) | instid1(VALU_DEP_1)
	v_cmp_lt_u64_e32 vcc_lo, 0xffffff, v[34:35]
	v_add_nc_u32_e32 v96, 7, v99
	v_cndmask_b32_e32 v98, v112, v96, vcc_lo
	v_cndmask_b32_e64 v96, 0, 1, vcc_lo
	s_delay_alu instid0(VALU_DEP_1)
	v_lshrrev_b64 v[96:97], v96, v[34:35]
; %bb.5183:                             ;   in Loop: Header=BB2_5162 Depth=2
	s_and_not1_saveexec_b32 s10, s10
; %bb.5184:                             ;   in Loop: Header=BB2_5162 Depth=2
	v_mov_b64_e32 v[96:97], v[34:35]
	v_bfe_u32 v98, v34, 23, 1
; %bb.5185:                             ;   in Loop: Header=BB2_5162 Depth=2
	s_or_b32 exec_lo, exec_lo, s10
	s_delay_alu instid0(VALU_DEP_2) | instskip(NEXT) | instid1(VALU_DEP_2)
	v_lshrrev_b64 v[96:97], 20, v[96:97]
	v_cmp_gt_i32_e32 vcc_lo, 16, v98
	v_min_i32_e32 v34, 15, v98
	v_cmp_eq_u32_e64 s10, 0, v98
	s_delay_alu instid0(VALU_DEP_2) | instskip(SKIP_1) | instid1(VALU_DEP_2)
	v_dual_cndmask_b32 v97, 0, v97 :: v_dual_lshlrev_b32 v34, 3, v34
	v_cndmask_b32_e32 v96, 7, v96, vcc_lo
	v_and_b32_e32 v34, 0xf8, v34
	s_delay_alu instid0(VALU_DEP_2) | instskip(NEXT) | instid1(VALU_DEP_2)
	v_cmp_eq_u64_e32 vcc_lo, 0, v[96:97]
	v_and_or_b32 v34, v96, 7, v34
	s_and_b32 s10, s10, vcc_lo
	s_delay_alu instid0(VALU_DEP_1) | instid1(SALU_CYCLE_1)
	v_cndmask_b32_e64 v34, v34, 0, s10
	s_delay_alu instid0(VALU_DEP_1)
	v_or_b32_e32 v112, v34, v113
.LBB2_5186:                             ;   in Loop: Header=BB2_5162 Depth=2
	s_or_b32 exec_lo, exec_lo, s29
                                        ; implicit-def: $vgpr113
.LBB2_5187:                             ;   in Loop: Header=BB2_5162 Depth=2
	s_and_not1_saveexec_b32 s10, s28
; %bb.5188:                             ;   in Loop: Header=BB2_5162 Depth=2
	v_or_b32_e32 v112, 0x7e, v113
; %bb.5189:                             ;   in Loop: Header=BB2_5162 Depth=2
	s_or_b32 exec_lo, exec_lo, s10
                                        ; implicit-def: $vgpr97
.LBB2_5190:                             ;   in Loop: Header=BB2_5162 Depth=2
	s_and_not1_saveexec_b32 s10, s27
; %bb.5191:                             ;   in Loop: Header=BB2_5162 Depth=2
	v_or_b32_e32 v112, 0x7f, v97
; %bb.5192:                             ;   in Loop: Header=BB2_5162 Depth=2
	s_or_b32 exec_lo, exec_lo, s10
	v_lshrrev_b16 v96, 8, v10
	v_mov_b32_e32 v34, 0
	s_mov_b32 s10, exec_lo
	s_delay_alu instid0(VALU_DEP_2)
	v_cmpx_ne_u16_e32 0, v96
	s_cbranch_execz .LBB2_5200
; %bb.5193:                             ;   in Loop: Header=BB2_5162 Depth=2
	v_bfrev_b32_e32 v34, 1
	s_mov_b32 s27, exec_lo
	v_cmpx_ne_u16_e32 0x80, v96
	s_cbranch_execz .LBB2_5199
; %bb.5194:                             ;   in Loop: Header=BB2_5162 Depth=2
	v_and_b32_e32 v96, 0xffff, v96
	v_mov_b32_e32 v34, 0x7f800001
	s_mov_b32 s28, exec_lo
	s_delay_alu instid0(VALU_DEP_2) | instskip(NEXT) | instid1(VALU_DEP_1)
	v_and_b32_e32 v97, 0x7f, v96
	v_cmpx_ne_u32_e32 0x7f, v97
	s_cbranch_execz .LBB2_5198
; %bb.5195:                             ;   in Loop: Header=BB2_5162 Depth=2
	v_dual_lshrrev_b32 v96, 3, v97 :: v_dual_bitop2_b32 v34, 7, v96 bitop3:0x40
	s_mov_b32 s29, exec_lo
	v_cmpx_gt_u32_e32 8, v97
; %bb.5196:                             ;   in Loop: Header=BB2_5162 Depth=2
	s_delay_alu instid0(VALU_DEP_2) | instskip(NEXT) | instid1(VALU_DEP_1)
	v_clz_i32_u32_e32 v96, v34
	v_min_u32_e32 v96, 32, v96
	s_delay_alu instid0(VALU_DEP_1) | instskip(NEXT) | instid1(VALU_DEP_1)
	v_subrev_nc_u32_e32 v97, 28, v96
	v_lshlrev_b64_e32 v[98:99], v97, v[34:35]
	s_delay_alu instid0(VALU_DEP_1)
	v_dual_sub_nc_u32 v96, 29, v96 :: v_dual_bitop2_b32 v34, 7, v98 bitop3:0x40
; %bb.5197:                             ;   in Loop: Header=BB2_5162 Depth=2
	s_or_b32 exec_lo, exec_lo, s29
	v_lshlrev_b32_e32 v97, 16, v10
	s_delay_alu instid0(VALU_DEP_2) | instskip(NEXT) | instid1(VALU_DEP_3)
	v_lshlrev_b32_e32 v34, 20, v34
	v_lshl_add_u32 v96, v96, 23, 0x3c000000
	s_delay_alu instid0(VALU_DEP_3) | instskip(NEXT) | instid1(VALU_DEP_1)
	v_and_b32_e32 v97, 0x80000000, v97
	v_or3_b32 v34, v34, v97, v96
.LBB2_5198:                             ;   in Loop: Header=BB2_5162 Depth=2
	s_or_b32 exec_lo, exec_lo, s28
.LBB2_5199:                             ;   in Loop: Header=BB2_5162 Depth=2
	s_delay_alu instid0(SALU_CYCLE_1)
	s_or_b32 exec_lo, exec_lo, s27
.LBB2_5200:                             ;   in Loop: Header=BB2_5162 Depth=2
	s_delay_alu instid0(SALU_CYCLE_1) | instskip(NEXT) | instid1(VALU_DEP_1)
	s_or_b32 exec_lo, exec_lo, s10
	v_mul_f32_e32 v96, s26, v34
                                        ; implicit-def: $vgpr113
	s_mov_b32 s10, exec_lo
	s_delay_alu instid0(VALU_DEP_1) | instskip(SKIP_1) | instid1(VALU_DEP_2)
	v_and_b32_e32 v34, 0x7f800000, v96
	v_lshrrev_b32_e32 v97, 24, v96
	v_cmpx_ne_u64_e32 0x7f800000, v[34:35]
	s_xor_b32 s27, exec_lo, s10
	s_cbranch_execz .LBB2_5214
; %bb.5201:                             ;   in Loop: Header=BB2_5162 Depth=2
	v_and_b32_e32 v34, 0x7fffffff, v96
	v_and_b32_e32 v114, 0x80, v97
                                        ; implicit-def: $vgpr113
	s_mov_b32 s10, exec_lo
	s_delay_alu instid0(VALU_DEP_2)
	v_cmpx_gt_u64_e32 0x43e00001, v[34:35]
	s_xor_b32 s28, exec_lo, s10
	s_cbranch_execz .LBB2_5211
; %bb.5202:                             ;   in Loop: Header=BB2_5162 Depth=2
	v_mov_b32_e32 v113, 0
	s_mov_b32 s29, exec_lo
	v_cmpx_ne_u32_e32 0, v96
	s_cbranch_execz .LBB2_5210
; %bb.5203:                             ;   in Loop: Header=BB2_5162 Depth=2
	v_bfe_u32 v113, v96, 23, 8
	s_delay_alu instid0(VALU_DEP_1) | instskip(SKIP_1) | instid1(VALU_DEP_2)
	v_sub_nc_u32_e32 v34, 0x79, v113
	v_cmp_gt_u32_e32 vcc_lo, 0x7a, v113
	v_cndmask_b32_e32 v34, 0, v34, vcc_lo
	v_cmp_eq_u32_e32 vcc_lo, 0, v113
	s_delay_alu instid0(VALU_DEP_2) | instskip(SKIP_1) | instid1(VALU_DEP_2)
	v_cndmask_b32_e64 v115, v34, 0x78, vcc_lo
	v_and_b32_e32 v34, 0x7fffff, v96
	v_add_nc_u32_e32 v96, 20, v115
	s_delay_alu instid0(VALU_DEP_2) | instskip(SKIP_1) | instid1(VALU_DEP_3)
	v_or_b32_e32 v98, 0x800000, v34
	v_add_nc_u32_e32 v99, 19, v115
	v_lshlrev_b64_e64 v[96:97], v96, -1
	s_delay_alu instid0(VALU_DEP_3) | instskip(NEXT) | instid1(VALU_DEP_3)
	v_cndmask_b32_e32 v34, v98, v34, vcc_lo
	v_lshlrev_b64_e64 v[98:99], v99, 1
	s_delay_alu instid0(VALU_DEP_3) | instskip(NEXT) | instid1(VALU_DEP_3)
	v_bfi_b32 v117, v97, 0, 0
	v_bfi_b32 v116, v96, 0, v34
	v_lshrrev_b64 v[96:97], v115, v[34:35]
	s_delay_alu instid0(VALU_DEP_2) | instskip(NEXT) | instid1(VALU_DEP_2)
	v_cmp_eq_u64_e64 s10, v[116:117], v[98:99]
	v_mov_b64_e32 v[98:99], v[96:97]
	s_and_saveexec_b32 s40, s10
; %bb.5204:                             ;   in Loop: Header=BB2_5162 Depth=2
	v_bfe_u32 v34, v96, 20, 1
	s_delay_alu instid0(VALU_DEP_1) | instskip(NEXT) | instid1(VALU_DEP_1)
	v_add_nc_u64_e32 v[98:99], v[96:97], v[34:35]
	v_add_nc_u64_e32 v[98:99], -1, v[98:99]
; %bb.5205:                             ;   in Loop: Header=BB2_5162 Depth=2
	s_or_b32 exec_lo, exec_lo, s40
	v_add_nc_u32_e32 v34, 0xffffff81, v113
	v_lshrrev_b32_e32 v97, 23, v96
	s_mov_b32 s10, exec_lo
	s_delay_alu instid0(VALU_DEP_2) | instskip(NEXT) | instid1(VALU_DEP_1)
	v_cndmask_b32_e64 v34, v34, 0xffffff82, vcc_lo
	v_add3_u32 v99, v115, v34, v97
	v_and_b32_e32 v34, 0xfffff, v98
                                        ; implicit-def: $vgpr98
	s_delay_alu instid0(VALU_DEP_1) | instskip(NEXT) | instid1(VALU_DEP_1)
	v_dual_add_nc_u32 v113, 6, v99 :: v_dual_add_nc_u32 v34, v34, v96
                                        ; implicit-def: $vgpr96_vgpr97
	v_cmpx_ne_u32_e32 0, v113
	s_xor_b32 s10, exec_lo, s10
; %bb.5206:                             ;   in Loop: Header=BB2_5162 Depth=2
	s_delay_alu instid0(VALU_DEP_2) | instskip(SKIP_1) | instid1(VALU_DEP_1)
	v_cmp_lt_u64_e32 vcc_lo, 0xffffff, v[34:35]
	v_add_nc_u32_e32 v96, 7, v99
	v_cndmask_b32_e32 v98, v113, v96, vcc_lo
	v_cndmask_b32_e64 v96, 0, 1, vcc_lo
	s_delay_alu instid0(VALU_DEP_1)
	v_lshrrev_b64 v[96:97], v96, v[34:35]
; %bb.5207:                             ;   in Loop: Header=BB2_5162 Depth=2
	s_and_not1_saveexec_b32 s10, s10
; %bb.5208:                             ;   in Loop: Header=BB2_5162 Depth=2
	v_mov_b64_e32 v[96:97], v[34:35]
	v_bfe_u32 v98, v34, 23, 1
; %bb.5209:                             ;   in Loop: Header=BB2_5162 Depth=2
	s_or_b32 exec_lo, exec_lo, s10
	s_delay_alu instid0(VALU_DEP_2) | instskip(NEXT) | instid1(VALU_DEP_2)
	v_lshrrev_b64 v[96:97], 20, v[96:97]
	v_cmp_gt_i32_e32 vcc_lo, 16, v98
	v_min_i32_e32 v34, 15, v98
	v_cmp_eq_u32_e64 s10, 0, v98
	s_delay_alu instid0(VALU_DEP_2) | instskip(SKIP_1) | instid1(VALU_DEP_2)
	v_dual_cndmask_b32 v97, 0, v97 :: v_dual_lshlrev_b32 v34, 3, v34
	v_cndmask_b32_e32 v96, 7, v96, vcc_lo
	v_and_b32_e32 v34, 0xf8, v34
	s_delay_alu instid0(VALU_DEP_2) | instskip(NEXT) | instid1(VALU_DEP_2)
	v_cmp_eq_u64_e32 vcc_lo, 0, v[96:97]
	v_and_or_b32 v34, v96, 7, v34
	s_and_b32 s10, s10, vcc_lo
	s_delay_alu instid0(VALU_DEP_1) | instid1(SALU_CYCLE_1)
	v_cndmask_b32_e64 v34, v34, 0, s10
	s_delay_alu instid0(VALU_DEP_1)
	v_or_b32_e32 v113, v34, v114
.LBB2_5210:                             ;   in Loop: Header=BB2_5162 Depth=2
	s_or_b32 exec_lo, exec_lo, s29
                                        ; implicit-def: $vgpr114
.LBB2_5211:                             ;   in Loop: Header=BB2_5162 Depth=2
	s_and_not1_saveexec_b32 s10, s28
; %bb.5212:                             ;   in Loop: Header=BB2_5162 Depth=2
	v_or_b32_e32 v113, 0x7e, v114
; %bb.5213:                             ;   in Loop: Header=BB2_5162 Depth=2
	s_or_b32 exec_lo, exec_lo, s10
                                        ; implicit-def: $vgpr97
.LBB2_5214:                             ;   in Loop: Header=BB2_5162 Depth=2
	s_and_not1_saveexec_b32 s10, s27
; %bb.5215:                             ;   in Loop: Header=BB2_5162 Depth=2
	v_or_b32_e32 v113, 0x7f, v97
; %bb.5216:                             ;   in Loop: Header=BB2_5162 Depth=2
	s_or_b32 exec_lo, exec_lo, s10
	v_dual_lshrrev_b32 v96, 16, v10 :: v_dual_mov_b32 v34, 0
	s_mov_b32 s10, exec_lo
	s_delay_alu instid0(VALU_DEP_1) | instskip(NEXT) | instid1(VALU_DEP_1)
	v_and_b32_e32 v97, 0xff, v96
	v_cmpx_ne_u16_e32 0, v97
	s_cbranch_execz .LBB2_5224
; %bb.5217:                             ;   in Loop: Header=BB2_5162 Depth=2
	v_bfrev_b32_e32 v34, 1
	s_mov_b32 s27, exec_lo
	v_cmpx_ne_u16_e32 0x80, v97
	s_cbranch_execz .LBB2_5223
; %bb.5218:                             ;   in Loop: Header=BB2_5162 Depth=2
	v_bfe_u32 v98, v10, 16, 7
	v_mov_b32_e32 v34, 0x7f800001
	s_mov_b32 s28, exec_lo
	s_delay_alu instid0(VALU_DEP_2)
	v_cmpx_ne_u32_e32 0x7f, v98
	s_cbranch_execz .LBB2_5222
; %bb.5219:                             ;   in Loop: Header=BB2_5162 Depth=2
	v_dual_lshrrev_b32 v97, 3, v98 :: v_dual_bitop2_b32 v34, 7, v96 bitop3:0x40
	s_mov_b32 s29, exec_lo
	v_cmpx_gt_u32_e32 8, v98
; %bb.5220:                             ;   in Loop: Header=BB2_5162 Depth=2
	s_delay_alu instid0(VALU_DEP_2) | instskip(NEXT) | instid1(VALU_DEP_1)
	v_clz_i32_u32_e32 v97, v34
	v_min_u32_e32 v97, 32, v97
	s_delay_alu instid0(VALU_DEP_1) | instskip(NEXT) | instid1(VALU_DEP_1)
	v_subrev_nc_u32_e32 v98, 28, v97
	v_lshlrev_b64_e32 v[98:99], v98, v[34:35]
	s_delay_alu instid0(VALU_DEP_1)
	v_dual_sub_nc_u32 v97, 29, v97 :: v_dual_bitop2_b32 v34, 7, v98 bitop3:0x40
; %bb.5221:                             ;   in Loop: Header=BB2_5162 Depth=2
	s_or_b32 exec_lo, exec_lo, s29
	s_delay_alu instid0(VALU_DEP_1) | instskip(NEXT) | instid1(VALU_DEP_2)
	v_dual_lshlrev_b32 v96, 24, v96 :: v_dual_lshlrev_b32 v34, 20, v34
	v_lshl_add_u32 v97, v97, 23, 0x3c000000
	s_delay_alu instid0(VALU_DEP_2) | instskip(NEXT) | instid1(VALU_DEP_1)
	v_and_b32_e32 v96, 0x80000000, v96
	v_or3_b32 v34, v34, v96, v97
.LBB2_5222:                             ;   in Loop: Header=BB2_5162 Depth=2
	s_or_b32 exec_lo, exec_lo, s28
.LBB2_5223:                             ;   in Loop: Header=BB2_5162 Depth=2
	s_delay_alu instid0(SALU_CYCLE_1)
	s_or_b32 exec_lo, exec_lo, s27
.LBB2_5224:                             ;   in Loop: Header=BB2_5162 Depth=2
	s_delay_alu instid0(SALU_CYCLE_1) | instskip(NEXT) | instid1(VALU_DEP_1)
	s_or_b32 exec_lo, exec_lo, s10
	v_mul_f32_e32 v96, s26, v34
                                        ; implicit-def: $vgpr114
	s_mov_b32 s10, exec_lo
	s_delay_alu instid0(VALU_DEP_1) | instskip(SKIP_1) | instid1(VALU_DEP_2)
	v_and_b32_e32 v34, 0x7f800000, v96
	v_lshrrev_b32_e32 v97, 24, v96
	v_cmpx_ne_u64_e32 0x7f800000, v[34:35]
	s_xor_b32 s27, exec_lo, s10
	s_cbranch_execz .LBB2_5238
; %bb.5225:                             ;   in Loop: Header=BB2_5162 Depth=2
	v_and_b32_e32 v34, 0x7fffffff, v96
	v_and_b32_e32 v115, 0x80, v97
                                        ; implicit-def: $vgpr114
	s_mov_b32 s10, exec_lo
	s_delay_alu instid0(VALU_DEP_2)
	v_cmpx_gt_u64_e32 0x43e00001, v[34:35]
	s_xor_b32 s28, exec_lo, s10
	s_cbranch_execz .LBB2_5235
; %bb.5226:                             ;   in Loop: Header=BB2_5162 Depth=2
	v_mov_b32_e32 v114, 0
	s_mov_b32 s29, exec_lo
	v_cmpx_ne_u32_e32 0, v96
	s_cbranch_execz .LBB2_5234
; %bb.5227:                             ;   in Loop: Header=BB2_5162 Depth=2
	v_bfe_u32 v114, v96, 23, 8
	s_delay_alu instid0(VALU_DEP_1) | instskip(SKIP_1) | instid1(VALU_DEP_2)
	v_sub_nc_u32_e32 v34, 0x79, v114
	v_cmp_gt_u32_e32 vcc_lo, 0x7a, v114
	v_cndmask_b32_e32 v34, 0, v34, vcc_lo
	v_cmp_eq_u32_e32 vcc_lo, 0, v114
	s_delay_alu instid0(VALU_DEP_2) | instskip(SKIP_1) | instid1(VALU_DEP_2)
	v_cndmask_b32_e64 v116, v34, 0x78, vcc_lo
	v_and_b32_e32 v34, 0x7fffff, v96
	v_add_nc_u32_e32 v96, 20, v116
	s_delay_alu instid0(VALU_DEP_2) | instskip(SKIP_1) | instid1(VALU_DEP_3)
	v_or_b32_e32 v98, 0x800000, v34
	v_add_nc_u32_e32 v99, 19, v116
	v_lshlrev_b64_e64 v[96:97], v96, -1
	s_delay_alu instid0(VALU_DEP_3) | instskip(NEXT) | instid1(VALU_DEP_3)
	v_cndmask_b32_e32 v34, v98, v34, vcc_lo
	v_lshlrev_b64_e64 v[98:99], v99, 1
	s_delay_alu instid0(VALU_DEP_3) | instskip(NEXT) | instid1(VALU_DEP_3)
	v_bfi_b32 v119, v97, 0, 0
	v_bfi_b32 v118, v96, 0, v34
	v_lshrrev_b64 v[96:97], v116, v[34:35]
	s_delay_alu instid0(VALU_DEP_2) | instskip(NEXT) | instid1(VALU_DEP_2)
	v_cmp_eq_u64_e64 s10, v[118:119], v[98:99]
	v_mov_b64_e32 v[98:99], v[96:97]
	s_and_saveexec_b32 s40, s10
; %bb.5228:                             ;   in Loop: Header=BB2_5162 Depth=2
	v_bfe_u32 v34, v96, 20, 1
	s_delay_alu instid0(VALU_DEP_1) | instskip(NEXT) | instid1(VALU_DEP_1)
	v_add_nc_u64_e32 v[98:99], v[96:97], v[34:35]
	v_add_nc_u64_e32 v[98:99], -1, v[98:99]
; %bb.5229:                             ;   in Loop: Header=BB2_5162 Depth=2
	s_or_b32 exec_lo, exec_lo, s40
	v_add_nc_u32_e32 v34, 0xffffff81, v114
	v_lshrrev_b32_e32 v97, 23, v96
	s_mov_b32 s10, exec_lo
	s_delay_alu instid0(VALU_DEP_2) | instskip(NEXT) | instid1(VALU_DEP_1)
	v_cndmask_b32_e64 v34, v34, 0xffffff82, vcc_lo
	v_add3_u32 v99, v116, v34, v97
	v_and_b32_e32 v34, 0xfffff, v98
                                        ; implicit-def: $vgpr98
	s_delay_alu instid0(VALU_DEP_1) | instskip(NEXT) | instid1(VALU_DEP_1)
	v_dual_add_nc_u32 v114, 6, v99 :: v_dual_add_nc_u32 v34, v34, v96
                                        ; implicit-def: $vgpr96_vgpr97
	v_cmpx_ne_u32_e32 0, v114
	s_xor_b32 s10, exec_lo, s10
; %bb.5230:                             ;   in Loop: Header=BB2_5162 Depth=2
	s_delay_alu instid0(VALU_DEP_2) | instskip(SKIP_1) | instid1(VALU_DEP_1)
	v_cmp_lt_u64_e32 vcc_lo, 0xffffff, v[34:35]
	v_add_nc_u32_e32 v96, 7, v99
	v_cndmask_b32_e32 v98, v114, v96, vcc_lo
	v_cndmask_b32_e64 v96, 0, 1, vcc_lo
	s_delay_alu instid0(VALU_DEP_1)
	v_lshrrev_b64 v[96:97], v96, v[34:35]
; %bb.5231:                             ;   in Loop: Header=BB2_5162 Depth=2
	s_and_not1_saveexec_b32 s10, s10
; %bb.5232:                             ;   in Loop: Header=BB2_5162 Depth=2
	v_mov_b64_e32 v[96:97], v[34:35]
	v_bfe_u32 v98, v34, 23, 1
; %bb.5233:                             ;   in Loop: Header=BB2_5162 Depth=2
	s_or_b32 exec_lo, exec_lo, s10
	s_delay_alu instid0(VALU_DEP_2) | instskip(NEXT) | instid1(VALU_DEP_2)
	v_lshrrev_b64 v[96:97], 20, v[96:97]
	v_cmp_gt_i32_e32 vcc_lo, 16, v98
	v_min_i32_e32 v34, 15, v98
	v_cmp_eq_u32_e64 s10, 0, v98
	s_delay_alu instid0(VALU_DEP_2) | instskip(SKIP_1) | instid1(VALU_DEP_2)
	v_dual_cndmask_b32 v97, 0, v97 :: v_dual_lshlrev_b32 v34, 3, v34
	v_cndmask_b32_e32 v96, 7, v96, vcc_lo
	v_and_b32_e32 v34, 0xf8, v34
	s_delay_alu instid0(VALU_DEP_2) | instskip(NEXT) | instid1(VALU_DEP_2)
	v_cmp_eq_u64_e32 vcc_lo, 0, v[96:97]
	v_and_or_b32 v34, v96, 7, v34
	s_and_b32 s10, s10, vcc_lo
	s_delay_alu instid0(VALU_DEP_1) | instid1(SALU_CYCLE_1)
	v_cndmask_b32_e64 v34, v34, 0, s10
	s_delay_alu instid0(VALU_DEP_1)
	v_or_b32_e32 v114, v34, v115
.LBB2_5234:                             ;   in Loop: Header=BB2_5162 Depth=2
	s_or_b32 exec_lo, exec_lo, s29
                                        ; implicit-def: $vgpr115
.LBB2_5235:                             ;   in Loop: Header=BB2_5162 Depth=2
	s_and_not1_saveexec_b32 s10, s28
; %bb.5236:                             ;   in Loop: Header=BB2_5162 Depth=2
	v_or_b32_e32 v114, 0x7e, v115
; %bb.5237:                             ;   in Loop: Header=BB2_5162 Depth=2
	s_or_b32 exec_lo, exec_lo, s10
                                        ; implicit-def: $vgpr97
.LBB2_5238:                             ;   in Loop: Header=BB2_5162 Depth=2
	s_and_not1_saveexec_b32 s10, s27
; %bb.5239:                             ;   in Loop: Header=BB2_5162 Depth=2
	v_or_b32_e32 v114, 0x7f, v97
; %bb.5240:                             ;   in Loop: Header=BB2_5162 Depth=2
	s_or_b32 exec_lo, exec_lo, s10
	v_mov_b32_e32 v34, 0
	s_mov_b32 s10, exec_lo
	v_cmpx_lt_u32_e32 0xffffff, v10
	s_cbranch_execz .LBB2_5248
; %bb.5241:                             ;   in Loop: Header=BB2_5162 Depth=2
	v_lshrrev_b32_e32 v96, 24, v10
	v_bfrev_b32_e32 v34, 1
	s_mov_b32 s27, exec_lo
	s_delay_alu instid0(VALU_DEP_2)
	v_cmpx_ne_u32_e32 0x80, v96
	s_cbranch_execz .LBB2_5247
; %bb.5242:                             ;   in Loop: Header=BB2_5162 Depth=2
	v_bfe_u32 v98, v10, 24, 7
	v_mov_b32_e32 v34, 0x7f800001
	s_mov_b32 s28, exec_lo
	s_delay_alu instid0(VALU_DEP_2)
	v_cmpx_ne_u32_e32 0x7f, v98
	s_cbranch_execz .LBB2_5246
; %bb.5243:                             ;   in Loop: Header=BB2_5162 Depth=2
	v_dual_lshrrev_b32 v97, 3, v98 :: v_dual_bitop2_b32 v34, 7, v96 bitop3:0x40
	s_mov_b32 s29, exec_lo
	v_cmpx_gt_u32_e32 8, v98
; %bb.5244:                             ;   in Loop: Header=BB2_5162 Depth=2
	s_delay_alu instid0(VALU_DEP_2) | instskip(NEXT) | instid1(VALU_DEP_1)
	v_clz_i32_u32_e32 v97, v34
	v_min_u32_e32 v97, 32, v97
	s_delay_alu instid0(VALU_DEP_1) | instskip(NEXT) | instid1(VALU_DEP_1)
	v_subrev_nc_u32_e32 v98, 28, v97
	v_lshlrev_b64_e32 v[98:99], v98, v[34:35]
	s_delay_alu instid0(VALU_DEP_1)
	v_dual_sub_nc_u32 v97, 29, v97 :: v_dual_bitop2_b32 v34, 7, v98 bitop3:0x40
; %bb.5245:                             ;   in Loop: Header=BB2_5162 Depth=2
	s_or_b32 exec_lo, exec_lo, s29
	s_delay_alu instid0(VALU_DEP_1) | instskip(NEXT) | instid1(VALU_DEP_2)
	v_dual_lshlrev_b32 v96, 24, v96 :: v_dual_lshlrev_b32 v34, 20, v34
	v_lshl_add_u32 v97, v97, 23, 0x3c000000
	s_delay_alu instid0(VALU_DEP_2) | instskip(NEXT) | instid1(VALU_DEP_1)
	v_and_b32_e32 v96, 0x80000000, v96
	v_or3_b32 v34, v34, v96, v97
.LBB2_5246:                             ;   in Loop: Header=BB2_5162 Depth=2
	s_or_b32 exec_lo, exec_lo, s28
.LBB2_5247:                             ;   in Loop: Header=BB2_5162 Depth=2
	s_delay_alu instid0(SALU_CYCLE_1)
	s_or_b32 exec_lo, exec_lo, s27
.LBB2_5248:                             ;   in Loop: Header=BB2_5162 Depth=2
	s_delay_alu instid0(SALU_CYCLE_1) | instskip(NEXT) | instid1(VALU_DEP_1)
	s_or_b32 exec_lo, exec_lo, s10
	v_mul_f32_e32 v96, s26, v34
                                        ; implicit-def: $vgpr115
	s_mov_b32 s10, exec_lo
	s_delay_alu instid0(VALU_DEP_1) | instskip(SKIP_1) | instid1(VALU_DEP_2)
	v_and_b32_e32 v34, 0x7f800000, v96
	v_lshrrev_b32_e32 v97, 24, v96
	v_cmpx_ne_u64_e32 0x7f800000, v[34:35]
	s_xor_b32 s27, exec_lo, s10
	s_cbranch_execz .LBB2_5262
; %bb.5249:                             ;   in Loop: Header=BB2_5162 Depth=2
	v_and_b32_e32 v34, 0x7fffffff, v96
	v_and_b32_e32 v116, 0x80, v97
                                        ; implicit-def: $vgpr115
	s_mov_b32 s10, exec_lo
	s_delay_alu instid0(VALU_DEP_2)
	v_cmpx_gt_u64_e32 0x43e00001, v[34:35]
	s_xor_b32 s28, exec_lo, s10
	s_cbranch_execz .LBB2_5259
; %bb.5250:                             ;   in Loop: Header=BB2_5162 Depth=2
	v_mov_b32_e32 v115, 0
	s_mov_b32 s29, exec_lo
	v_cmpx_ne_u32_e32 0, v96
	s_cbranch_execz .LBB2_5258
; %bb.5251:                             ;   in Loop: Header=BB2_5162 Depth=2
	v_bfe_u32 v115, v96, 23, 8
	s_delay_alu instid0(VALU_DEP_1) | instskip(SKIP_1) | instid1(VALU_DEP_2)
	v_sub_nc_u32_e32 v34, 0x79, v115
	v_cmp_gt_u32_e32 vcc_lo, 0x7a, v115
	v_cndmask_b32_e32 v34, 0, v34, vcc_lo
	v_cmp_eq_u32_e32 vcc_lo, 0, v115
	s_delay_alu instid0(VALU_DEP_2) | instskip(SKIP_1) | instid1(VALU_DEP_2)
	v_cndmask_b32_e64 v117, v34, 0x78, vcc_lo
	v_and_b32_e32 v34, 0x7fffff, v96
	v_add_nc_u32_e32 v96, 20, v117
	s_delay_alu instid0(VALU_DEP_2) | instskip(SKIP_1) | instid1(VALU_DEP_3)
	v_or_b32_e32 v98, 0x800000, v34
	v_add_nc_u32_e32 v99, 19, v117
	v_lshlrev_b64_e64 v[96:97], v96, -1
	s_delay_alu instid0(VALU_DEP_3) | instskip(NEXT) | instid1(VALU_DEP_3)
	v_cndmask_b32_e32 v34, v98, v34, vcc_lo
	v_lshlrev_b64_e64 v[98:99], v99, 1
	s_delay_alu instid0(VALU_DEP_3) | instskip(NEXT) | instid1(VALU_DEP_3)
	v_bfi_b32 v119, v97, 0, 0
	v_bfi_b32 v118, v96, 0, v34
	v_lshrrev_b64 v[96:97], v117, v[34:35]
	s_delay_alu instid0(VALU_DEP_2) | instskip(NEXT) | instid1(VALU_DEP_2)
	v_cmp_eq_u64_e64 s10, v[118:119], v[98:99]
	v_mov_b64_e32 v[98:99], v[96:97]
	s_and_saveexec_b32 s40, s10
; %bb.5252:                             ;   in Loop: Header=BB2_5162 Depth=2
	v_bfe_u32 v34, v96, 20, 1
	s_delay_alu instid0(VALU_DEP_1) | instskip(NEXT) | instid1(VALU_DEP_1)
	v_add_nc_u64_e32 v[98:99], v[96:97], v[34:35]
	v_add_nc_u64_e32 v[98:99], -1, v[98:99]
; %bb.5253:                             ;   in Loop: Header=BB2_5162 Depth=2
	s_or_b32 exec_lo, exec_lo, s40
	v_add_nc_u32_e32 v34, 0xffffff81, v115
	v_lshrrev_b32_e32 v97, 23, v96
	s_mov_b32 s10, exec_lo
	s_delay_alu instid0(VALU_DEP_2) | instskip(NEXT) | instid1(VALU_DEP_1)
	v_cndmask_b32_e64 v34, v34, 0xffffff82, vcc_lo
	v_add3_u32 v99, v117, v34, v97
	v_and_b32_e32 v34, 0xfffff, v98
                                        ; implicit-def: $vgpr98
	s_delay_alu instid0(VALU_DEP_1) | instskip(NEXT) | instid1(VALU_DEP_1)
	v_dual_add_nc_u32 v115, 6, v99 :: v_dual_add_nc_u32 v34, v34, v96
                                        ; implicit-def: $vgpr96_vgpr97
	v_cmpx_ne_u32_e32 0, v115
	s_xor_b32 s10, exec_lo, s10
; %bb.5254:                             ;   in Loop: Header=BB2_5162 Depth=2
	s_delay_alu instid0(VALU_DEP_2) | instskip(SKIP_1) | instid1(VALU_DEP_1)
	v_cmp_lt_u64_e32 vcc_lo, 0xffffff, v[34:35]
	v_add_nc_u32_e32 v96, 7, v99
	v_cndmask_b32_e32 v98, v115, v96, vcc_lo
	v_cndmask_b32_e64 v96, 0, 1, vcc_lo
	s_delay_alu instid0(VALU_DEP_1)
	v_lshrrev_b64 v[96:97], v96, v[34:35]
; %bb.5255:                             ;   in Loop: Header=BB2_5162 Depth=2
	s_and_not1_saveexec_b32 s10, s10
; %bb.5256:                             ;   in Loop: Header=BB2_5162 Depth=2
	v_mov_b64_e32 v[96:97], v[34:35]
	v_bfe_u32 v98, v34, 23, 1
; %bb.5257:                             ;   in Loop: Header=BB2_5162 Depth=2
	s_or_b32 exec_lo, exec_lo, s10
	s_delay_alu instid0(VALU_DEP_2) | instskip(NEXT) | instid1(VALU_DEP_2)
	v_lshrrev_b64 v[96:97], 20, v[96:97]
	v_cmp_gt_i32_e32 vcc_lo, 16, v98
	v_min_i32_e32 v34, 15, v98
	v_cmp_eq_u32_e64 s10, 0, v98
	s_delay_alu instid0(VALU_DEP_2) | instskip(SKIP_1) | instid1(VALU_DEP_2)
	v_dual_cndmask_b32 v97, 0, v97 :: v_dual_lshlrev_b32 v34, 3, v34
	v_cndmask_b32_e32 v96, 7, v96, vcc_lo
	v_and_b32_e32 v34, 0xf8, v34
	s_delay_alu instid0(VALU_DEP_2) | instskip(NEXT) | instid1(VALU_DEP_2)
	v_cmp_eq_u64_e32 vcc_lo, 0, v[96:97]
	v_and_or_b32 v34, v96, 7, v34
	s_and_b32 s10, s10, vcc_lo
	s_delay_alu instid0(VALU_DEP_1) | instid1(SALU_CYCLE_1)
	v_cndmask_b32_e64 v34, v34, 0, s10
	s_delay_alu instid0(VALU_DEP_1)
	v_or_b32_e32 v115, v34, v116
.LBB2_5258:                             ;   in Loop: Header=BB2_5162 Depth=2
	s_or_b32 exec_lo, exec_lo, s29
                                        ; implicit-def: $vgpr116
.LBB2_5259:                             ;   in Loop: Header=BB2_5162 Depth=2
	s_and_not1_saveexec_b32 s10, s28
; %bb.5260:                             ;   in Loop: Header=BB2_5162 Depth=2
	v_or_b32_e32 v115, 0x7e, v116
; %bb.5261:                             ;   in Loop: Header=BB2_5162 Depth=2
	s_or_b32 exec_lo, exec_lo, s10
                                        ; implicit-def: $vgpr97
.LBB2_5262:                             ;   in Loop: Header=BB2_5162 Depth=2
	s_and_not1_saveexec_b32 s10, s27
; %bb.5263:                             ;   in Loop: Header=BB2_5162 Depth=2
	v_or_b32_e32 v115, 0x7f, v97
; %bb.5264:                             ;   in Loop: Header=BB2_5162 Depth=2
	s_or_b32 exec_lo, exec_lo, s10
	v_and_b32_e32 v97, 0xff, v11
	v_dual_mov_b32 v34, v11 :: v_dual_mov_b32 v96, 0
	s_mov_b32 s10, exec_lo
	s_delay_alu instid0(VALU_DEP_2)
	v_cmpx_ne_u16_e32 0, v97
	s_cbranch_execz .LBB2_5270
; %bb.5265:                             ;   in Loop: Header=BB2_5162 Depth=2
	v_bfrev_b32_e32 v96, 1
	s_mov_b32 s27, exec_lo
	v_cmpx_ne_u16_e32 0x80, v97
	s_cbranch_execz .LBB2_5269
; %bb.5266:                             ;   in Loop: Header=BB2_5162 Depth=2
	v_and_b32_e32 v97, 0x7f, v11
	v_mov_b32_e32 v96, 0x7f800001
	s_mov_b32 s28, exec_lo
	s_delay_alu instid0(VALU_DEP_2)
	v_cmpx_ne_u32_e32 0x7f, v97
	s_cbranch_execz .LBB2_5268
; %bb.5267:                             ;   in Loop: Header=BB2_5162 Depth=2
	v_dual_lshrrev_b32 v98, 3, v97 :: v_dual_bitop2_b32 v96, 7, v11 bitop3:0x40
	v_cmp_gt_u32_e32 vcc_lo, 8, v97
	s_delay_alu instid0(VALU_DEP_2) | instskip(NEXT) | instid1(VALU_DEP_1)
	v_clz_i32_u32_e32 v96, v96
	v_min_u32_e32 v96, 32, v96
	s_delay_alu instid0(VALU_DEP_1) | instskip(SKIP_1) | instid1(VALU_DEP_1)
	v_subrev_nc_u32_e32 v99, 28, v96
	v_sub_nc_u32_e32 v96, 29, v96
	v_dual_cndmask_b32 v98, v98, v96, vcc_lo :: v_dual_cndmask_b32 v96, 0, v99, vcc_lo
	s_delay_alu instid0(VALU_DEP_1) | instskip(NEXT) | instid1(VALU_DEP_2)
	v_lshl_add_u32 v98, v98, 23, 0x3c000000
	v_lshlrev_b64_e32 v[96:97], v96, v[34:35]
	v_lshlrev_b32_e32 v97, 24, v34
	s_delay_alu instid0(VALU_DEP_1) | instskip(NEXT) | instid1(VALU_DEP_3)
	v_and_b32_e32 v97, 0x80000000, v97
	v_lshlrev_b32_e32 v96, 20, v96
	s_delay_alu instid0(VALU_DEP_1) | instskip(NEXT) | instid1(VALU_DEP_1)
	v_and_b32_e32 v96, 0x700000, v96
	v_or3_b32 v96, v96, v97, v98
.LBB2_5268:                             ;   in Loop: Header=BB2_5162 Depth=2
	s_or_b32 exec_lo, exec_lo, s28
.LBB2_5269:                             ;   in Loop: Header=BB2_5162 Depth=2
	s_delay_alu instid0(SALU_CYCLE_1)
	s_or_b32 exec_lo, exec_lo, s27
.LBB2_5270:                             ;   in Loop: Header=BB2_5162 Depth=2
	s_delay_alu instid0(SALU_CYCLE_1) | instskip(NEXT) | instid1(VALU_DEP_1)
	s_or_b32 exec_lo, exec_lo, s10
	v_dual_mul_f32 v96, s26, v96 :: v_dual_mov_b32 v99, v35
                                        ; implicit-def: $vgpr116
	s_mov_b32 s10, exec_lo
	s_delay_alu instid0(VALU_DEP_1) | instskip(SKIP_1) | instid1(VALU_DEP_2)
	v_and_b32_e32 v98, 0x7f800000, v96
	v_lshrrev_b32_e32 v97, 24, v96
	v_cmpx_ne_u64_e32 0x7f800000, v[98:99]
	s_xor_b32 s27, exec_lo, s10
	s_cbranch_execz .LBB2_5284
; %bb.5271:                             ;   in Loop: Header=BB2_5162 Depth=2
	v_and_b32_e32 v98, 0x7fffffff, v96
	v_mov_b32_e32 v99, v35
	v_and_b32_e32 v117, 0x80, v97
                                        ; implicit-def: $vgpr116
	s_mov_b32 s10, exec_lo
	s_delay_alu instid0(VALU_DEP_2)
	v_cmpx_gt_u64_e32 0x43e00001, v[98:99]
	s_xor_b32 s28, exec_lo, s10
	s_cbranch_execz .LBB2_5281
; %bb.5272:                             ;   in Loop: Header=BB2_5162 Depth=2
	v_mov_b32_e32 v116, 0
	s_mov_b32 s29, exec_lo
	v_cmpx_ne_u32_e32 0, v96
	s_cbranch_execz .LBB2_5280
; %bb.5273:                             ;   in Loop: Header=BB2_5162 Depth=2
	v_bfe_u32 v116, v96, 23, 8
	v_and_b32_e32 v98, 0x7fffff, v96
	s_mov_b32 s40, exec_lo
	s_delay_alu instid0(VALU_DEP_2) | instskip(NEXT) | instid1(VALU_DEP_2)
	v_cmp_gt_u32_e32 vcc_lo, 0x7a, v116
	v_or_b32_e32 v99, 0x800000, v98
	v_sub_nc_u32_e32 v97, 0x79, v116
	s_delay_alu instid0(VALU_DEP_1) | instskip(SKIP_1) | instid1(VALU_DEP_2)
	v_cndmask_b32_e32 v97, 0, v97, vcc_lo
	v_cmp_eq_u32_e32 vcc_lo, 0, v116
	v_cndmask_b32_e64 v118, v97, 0x78, vcc_lo
	v_cndmask_b32_e32 v98, v99, v98, vcc_lo
	s_delay_alu instid0(VALU_DEP_2) | instskip(SKIP_1) | instid1(VALU_DEP_2)
	v_dual_mov_b32 v99, v35 :: v_dual_add_nc_u32 v119, 19, v118
	v_add_nc_u32_e32 v96, 20, v118
	v_lshlrev_b64_e64 v[40:41], v119, 1
	s_delay_alu instid0(VALU_DEP_2) | instskip(NEXT) | instid1(VALU_DEP_1)
	v_lshlrev_b64_e64 v[96:97], v96, -1
	v_bfi_b32 v43, v97, 0, 0
	s_delay_alu instid0(VALU_DEP_2) | instskip(SKIP_1) | instid1(VALU_DEP_1)
	v_bfi_b32 v42, v96, 0, v98
	v_lshrrev_b64 v[96:97], v118, v[98:99]
	v_mov_b64_e32 v[98:99], v[96:97]
	s_delay_alu instid0(VALU_DEP_3)
	v_cmpx_eq_u64_e64 v[42:43], v[40:41]
; %bb.5274:                             ;   in Loop: Header=BB2_5162 Depth=2
	v_bfe_u32 v98, v96, 20, 1
	v_mov_b32_e32 v99, v35
	s_delay_alu instid0(VALU_DEP_1) | instskip(NEXT) | instid1(VALU_DEP_1)
	v_add_nc_u64_e32 v[98:99], v[96:97], v[98:99]
	v_add_nc_u64_e32 v[98:99], -1, v[98:99]
; %bb.5275:                             ;   in Loop: Header=BB2_5162 Depth=2
	s_or_b32 exec_lo, exec_lo, s40
	v_add_nc_u32_e32 v97, 0xffffff81, v116
	v_lshrrev_b32_e32 v99, 23, v96
	s_mov_b32 s10, exec_lo
	s_delay_alu instid0(VALU_DEP_2) | instskip(NEXT) | instid1(VALU_DEP_1)
	v_cndmask_b32_e64 v97, v97, 0xffffff82, vcc_lo
	v_add3_u32 v99, v118, v97, v99
	v_and_b32_e32 v97, 0xfffff, v98
                                        ; implicit-def: $vgpr98
	s_delay_alu instid0(VALU_DEP_1) | instskip(SKIP_1) | instid1(VALU_DEP_2)
	v_dual_add_nc_u32 v116, 6, v99 :: v_dual_add_nc_u32 v96, v97, v96
	v_mov_b32_e32 v97, v35
	v_cmpx_ne_u32_e32 0, v116
	s_xor_b32 s10, exec_lo, s10
; %bb.5276:                             ;   in Loop: Header=BB2_5162 Depth=2
	s_delay_alu instid0(VALU_DEP_2) | instskip(SKIP_2) | instid1(VALU_DEP_2)
	v_cmp_lt_u64_e32 vcc_lo, 0xffffff, v[96:97]
	v_add_nc_u32_e32 v98, 7, v99
	v_cndmask_b32_e64 v99, 0, 1, vcc_lo
	v_cndmask_b32_e32 v98, v116, v98, vcc_lo
	s_delay_alu instid0(VALU_DEP_2)
	v_lshrrev_b64 v[96:97], v99, v[96:97]
; %bb.5277:                             ;   in Loop: Header=BB2_5162 Depth=2
	s_and_not1_saveexec_b32 s10, s10
; %bb.5278:                             ;   in Loop: Header=BB2_5162 Depth=2
	s_delay_alu instid0(VALU_DEP_1)
	v_bfe_u32 v98, v96, 23, 1
; %bb.5279:                             ;   in Loop: Header=BB2_5162 Depth=2
	s_or_b32 exec_lo, exec_lo, s10
	s_delay_alu instid0(VALU_DEP_2) | instskip(NEXT) | instid1(VALU_DEP_2)
	v_lshrrev_b64 v[96:97], 20, v[96:97]
	v_cmp_gt_i32_e32 vcc_lo, 16, v98
	v_min_i32_e32 v99, 15, v98
	v_cmp_eq_u32_e64 s10, 0, v98
	s_delay_alu instid0(VALU_DEP_2) | instskip(SKIP_1) | instid1(VALU_DEP_2)
	v_dual_cndmask_b32 v97, 0, v97, vcc_lo :: v_dual_lshlrev_b32 v99, 3, v99
	v_cndmask_b32_e32 v96, 7, v96, vcc_lo
	v_and_b32_e32 v99, 0xf8, v99
	s_delay_alu instid0(VALU_DEP_2) | instskip(NEXT) | instid1(VALU_DEP_2)
	v_cmp_eq_u64_e32 vcc_lo, 0, v[96:97]
	v_and_or_b32 v96, v96, 7, v99
	s_and_b32 s10, s10, vcc_lo
	s_delay_alu instid0(VALU_DEP_1) | instid1(SALU_CYCLE_1)
	v_cndmask_b32_e64 v96, v96, 0, s10
	s_delay_alu instid0(VALU_DEP_1)
	v_or_b32_e32 v116, v96, v117
.LBB2_5280:                             ;   in Loop: Header=BB2_5162 Depth=2
	s_or_b32 exec_lo, exec_lo, s29
                                        ; implicit-def: $vgpr117
.LBB2_5281:                             ;   in Loop: Header=BB2_5162 Depth=2
	s_and_not1_saveexec_b32 s10, s28
; %bb.5282:                             ;   in Loop: Header=BB2_5162 Depth=2
	v_or_b32_e32 v116, 0x7e, v117
; %bb.5283:                             ;   in Loop: Header=BB2_5162 Depth=2
	s_or_b32 exec_lo, exec_lo, s10
                                        ; implicit-def: $vgpr97
.LBB2_5284:                             ;   in Loop: Header=BB2_5162 Depth=2
	s_and_not1_saveexec_b32 s10, s27
; %bb.5285:                             ;   in Loop: Header=BB2_5162 Depth=2
	v_or_b32_e32 v116, 0x7f, v97
; %bb.5286:                             ;   in Loop: Header=BB2_5162 Depth=2
	s_or_b32 exec_lo, exec_lo, s10
	v_lshrrev_b16 v97, 8, v34
	v_mov_b32_e32 v96, 0
	s_mov_b32 s10, exec_lo
	s_delay_alu instid0(VALU_DEP_2)
	v_cmpx_ne_u16_e32 0, v97
	s_cbranch_execz .LBB2_5294
; %bb.5287:                             ;   in Loop: Header=BB2_5162 Depth=2
	v_bfrev_b32_e32 v96, 1
	s_mov_b32 s27, exec_lo
	v_cmpx_ne_u16_e32 0x80, v97
	s_cbranch_execz .LBB2_5293
; %bb.5288:                             ;   in Loop: Header=BB2_5162 Depth=2
	v_and_b32_e32 v97, 0xffff, v97
	v_mov_b32_e32 v96, 0x7f800001
	s_mov_b32 s28, exec_lo
	s_delay_alu instid0(VALU_DEP_2) | instskip(NEXT) | instid1(VALU_DEP_1)
	v_and_b32_e32 v99, 0x7f, v97
	v_cmpx_ne_u32_e32 0x7f, v99
	s_cbranch_execz .LBB2_5292
; %bb.5289:                             ;   in Loop: Header=BB2_5162 Depth=2
	v_dual_mov_b32 v97, v35 :: v_dual_bitop2_b32 v96, 7, v97 bitop3:0x40
	v_lshrrev_b32_e32 v98, 3, v99
	s_mov_b32 s29, exec_lo
	v_cmpx_gt_u32_e32 8, v99
; %bb.5290:                             ;   in Loop: Header=BB2_5162 Depth=2
	s_delay_alu instid0(VALU_DEP_3) | instskip(NEXT) | instid1(VALU_DEP_1)
	v_clz_i32_u32_e32 v98, v96
	v_min_u32_e32 v98, 32, v98
	s_delay_alu instid0(VALU_DEP_1) | instskip(NEXT) | instid1(VALU_DEP_1)
	v_subrev_nc_u32_e32 v99, 28, v98
	v_lshlrev_b64_e32 v[96:97], v99, v[96:97]
	s_delay_alu instid0(VALU_DEP_1)
	v_dual_sub_nc_u32 v98, 29, v98 :: v_dual_bitop2_b32 v96, 7, v96 bitop3:0x40
; %bb.5291:                             ;   in Loop: Header=BB2_5162 Depth=2
	s_or_b32 exec_lo, exec_lo, s29
	s_delay_alu instid0(VALU_DEP_1) | instskip(NEXT) | instid1(VALU_DEP_2)
	v_dual_lshlrev_b32 v34, 16, v34 :: v_dual_lshlrev_b32 v96, 20, v96
	v_lshl_add_u32 v97, v98, 23, 0x3c000000
	s_delay_alu instid0(VALU_DEP_2) | instskip(NEXT) | instid1(VALU_DEP_1)
	v_and_b32_e32 v34, 0x80000000, v34
	v_or3_b32 v96, v96, v34, v97
.LBB2_5292:                             ;   in Loop: Header=BB2_5162 Depth=2
	s_or_b32 exec_lo, exec_lo, s28
.LBB2_5293:                             ;   in Loop: Header=BB2_5162 Depth=2
	s_delay_alu instid0(SALU_CYCLE_1)
	s_or_b32 exec_lo, exec_lo, s27
.LBB2_5294:                             ;   in Loop: Header=BB2_5162 Depth=2
	s_delay_alu instid0(SALU_CYCLE_1) | instskip(NEXT) | instid1(VALU_DEP_1)
	s_or_b32 exec_lo, exec_lo, s10
	v_mul_f32_e32 v96, s26, v96
                                        ; implicit-def: $vgpr117
	s_mov_b32 s10, exec_lo
	s_delay_alu instid0(VALU_DEP_1) | instskip(SKIP_1) | instid1(VALU_DEP_2)
	v_and_b32_e32 v34, 0x7f800000, v96
	v_lshrrev_b32_e32 v97, 24, v96
	v_cmpx_ne_u64_e32 0x7f800000, v[34:35]
	s_xor_b32 s27, exec_lo, s10
	s_cbranch_execz .LBB2_5308
; %bb.5295:                             ;   in Loop: Header=BB2_5162 Depth=2
	v_and_b32_e32 v34, 0x7fffffff, v96
	v_and_b32_e32 v118, 0x80, v97
                                        ; implicit-def: $vgpr117
	s_mov_b32 s10, exec_lo
	s_delay_alu instid0(VALU_DEP_2)
	v_cmpx_gt_u64_e32 0x43e00001, v[34:35]
	s_xor_b32 s28, exec_lo, s10
	s_cbranch_execz .LBB2_5305
; %bb.5296:                             ;   in Loop: Header=BB2_5162 Depth=2
	v_mov_b32_e32 v117, 0
	s_mov_b32 s29, exec_lo
	v_cmpx_ne_u32_e32 0, v96
	s_cbranch_execz .LBB2_5304
; %bb.5297:                             ;   in Loop: Header=BB2_5162 Depth=2
	v_bfe_u32 v117, v96, 23, 8
	s_delay_alu instid0(VALU_DEP_1) | instskip(SKIP_1) | instid1(VALU_DEP_2)
	v_sub_nc_u32_e32 v34, 0x79, v117
	v_cmp_gt_u32_e32 vcc_lo, 0x7a, v117
	v_cndmask_b32_e32 v34, 0, v34, vcc_lo
	v_cmp_eq_u32_e32 vcc_lo, 0, v117
	s_delay_alu instid0(VALU_DEP_2) | instskip(SKIP_1) | instid1(VALU_DEP_2)
	v_cndmask_b32_e64 v119, v34, 0x78, vcc_lo
	v_and_b32_e32 v34, 0x7fffff, v96
	v_add_nc_u32_e32 v96, 20, v119
	s_delay_alu instid0(VALU_DEP_2) | instskip(SKIP_1) | instid1(VALU_DEP_3)
	v_or_b32_e32 v98, 0x800000, v34
	v_add_nc_u32_e32 v99, 19, v119
	v_lshlrev_b64_e64 v[96:97], v96, -1
	s_delay_alu instid0(VALU_DEP_3) | instskip(NEXT) | instid1(VALU_DEP_3)
	v_cndmask_b32_e32 v34, v98, v34, vcc_lo
	v_lshlrev_b64_e64 v[98:99], v99, 1
	s_delay_alu instid0(VALU_DEP_3) | instskip(NEXT) | instid1(VALU_DEP_3)
	v_bfi_b32 v41, v97, 0, 0
	v_bfi_b32 v40, v96, 0, v34
	v_lshrrev_b64 v[96:97], v119, v[34:35]
	s_delay_alu instid0(VALU_DEP_2) | instskip(NEXT) | instid1(VALU_DEP_2)
	v_cmp_eq_u64_e64 s10, v[40:41], v[98:99]
	v_mov_b64_e32 v[98:99], v[96:97]
	s_and_saveexec_b32 s40, s10
; %bb.5298:                             ;   in Loop: Header=BB2_5162 Depth=2
	v_bfe_u32 v34, v96, 20, 1
	s_delay_alu instid0(VALU_DEP_1) | instskip(NEXT) | instid1(VALU_DEP_1)
	v_add_nc_u64_e32 v[98:99], v[96:97], v[34:35]
	v_add_nc_u64_e32 v[98:99], -1, v[98:99]
; %bb.5299:                             ;   in Loop: Header=BB2_5162 Depth=2
	s_or_b32 exec_lo, exec_lo, s40
	v_add_nc_u32_e32 v34, 0xffffff81, v117
	v_lshrrev_b32_e32 v97, 23, v96
	s_mov_b32 s10, exec_lo
	s_delay_alu instid0(VALU_DEP_2) | instskip(NEXT) | instid1(VALU_DEP_1)
	v_cndmask_b32_e64 v34, v34, 0xffffff82, vcc_lo
	v_add3_u32 v99, v119, v34, v97
	v_and_b32_e32 v34, 0xfffff, v98
                                        ; implicit-def: $vgpr98
	s_delay_alu instid0(VALU_DEP_1) | instskip(NEXT) | instid1(VALU_DEP_1)
	v_dual_add_nc_u32 v117, 6, v99 :: v_dual_add_nc_u32 v34, v34, v96
                                        ; implicit-def: $vgpr96_vgpr97
	v_cmpx_ne_u32_e32 0, v117
	s_xor_b32 s10, exec_lo, s10
; %bb.5300:                             ;   in Loop: Header=BB2_5162 Depth=2
	s_delay_alu instid0(VALU_DEP_2) | instskip(SKIP_1) | instid1(VALU_DEP_1)
	v_cmp_lt_u64_e32 vcc_lo, 0xffffff, v[34:35]
	v_add_nc_u32_e32 v96, 7, v99
	v_cndmask_b32_e32 v98, v117, v96, vcc_lo
	v_cndmask_b32_e64 v96, 0, 1, vcc_lo
	s_delay_alu instid0(VALU_DEP_1)
	v_lshrrev_b64 v[96:97], v96, v[34:35]
; %bb.5301:                             ;   in Loop: Header=BB2_5162 Depth=2
	s_and_not1_saveexec_b32 s10, s10
; %bb.5302:                             ;   in Loop: Header=BB2_5162 Depth=2
	v_mov_b64_e32 v[96:97], v[34:35]
	v_bfe_u32 v98, v34, 23, 1
; %bb.5303:                             ;   in Loop: Header=BB2_5162 Depth=2
	s_or_b32 exec_lo, exec_lo, s10
	s_delay_alu instid0(VALU_DEP_2) | instskip(NEXT) | instid1(VALU_DEP_2)
	v_lshrrev_b64 v[96:97], 20, v[96:97]
	v_cmp_gt_i32_e32 vcc_lo, 16, v98
	v_min_i32_e32 v34, 15, v98
	v_cmp_eq_u32_e64 s10, 0, v98
	s_delay_alu instid0(VALU_DEP_2) | instskip(SKIP_1) | instid1(VALU_DEP_2)
	v_dual_cndmask_b32 v97, 0, v97 :: v_dual_lshlrev_b32 v34, 3, v34
	v_cndmask_b32_e32 v96, 7, v96, vcc_lo
	v_and_b32_e32 v34, 0xf8, v34
	s_delay_alu instid0(VALU_DEP_2) | instskip(NEXT) | instid1(VALU_DEP_2)
	v_cmp_eq_u64_e32 vcc_lo, 0, v[96:97]
	v_and_or_b32 v34, v96, 7, v34
	s_and_b32 s10, s10, vcc_lo
	s_delay_alu instid0(VALU_DEP_1) | instid1(SALU_CYCLE_1)
	v_cndmask_b32_e64 v34, v34, 0, s10
	s_delay_alu instid0(VALU_DEP_1)
	v_or_b32_e32 v117, v34, v118
.LBB2_5304:                             ;   in Loop: Header=BB2_5162 Depth=2
	s_or_b32 exec_lo, exec_lo, s29
                                        ; implicit-def: $vgpr118
.LBB2_5305:                             ;   in Loop: Header=BB2_5162 Depth=2
	s_and_not1_saveexec_b32 s10, s28
; %bb.5306:                             ;   in Loop: Header=BB2_5162 Depth=2
	v_or_b32_e32 v117, 0x7e, v118
; %bb.5307:                             ;   in Loop: Header=BB2_5162 Depth=2
	s_or_b32 exec_lo, exec_lo, s10
                                        ; implicit-def: $vgpr97
.LBB2_5308:                             ;   in Loop: Header=BB2_5162 Depth=2
	s_and_not1_saveexec_b32 s10, s27
; %bb.5309:                             ;   in Loop: Header=BB2_5162 Depth=2
	v_or_b32_e32 v117, 0x7f, v97
; %bb.5310:                             ;   in Loop: Header=BB2_5162 Depth=2
	s_or_b32 exec_lo, exec_lo, s10
	v_dual_lshrrev_b32 v96, 16, v11 :: v_dual_mov_b32 v34, 0
	s_mov_b32 s10, exec_lo
	s_delay_alu instid0(VALU_DEP_1) | instskip(NEXT) | instid1(VALU_DEP_1)
	v_and_b32_e32 v97, 0xff, v96
	v_cmpx_ne_u16_e32 0, v97
	s_cbranch_execz .LBB2_5318
; %bb.5311:                             ;   in Loop: Header=BB2_5162 Depth=2
	v_bfrev_b32_e32 v34, 1
	s_mov_b32 s27, exec_lo
	v_cmpx_ne_u16_e32 0x80, v97
	s_cbranch_execz .LBB2_5317
; %bb.5312:                             ;   in Loop: Header=BB2_5162 Depth=2
	v_bfe_u32 v98, v11, 16, 7
	v_mov_b32_e32 v34, 0x7f800001
	s_mov_b32 s28, exec_lo
	s_delay_alu instid0(VALU_DEP_2)
	v_cmpx_ne_u32_e32 0x7f, v98
	s_cbranch_execz .LBB2_5316
; %bb.5313:                             ;   in Loop: Header=BB2_5162 Depth=2
	v_dual_lshrrev_b32 v97, 3, v98 :: v_dual_bitop2_b32 v34, 7, v96 bitop3:0x40
	s_mov_b32 s29, exec_lo
	v_cmpx_gt_u32_e32 8, v98
; %bb.5314:                             ;   in Loop: Header=BB2_5162 Depth=2
	s_delay_alu instid0(VALU_DEP_2) | instskip(NEXT) | instid1(VALU_DEP_1)
	v_clz_i32_u32_e32 v97, v34
	v_min_u32_e32 v97, 32, v97
	s_delay_alu instid0(VALU_DEP_1) | instskip(NEXT) | instid1(VALU_DEP_1)
	v_subrev_nc_u32_e32 v98, 28, v97
	v_lshlrev_b64_e32 v[98:99], v98, v[34:35]
	s_delay_alu instid0(VALU_DEP_1)
	v_dual_sub_nc_u32 v97, 29, v97 :: v_dual_bitop2_b32 v34, 7, v98 bitop3:0x40
; %bb.5315:                             ;   in Loop: Header=BB2_5162 Depth=2
	s_or_b32 exec_lo, exec_lo, s29
	s_delay_alu instid0(VALU_DEP_1) | instskip(NEXT) | instid1(VALU_DEP_2)
	v_dual_lshlrev_b32 v96, 24, v96 :: v_dual_lshlrev_b32 v34, 20, v34
	v_lshl_add_u32 v97, v97, 23, 0x3c000000
	s_delay_alu instid0(VALU_DEP_2) | instskip(NEXT) | instid1(VALU_DEP_1)
	v_and_b32_e32 v96, 0x80000000, v96
	v_or3_b32 v34, v34, v96, v97
.LBB2_5316:                             ;   in Loop: Header=BB2_5162 Depth=2
	s_or_b32 exec_lo, exec_lo, s28
.LBB2_5317:                             ;   in Loop: Header=BB2_5162 Depth=2
	s_delay_alu instid0(SALU_CYCLE_1)
	s_or_b32 exec_lo, exec_lo, s27
.LBB2_5318:                             ;   in Loop: Header=BB2_5162 Depth=2
	s_delay_alu instid0(SALU_CYCLE_1) | instskip(NEXT) | instid1(VALU_DEP_1)
	s_or_b32 exec_lo, exec_lo, s10
	v_mul_f32_e32 v96, s26, v34
                                        ; implicit-def: $vgpr98
	s_mov_b32 s10, exec_lo
	s_delay_alu instid0(VALU_DEP_1) | instskip(SKIP_1) | instid1(VALU_DEP_2)
	v_and_b32_e32 v34, 0x7f800000, v96
	v_lshrrev_b32_e32 v97, 24, v96
	v_cmpx_ne_u64_e32 0x7f800000, v[34:35]
	s_xor_b32 s27, exec_lo, s10
	s_cbranch_execz .LBB2_5332
; %bb.5319:                             ;   in Loop: Header=BB2_5162 Depth=2
	v_and_b32_e32 v34, 0x7fffffff, v96
	v_and_b32_e32 v118, 0x80, v97
                                        ; implicit-def: $vgpr98
	s_mov_b32 s10, exec_lo
	s_delay_alu instid0(VALU_DEP_2)
	v_cmpx_gt_u64_e32 0x43e00001, v[34:35]
	s_xor_b32 s28, exec_lo, s10
	s_cbranch_execz .LBB2_5329
; %bb.5320:                             ;   in Loop: Header=BB2_5162 Depth=2
	v_mov_b32_e32 v98, 0
	s_mov_b32 s29, exec_lo
	v_cmpx_ne_u32_e32 0, v96
	s_cbranch_execz .LBB2_5328
; %bb.5321:                             ;   in Loop: Header=BB2_5162 Depth=2
	v_bfe_u32 v119, v96, 23, 8
	s_delay_alu instid0(VALU_DEP_1) | instskip(SKIP_1) | instid1(VALU_DEP_2)
	v_sub_nc_u32_e32 v34, 0x79, v119
	v_cmp_gt_u32_e32 vcc_lo, 0x7a, v119
	v_cndmask_b32_e32 v34, 0, v34, vcc_lo
	v_cmp_eq_u32_e32 vcc_lo, 0, v119
	s_delay_alu instid0(VALU_DEP_2) | instskip(SKIP_1) | instid1(VALU_DEP_2)
	v_cndmask_b32_e64 v40, v34, 0x78, vcc_lo
	v_and_b32_e32 v34, 0x7fffff, v96
	v_add_nc_u32_e32 v96, 20, v40
	s_delay_alu instid0(VALU_DEP_2) | instskip(SKIP_1) | instid1(VALU_DEP_3)
	v_or_b32_e32 v98, 0x800000, v34
	v_add_nc_u32_e32 v99, 19, v40
	v_lshlrev_b64_e64 v[96:97], v96, -1
	s_delay_alu instid0(VALU_DEP_3) | instskip(NEXT) | instid1(VALU_DEP_3)
	v_cndmask_b32_e32 v34, v98, v34, vcc_lo
	v_lshlrev_b64_e64 v[98:99], v99, 1
	s_delay_alu instid0(VALU_DEP_3) | instskip(NEXT) | instid1(VALU_DEP_3)
	v_bfi_b32 v43, v97, 0, 0
	v_bfi_b32 v42, v96, 0, v34
	v_lshrrev_b64 v[96:97], v40, v[34:35]
	s_delay_alu instid0(VALU_DEP_2) | instskip(NEXT) | instid1(VALU_DEP_2)
	v_cmp_eq_u64_e64 s10, v[42:43], v[98:99]
	v_mov_b64_e32 v[98:99], v[96:97]
	s_and_saveexec_b32 s40, s10
; %bb.5322:                             ;   in Loop: Header=BB2_5162 Depth=2
	v_bfe_u32 v34, v96, 20, 1
	s_delay_alu instid0(VALU_DEP_1) | instskip(NEXT) | instid1(VALU_DEP_1)
	v_add_nc_u64_e32 v[98:99], v[96:97], v[34:35]
	v_add_nc_u64_e32 v[98:99], -1, v[98:99]
; %bb.5323:                             ;   in Loop: Header=BB2_5162 Depth=2
	s_or_b32 exec_lo, exec_lo, s40
	v_add_nc_u32_e32 v34, 0xffffff81, v119
	v_lshrrev_b32_e32 v97, 23, v96
	s_mov_b32 s10, exec_lo
	s_delay_alu instid0(VALU_DEP_2) | instskip(NEXT) | instid1(VALU_DEP_1)
	v_cndmask_b32_e64 v34, v34, 0xffffff82, vcc_lo
	v_add3_u32 v99, v40, v34, v97
	v_and_b32_e32 v34, 0xfffff, v98
                                        ; implicit-def: $vgpr98
	s_delay_alu instid0(VALU_DEP_1) | instskip(NEXT) | instid1(VALU_DEP_1)
	v_dual_add_nc_u32 v119, 6, v99 :: v_dual_add_nc_u32 v34, v34, v96
                                        ; implicit-def: $vgpr96_vgpr97
	v_cmpx_ne_u32_e32 0, v119
	s_xor_b32 s10, exec_lo, s10
; %bb.5324:                             ;   in Loop: Header=BB2_5162 Depth=2
	s_delay_alu instid0(VALU_DEP_2) | instskip(SKIP_1) | instid1(VALU_DEP_1)
	v_cmp_lt_u64_e32 vcc_lo, 0xffffff, v[34:35]
	v_add_nc_u32_e32 v96, 7, v99
	v_cndmask_b32_e32 v98, v119, v96, vcc_lo
	v_cndmask_b32_e64 v96, 0, 1, vcc_lo
	s_delay_alu instid0(VALU_DEP_1)
	v_lshrrev_b64 v[96:97], v96, v[34:35]
; %bb.5325:                             ;   in Loop: Header=BB2_5162 Depth=2
	s_and_not1_saveexec_b32 s10, s10
; %bb.5326:                             ;   in Loop: Header=BB2_5162 Depth=2
	v_mov_b64_e32 v[96:97], v[34:35]
	v_bfe_u32 v98, v34, 23, 1
; %bb.5327:                             ;   in Loop: Header=BB2_5162 Depth=2
	s_or_b32 exec_lo, exec_lo, s10
	s_delay_alu instid0(VALU_DEP_2) | instskip(NEXT) | instid1(VALU_DEP_2)
	v_lshrrev_b64 v[96:97], 20, v[96:97]
	v_cmp_gt_i32_e32 vcc_lo, 16, v98
	v_min_i32_e32 v34, 15, v98
	v_cmp_eq_u32_e64 s10, 0, v98
	s_delay_alu instid0(VALU_DEP_2) | instskip(SKIP_1) | instid1(VALU_DEP_2)
	v_dual_cndmask_b32 v97, 0, v97 :: v_dual_lshlrev_b32 v34, 3, v34
	v_cndmask_b32_e32 v96, 7, v96, vcc_lo
	v_and_b32_e32 v34, 0xf8, v34
	s_delay_alu instid0(VALU_DEP_2) | instskip(NEXT) | instid1(VALU_DEP_2)
	v_cmp_eq_u64_e32 vcc_lo, 0, v[96:97]
	v_and_or_b32 v34, v96, 7, v34
	s_and_b32 s10, s10, vcc_lo
	s_delay_alu instid0(VALU_DEP_1) | instid1(SALU_CYCLE_1)
	v_cndmask_b32_e64 v34, v34, 0, s10
	s_delay_alu instid0(VALU_DEP_1)
	v_or_b32_e32 v98, v34, v118
.LBB2_5328:                             ;   in Loop: Header=BB2_5162 Depth=2
	s_or_b32 exec_lo, exec_lo, s29
                                        ; implicit-def: $vgpr118
.LBB2_5329:                             ;   in Loop: Header=BB2_5162 Depth=2
	s_and_not1_saveexec_b32 s10, s28
; %bb.5330:                             ;   in Loop: Header=BB2_5162 Depth=2
	v_or_b32_e32 v98, 0x7e, v118
; %bb.5331:                             ;   in Loop: Header=BB2_5162 Depth=2
	s_or_b32 exec_lo, exec_lo, s10
                                        ; implicit-def: $vgpr97
.LBB2_5332:                             ;   in Loop: Header=BB2_5162 Depth=2
	s_and_not1_saveexec_b32 s10, s27
; %bb.5333:                             ;   in Loop: Header=BB2_5162 Depth=2
	v_or_b32_e32 v98, 0x7f, v97
; %bb.5334:                             ;   in Loop: Header=BB2_5162 Depth=2
	s_or_b32 exec_lo, exec_lo, s10
	v_mov_b32_e32 v34, 0
	s_mov_b32 s10, exec_lo
	v_cmpx_lt_u64_e64 s[12:13], v[10:11]
	s_cbranch_execz .LBB2_5342
; %bb.5335:                             ;   in Loop: Header=BB2_5162 Depth=2
	v_lshrrev_b32_e32 v10, 24, v11
	v_bfrev_b32_e32 v34, 1
	s_mov_b32 s27, exec_lo
	s_delay_alu instid0(VALU_DEP_2)
	v_cmpx_ne_u32_e32 0x80, v10
	s_cbranch_execz .LBB2_5341
; %bb.5336:                             ;   in Loop: Header=BB2_5162 Depth=2
	v_bfe_u32 v96, v11, 24, 7
	v_mov_b32_e32 v34, 0x7f800001
	s_mov_b32 s28, exec_lo
	s_delay_alu instid0(VALU_DEP_2)
	v_cmpx_ne_u32_e32 0x7f, v96
	s_cbranch_execz .LBB2_5340
; %bb.5337:                             ;   in Loop: Header=BB2_5162 Depth=2
	v_dual_lshrrev_b32 v11, 3, v96 :: v_dual_bitop2_b32 v34, 7, v10 bitop3:0x40
	s_mov_b32 s29, exec_lo
	v_cmpx_gt_u32_e32 8, v96
; %bb.5338:                             ;   in Loop: Header=BB2_5162 Depth=2
	s_delay_alu instid0(VALU_DEP_2) | instskip(NEXT) | instid1(VALU_DEP_1)
	v_clz_i32_u32_e32 v11, v34
	v_min_u32_e32 v11, 32, v11
	s_delay_alu instid0(VALU_DEP_1) | instskip(NEXT) | instid1(VALU_DEP_1)
	v_subrev_nc_u32_e32 v96, 28, v11
	v_lshlrev_b64_e32 v[96:97], v96, v[34:35]
	s_delay_alu instid0(VALU_DEP_1)
	v_dual_sub_nc_u32 v11, 29, v11 :: v_dual_bitop2_b32 v34, 7, v96 bitop3:0x40
; %bb.5339:                             ;   in Loop: Header=BB2_5162 Depth=2
	s_or_b32 exec_lo, exec_lo, s29
	v_lshlrev_b32_e32 v10, 24, v10
	s_delay_alu instid0(VALU_DEP_2) | instskip(NEXT) | instid1(VALU_DEP_3)
	v_lshlrev_b32_e32 v34, 20, v34
	v_lshl_add_u32 v11, v11, 23, 0x3c000000
	s_delay_alu instid0(VALU_DEP_3) | instskip(NEXT) | instid1(VALU_DEP_1)
	v_and_b32_e32 v10, 0x80000000, v10
	v_or3_b32 v34, v34, v10, v11
.LBB2_5340:                             ;   in Loop: Header=BB2_5162 Depth=2
	s_or_b32 exec_lo, exec_lo, s28
.LBB2_5341:                             ;   in Loop: Header=BB2_5162 Depth=2
	s_delay_alu instid0(SALU_CYCLE_1)
	s_or_b32 exec_lo, exec_lo, s27
.LBB2_5342:                             ;   in Loop: Header=BB2_5162 Depth=2
	s_delay_alu instid0(SALU_CYCLE_1) | instskip(NEXT) | instid1(VALU_DEP_1)
	s_or_b32 exec_lo, exec_lo, s10
	v_mul_f32_e32 v10, s26, v34
                                        ; implicit-def: $vgpr99
	s_mov_b32 s10, exec_lo
	s_delay_alu instid0(VALU_DEP_1) | instskip(SKIP_1) | instid1(VALU_DEP_2)
	v_and_b32_e32 v34, 0x7f800000, v10
	v_lshrrev_b32_e32 v11, 24, v10
	v_cmpx_ne_u64_e32 0x7f800000, v[34:35]
	s_xor_b32 s27, exec_lo, s10
	s_cbranch_execz .LBB2_5356
; %bb.5343:                             ;   in Loop: Header=BB2_5162 Depth=2
	v_and_b32_e32 v34, 0x7fffffff, v10
	v_and_b32_e32 v118, 0x80, v11
                                        ; implicit-def: $vgpr99
	s_mov_b32 s10, exec_lo
	s_delay_alu instid0(VALU_DEP_2)
	v_cmpx_gt_u64_e32 0x43e00001, v[34:35]
	s_xor_b32 s28, exec_lo, s10
	s_cbranch_execz .LBB2_5353
; %bb.5344:                             ;   in Loop: Header=BB2_5162 Depth=2
	v_mov_b32_e32 v99, 0
	s_mov_b32 s29, exec_lo
	v_cmpx_ne_u32_e32 0, v10
	s_cbranch_execz .LBB2_5352
; %bb.5345:                             ;   in Loop: Header=BB2_5162 Depth=2
	v_bfe_u32 v99, v10, 23, 8
	v_and_b32_e32 v34, 0x7fffff, v10
	s_delay_alu instid0(VALU_DEP_2) | instskip(NEXT) | instid1(VALU_DEP_2)
	v_cmp_gt_u32_e32 vcc_lo, 0x7a, v99
	v_or_b32_e32 v96, 0x800000, v34
	v_sub_nc_u32_e32 v11, 0x79, v99
	s_delay_alu instid0(VALU_DEP_1) | instskip(SKIP_1) | instid1(VALU_DEP_2)
	v_cndmask_b32_e32 v11, 0, v11, vcc_lo
	v_cmp_eq_u32_e32 vcc_lo, 0, v99
	v_cndmask_b32_e64 v119, v11, 0x78, vcc_lo
	s_delay_alu instid0(VALU_DEP_1) | instskip(SKIP_1) | instid1(VALU_DEP_2)
	v_dual_cndmask_b32 v34, v96, v34, vcc_lo :: v_dual_add_nc_u32 v10, 20, v119
	v_add_nc_u32_e32 v97, 19, v119
	v_lshlrev_b64_e64 v[10:11], v10, -1
	s_delay_alu instid0(VALU_DEP_2) | instskip(NEXT) | instid1(VALU_DEP_2)
	v_lshlrev_b64_e64 v[96:97], v97, 1
	v_bfi_b32 v41, v11, 0, 0
	s_delay_alu instid0(VALU_DEP_3) | instskip(SKIP_1) | instid1(VALU_DEP_2)
	v_bfi_b32 v40, v10, 0, v34
	v_lshrrev_b64 v[10:11], v119, v[34:35]
	v_cmp_eq_u64_e64 s10, v[40:41], v[96:97]
	s_delay_alu instid0(VALU_DEP_2)
	v_mov_b64_e32 v[96:97], v[10:11]
	s_and_saveexec_b32 s40, s10
; %bb.5346:                             ;   in Loop: Header=BB2_5162 Depth=2
	v_bfe_u32 v34, v10, 20, 1
	s_delay_alu instid0(VALU_DEP_1) | instskip(NEXT) | instid1(VALU_DEP_1)
	v_add_nc_u64_e32 v[96:97], v[10:11], v[34:35]
	v_add_nc_u64_e32 v[96:97], -1, v[96:97]
; %bb.5347:                             ;   in Loop: Header=BB2_5162 Depth=2
	s_or_b32 exec_lo, exec_lo, s40
	v_add_nc_u32_e32 v11, 0xffffff81, v99
	v_lshrrev_b32_e32 v34, 23, v10
	s_mov_b32 s10, exec_lo
	s_delay_alu instid0(VALU_DEP_2) | instskip(NEXT) | instid1(VALU_DEP_1)
	v_cndmask_b32_e64 v11, v11, 0xffffff82, vcc_lo
	v_add3_u32 v97, v119, v11, v34
	v_and_b32_e32 v11, 0xfffff, v96
                                        ; implicit-def: $vgpr96
	s_delay_alu instid0(VALU_DEP_1) | instskip(NEXT) | instid1(VALU_DEP_1)
	v_dual_add_nc_u32 v99, 6, v97 :: v_dual_add_nc_u32 v34, v11, v10
                                        ; implicit-def: $vgpr10_vgpr11
	v_cmpx_ne_u32_e32 0, v99
	s_xor_b32 s10, exec_lo, s10
; %bb.5348:                             ;   in Loop: Header=BB2_5162 Depth=2
	s_delay_alu instid0(VALU_DEP_2) | instskip(SKIP_1) | instid1(VALU_DEP_1)
	v_cmp_lt_u64_e32 vcc_lo, 0xffffff, v[34:35]
	v_add_nc_u32_e32 v10, 7, v97
	v_cndmask_b32_e32 v96, v99, v10, vcc_lo
	v_cndmask_b32_e64 v10, 0, 1, vcc_lo
	s_delay_alu instid0(VALU_DEP_1)
	v_lshrrev_b64 v[10:11], v10, v[34:35]
; %bb.5349:                             ;   in Loop: Header=BB2_5162 Depth=2
	s_and_not1_saveexec_b32 s10, s10
; %bb.5350:                             ;   in Loop: Header=BB2_5162 Depth=2
	v_mov_b64_e32 v[10:11], v[34:35]
	v_bfe_u32 v96, v34, 23, 1
; %bb.5351:                             ;   in Loop: Header=BB2_5162 Depth=2
	s_or_b32 exec_lo, exec_lo, s10
	s_delay_alu instid0(VALU_DEP_2) | instskip(NEXT) | instid1(VALU_DEP_2)
	v_lshrrev_b64 v[10:11], 20, v[10:11]
	v_cmp_gt_i32_e32 vcc_lo, 16, v96
	v_min_i32_e32 v34, 15, v96
	v_cmp_eq_u32_e64 s10, 0, v96
	s_delay_alu instid0(VALU_DEP_2) | instskip(SKIP_1) | instid1(VALU_DEP_2)
	v_dual_cndmask_b32 v11, 0, v11 :: v_dual_lshlrev_b32 v34, 3, v34
	v_cndmask_b32_e32 v10, 7, v10, vcc_lo
	v_and_b32_e32 v34, 0xf8, v34
	s_delay_alu instid0(VALU_DEP_2) | instskip(NEXT) | instid1(VALU_DEP_2)
	v_cmp_eq_u64_e32 vcc_lo, 0, v[10:11]
	v_and_or_b32 v10, v10, 7, v34
	s_and_b32 s10, s10, vcc_lo
	s_delay_alu instid0(VALU_DEP_1) | instid1(SALU_CYCLE_1)
	v_cndmask_b32_e64 v10, v10, 0, s10
	s_delay_alu instid0(VALU_DEP_1)
	v_or_b32_e32 v99, v10, v118
.LBB2_5352:                             ;   in Loop: Header=BB2_5162 Depth=2
	s_or_b32 exec_lo, exec_lo, s29
                                        ; implicit-def: $vgpr118
.LBB2_5353:                             ;   in Loop: Header=BB2_5162 Depth=2
	s_and_not1_saveexec_b32 s10, s28
; %bb.5354:                             ;   in Loop: Header=BB2_5162 Depth=2
	v_or_b32_e32 v99, 0x7e, v118
; %bb.5355:                             ;   in Loop: Header=BB2_5162 Depth=2
	s_or_b32 exec_lo, exec_lo, s10
                                        ; implicit-def: $vgpr11
.LBB2_5356:                             ;   in Loop: Header=BB2_5162 Depth=2
	s_and_not1_saveexec_b32 s10, s27
; %bb.5357:                             ;   in Loop: Header=BB2_5162 Depth=2
	v_or_b32_e32 v99, 0x7f, v11
; %bb.5358:                             ;   in Loop: Header=BB2_5162 Depth=2
	s_or_b32 exec_lo, exec_lo, s10
	v_and_b32_e32 v11, 0xff, v12
	v_mov_b32_e32 v10, 0
	s_mov_b32 s10, exec_lo
	s_delay_alu instid0(VALU_DEP_2)
	v_cmpx_ne_u16_e32 0, v11
	s_cbranch_execz .LBB2_5364
; %bb.5359:                             ;   in Loop: Header=BB2_5162 Depth=2
	v_bfrev_b32_e32 v10, 1
	s_mov_b32 s27, exec_lo
	v_cmpx_ne_u16_e32 0x80, v11
	s_cbranch_execz .LBB2_5363
; %bb.5360:                             ;   in Loop: Header=BB2_5162 Depth=2
	v_and_b32_e32 v11, 0x7f, v12
	v_mov_b32_e32 v10, 0x7f800001
	s_mov_b32 s28, exec_lo
	s_delay_alu instid0(VALU_DEP_2)
	v_cmpx_ne_u32_e32 0x7f, v11
	s_cbranch_execz .LBB2_5362
; %bb.5361:                             ;   in Loop: Header=BB2_5162 Depth=2
	v_dual_lshrrev_b32 v34, 3, v11 :: v_dual_bitop2_b32 v10, 7, v12 bitop3:0x40
	v_cmp_gt_u32_e32 vcc_lo, 8, v11
	s_delay_alu instid0(VALU_DEP_2) | instskip(NEXT) | instid1(VALU_DEP_1)
	v_clz_i32_u32_e32 v10, v10
	v_min_u32_e32 v10, 32, v10
	s_delay_alu instid0(VALU_DEP_1) | instskip(SKIP_1) | instid1(VALU_DEP_1)
	v_subrev_nc_u32_e32 v96, 28, v10
	v_sub_nc_u32_e32 v10, 29, v10
	v_dual_cndmask_b32 v34, v34, v10, vcc_lo :: v_dual_cndmask_b32 v10, 0, v96, vcc_lo
	s_delay_alu instid0(VALU_DEP_1) | instskip(NEXT) | instid1(VALU_DEP_2)
	v_lshl_add_u32 v34, v34, 23, 0x3c000000
	v_lshlrev_b64_e32 v[10:11], v10, v[12:13]
	v_lshlrev_b32_e32 v11, 24, v12
	s_delay_alu instid0(VALU_DEP_1) | instskip(NEXT) | instid1(VALU_DEP_3)
	v_and_b32_e32 v11, 0x80000000, v11
	v_lshlrev_b32_e32 v10, 20, v10
	s_delay_alu instid0(VALU_DEP_1) | instskip(NEXT) | instid1(VALU_DEP_1)
	v_and_b32_e32 v10, 0x700000, v10
	v_or3_b32 v10, v10, v11, v34
.LBB2_5362:                             ;   in Loop: Header=BB2_5162 Depth=2
	s_or_b32 exec_lo, exec_lo, s28
.LBB2_5363:                             ;   in Loop: Header=BB2_5162 Depth=2
	s_delay_alu instid0(SALU_CYCLE_1)
	s_or_b32 exec_lo, exec_lo, s27
.LBB2_5364:                             ;   in Loop: Header=BB2_5162 Depth=2
	s_delay_alu instid0(SALU_CYCLE_1) | instskip(NEXT) | instid1(VALU_DEP_1)
	s_or_b32 exec_lo, exec_lo, s10
	v_mul_f32_e32 v10, s26, v10
                                        ; implicit-def: $vgpr118
	s_mov_b32 s10, exec_lo
	s_delay_alu instid0(VALU_DEP_1) | instskip(SKIP_1) | instid1(VALU_DEP_2)
	v_and_b32_e32 v34, 0x7f800000, v10
	v_lshrrev_b32_e32 v11, 24, v10
	v_cmpx_ne_u64_e32 0x7f800000, v[34:35]
	s_xor_b32 s27, exec_lo, s10
	s_cbranch_execz .LBB2_5378
; %bb.5365:                             ;   in Loop: Header=BB2_5162 Depth=2
	v_and_b32_e32 v34, 0x7fffffff, v10
	v_and_b32_e32 v119, 0x80, v11
                                        ; implicit-def: $vgpr118
	s_mov_b32 s10, exec_lo
	s_delay_alu instid0(VALU_DEP_2)
	v_cmpx_gt_u64_e32 0x43e00001, v[34:35]
	s_xor_b32 s28, exec_lo, s10
	s_cbranch_execz .LBB2_5375
; %bb.5366:                             ;   in Loop: Header=BB2_5162 Depth=2
	v_mov_b32_e32 v118, 0
	s_mov_b32 s29, exec_lo
	v_cmpx_ne_u32_e32 0, v10
	s_cbranch_execz .LBB2_5374
; %bb.5367:                             ;   in Loop: Header=BB2_5162 Depth=2
	v_bfe_u32 v118, v10, 23, 8
	v_and_b32_e32 v34, 0x7fffff, v10
	s_delay_alu instid0(VALU_DEP_2) | instskip(SKIP_1) | instid1(VALU_DEP_3)
	v_sub_nc_u32_e32 v11, 0x79, v118
	v_cmp_gt_u32_e32 vcc_lo, 0x7a, v118
	v_or_b32_e32 v96, 0x800000, v34
	s_delay_alu instid0(VALU_DEP_3) | instskip(SKIP_1) | instid1(VALU_DEP_2)
	v_cndmask_b32_e32 v11, 0, v11, vcc_lo
	v_cmp_eq_u32_e32 vcc_lo, 0, v118
	v_cndmask_b32_e64 v40, v11, 0x78, vcc_lo
	s_delay_alu instid0(VALU_DEP_1) | instskip(SKIP_1) | instid1(VALU_DEP_2)
	v_dual_cndmask_b32 v34, v96, v34 :: v_dual_add_nc_u32 v97, 19, v40
	v_add_nc_u32_e32 v10, 20, v40
	v_lshlrev_b64_e64 v[96:97], v97, 1
	s_delay_alu instid0(VALU_DEP_2) | instskip(NEXT) | instid1(VALU_DEP_1)
	v_lshlrev_b64_e64 v[10:11], v10, -1
	v_bfi_b32 v43, v11, 0, 0
	s_delay_alu instid0(VALU_DEP_2) | instskip(SKIP_1) | instid1(VALU_DEP_2)
	v_bfi_b32 v42, v10, 0, v34
	v_lshrrev_b64 v[10:11], v40, v[34:35]
	v_cmp_eq_u64_e64 s10, v[42:43], v[96:97]
	s_delay_alu instid0(VALU_DEP_2)
	v_mov_b64_e32 v[96:97], v[10:11]
	s_and_saveexec_b32 s40, s10
; %bb.5368:                             ;   in Loop: Header=BB2_5162 Depth=2
	v_bfe_u32 v34, v10, 20, 1
	s_delay_alu instid0(VALU_DEP_1) | instskip(NEXT) | instid1(VALU_DEP_1)
	v_add_nc_u64_e32 v[96:97], v[10:11], v[34:35]
	v_add_nc_u64_e32 v[96:97], -1, v[96:97]
; %bb.5369:                             ;   in Loop: Header=BB2_5162 Depth=2
	s_or_b32 exec_lo, exec_lo, s40
	v_add_nc_u32_e32 v11, 0xffffff81, v118
	v_lshrrev_b32_e32 v34, 23, v10
	s_mov_b32 s10, exec_lo
	s_delay_alu instid0(VALU_DEP_2) | instskip(NEXT) | instid1(VALU_DEP_1)
	v_cndmask_b32_e64 v11, v11, 0xffffff82, vcc_lo
	v_add3_u32 v97, v40, v11, v34
	v_and_b32_e32 v11, 0xfffff, v96
                                        ; implicit-def: $vgpr96
	s_delay_alu instid0(VALU_DEP_1) | instskip(NEXT) | instid1(VALU_DEP_1)
	v_dual_add_nc_u32 v118, 6, v97 :: v_dual_add_nc_u32 v34, v11, v10
                                        ; implicit-def: $vgpr10_vgpr11
	v_cmpx_ne_u32_e32 0, v118
	s_xor_b32 s10, exec_lo, s10
; %bb.5370:                             ;   in Loop: Header=BB2_5162 Depth=2
	s_delay_alu instid0(VALU_DEP_2) | instskip(SKIP_1) | instid1(VALU_DEP_1)
	v_cmp_lt_u64_e32 vcc_lo, 0xffffff, v[34:35]
	v_add_nc_u32_e32 v10, 7, v97
	v_cndmask_b32_e32 v96, v118, v10, vcc_lo
	v_cndmask_b32_e64 v10, 0, 1, vcc_lo
	s_delay_alu instid0(VALU_DEP_1)
	v_lshrrev_b64 v[10:11], v10, v[34:35]
; %bb.5371:                             ;   in Loop: Header=BB2_5162 Depth=2
	s_and_not1_saveexec_b32 s10, s10
; %bb.5372:                             ;   in Loop: Header=BB2_5162 Depth=2
	v_mov_b64_e32 v[10:11], v[34:35]
	v_bfe_u32 v96, v34, 23, 1
; %bb.5373:                             ;   in Loop: Header=BB2_5162 Depth=2
	s_or_b32 exec_lo, exec_lo, s10
	s_delay_alu instid0(VALU_DEP_2) | instskip(NEXT) | instid1(VALU_DEP_2)
	v_lshrrev_b64 v[10:11], 20, v[10:11]
	v_cmp_gt_i32_e32 vcc_lo, 16, v96
	v_min_i32_e32 v34, 15, v96
	v_cmp_eq_u32_e64 s10, 0, v96
	s_delay_alu instid0(VALU_DEP_2) | instskip(SKIP_1) | instid1(VALU_DEP_2)
	v_dual_cndmask_b32 v11, 0, v11 :: v_dual_lshlrev_b32 v34, 3, v34
	v_cndmask_b32_e32 v10, 7, v10, vcc_lo
	v_and_b32_e32 v34, 0xf8, v34
	s_delay_alu instid0(VALU_DEP_2) | instskip(NEXT) | instid1(VALU_DEP_2)
	v_cmp_eq_u64_e32 vcc_lo, 0, v[10:11]
	v_and_or_b32 v10, v10, 7, v34
	s_and_b32 s10, s10, vcc_lo
	s_delay_alu instid0(VALU_DEP_1) | instid1(SALU_CYCLE_1)
	v_cndmask_b32_e64 v10, v10, 0, s10
	s_delay_alu instid0(VALU_DEP_1)
	v_or_b32_e32 v118, v10, v119
.LBB2_5374:                             ;   in Loop: Header=BB2_5162 Depth=2
	s_or_b32 exec_lo, exec_lo, s29
                                        ; implicit-def: $vgpr119
.LBB2_5375:                             ;   in Loop: Header=BB2_5162 Depth=2
	s_and_not1_saveexec_b32 s10, s28
; %bb.5376:                             ;   in Loop: Header=BB2_5162 Depth=2
	v_or_b32_e32 v118, 0x7e, v119
; %bb.5377:                             ;   in Loop: Header=BB2_5162 Depth=2
	s_or_b32 exec_lo, exec_lo, s10
                                        ; implicit-def: $vgpr11
.LBB2_5378:                             ;   in Loop: Header=BB2_5162 Depth=2
	s_and_not1_saveexec_b32 s10, s27
; %bb.5379:                             ;   in Loop: Header=BB2_5162 Depth=2
	v_or_b32_e32 v118, 0x7f, v11
; %bb.5380:                             ;   in Loop: Header=BB2_5162 Depth=2
	s_or_b32 exec_lo, exec_lo, s10
	v_lshrrev_b16 v11, 8, v12
	v_mov_b32_e32 v10, 0
	s_mov_b32 s10, exec_lo
	s_delay_alu instid0(VALU_DEP_2)
	v_cmpx_ne_u16_e32 0, v11
	s_cbranch_execz .LBB2_5388
; %bb.5381:                             ;   in Loop: Header=BB2_5162 Depth=2
	v_bfrev_b32_e32 v10, 1
	s_mov_b32 s27, exec_lo
	v_cmpx_ne_u16_e32 0x80, v11
	s_cbranch_execz .LBB2_5387
; %bb.5382:                             ;   in Loop: Header=BB2_5162 Depth=2
	v_and_b32_e32 v34, 0xffff, v11
	v_mov_b32_e32 v10, 0x7f800001
	s_mov_b32 s28, exec_lo
	s_delay_alu instid0(VALU_DEP_2) | instskip(NEXT) | instid1(VALU_DEP_1)
	v_and_b32_e32 v11, 0x7f, v34
	v_cmpx_ne_u32_e32 0x7f, v11
	s_cbranch_execz .LBB2_5386
; %bb.5383:                             ;   in Loop: Header=BB2_5162 Depth=2
	v_dual_lshrrev_b32 v10, 3, v11 :: v_dual_bitop2_b32 v34, 7, v34 bitop3:0x40
	s_mov_b32 s29, exec_lo
	v_cmpx_gt_u32_e32 8, v11
; %bb.5384:                             ;   in Loop: Header=BB2_5162 Depth=2
	s_delay_alu instid0(VALU_DEP_2) | instskip(NEXT) | instid1(VALU_DEP_1)
	v_clz_i32_u32_e32 v10, v34
	v_min_u32_e32 v10, 32, v10
	s_delay_alu instid0(VALU_DEP_1) | instskip(NEXT) | instid1(VALU_DEP_1)
	v_subrev_nc_u32_e32 v11, 28, v10
	v_lshlrev_b64_e32 v[96:97], v11, v[34:35]
	s_delay_alu instid0(VALU_DEP_1)
	v_dual_sub_nc_u32 v10, 29, v10 :: v_dual_bitop2_b32 v34, 7, v96 bitop3:0x40
; %bb.5385:                             ;   in Loop: Header=BB2_5162 Depth=2
	s_or_b32 exec_lo, exec_lo, s29
	s_delay_alu instid0(VALU_DEP_1) | instskip(NEXT) | instid1(VALU_DEP_2)
	v_dual_lshlrev_b32 v11, 16, v12 :: v_dual_lshlrev_b32 v34, 20, v34
	v_lshl_add_u32 v10, v10, 23, 0x3c000000
	s_delay_alu instid0(VALU_DEP_2) | instskip(NEXT) | instid1(VALU_DEP_1)
	v_and_b32_e32 v11, 0x80000000, v11
	v_or3_b32 v10, v34, v11, v10
.LBB2_5386:                             ;   in Loop: Header=BB2_5162 Depth=2
	s_or_b32 exec_lo, exec_lo, s28
.LBB2_5387:                             ;   in Loop: Header=BB2_5162 Depth=2
	s_delay_alu instid0(SALU_CYCLE_1)
	s_or_b32 exec_lo, exec_lo, s27
.LBB2_5388:                             ;   in Loop: Header=BB2_5162 Depth=2
	s_delay_alu instid0(SALU_CYCLE_1) | instskip(NEXT) | instid1(VALU_DEP_1)
	s_or_b32 exec_lo, exec_lo, s10
	v_mul_f32_e32 v10, s26, v10
                                        ; implicit-def: $vgpr119
	s_mov_b32 s10, exec_lo
	s_delay_alu instid0(VALU_DEP_1) | instskip(SKIP_1) | instid1(VALU_DEP_2)
	v_and_b32_e32 v34, 0x7f800000, v10
	v_lshrrev_b32_e32 v11, 24, v10
	v_cmpx_ne_u64_e32 0x7f800000, v[34:35]
	s_xor_b32 s27, exec_lo, s10
	s_cbranch_execz .LBB2_5402
; %bb.5389:                             ;   in Loop: Header=BB2_5162 Depth=2
	v_and_b32_e32 v34, 0x7fffffff, v10
	v_and_b32_e32 v40, 0x80, v11
                                        ; implicit-def: $vgpr119
	s_mov_b32 s10, exec_lo
	s_delay_alu instid0(VALU_DEP_2)
	v_cmpx_gt_u64_e32 0x43e00001, v[34:35]
	s_xor_b32 s28, exec_lo, s10
	s_cbranch_execz .LBB2_5399
; %bb.5390:                             ;   in Loop: Header=BB2_5162 Depth=2
	v_mov_b32_e32 v119, 0
	s_mov_b32 s29, exec_lo
	v_cmpx_ne_u32_e32 0, v10
	s_cbranch_execz .LBB2_5398
; %bb.5391:                             ;   in Loop: Header=BB2_5162 Depth=2
	v_bfe_u32 v119, v10, 23, 8
	v_and_b32_e32 v34, 0x7fffff, v10
	s_delay_alu instid0(VALU_DEP_2) | instskip(NEXT) | instid1(VALU_DEP_2)
	v_cmp_gt_u32_e32 vcc_lo, 0x7a, v119
	v_or_b32_e32 v96, 0x800000, v34
	v_sub_nc_u32_e32 v11, 0x79, v119
	s_delay_alu instid0(VALU_DEP_1) | instskip(SKIP_1) | instid1(VALU_DEP_2)
	v_cndmask_b32_e32 v11, 0, v11, vcc_lo
	v_cmp_eq_u32_e32 vcc_lo, 0, v119
	v_cndmask_b32_e64 v41, v11, 0x78, vcc_lo
	s_delay_alu instid0(VALU_DEP_1) | instskip(SKIP_1) | instid1(VALU_DEP_2)
	v_dual_cndmask_b32 v34, v96, v34, vcc_lo :: v_dual_add_nc_u32 v10, 20, v41
	v_add_nc_u32_e32 v97, 19, v41
	v_lshlrev_b64_e64 v[10:11], v10, -1
	s_delay_alu instid0(VALU_DEP_2) | instskip(NEXT) | instid1(VALU_DEP_2)
	v_lshlrev_b64_e64 v[96:97], v97, 1
	v_bfi_b32 v43, v11, 0, 0
	s_delay_alu instid0(VALU_DEP_3) | instskip(SKIP_1) | instid1(VALU_DEP_2)
	v_bfi_b32 v42, v10, 0, v34
	v_lshrrev_b64 v[10:11], v41, v[34:35]
	v_cmp_eq_u64_e64 s10, v[42:43], v[96:97]
	s_delay_alu instid0(VALU_DEP_2)
	v_mov_b64_e32 v[96:97], v[10:11]
	s_and_saveexec_b32 s40, s10
; %bb.5392:                             ;   in Loop: Header=BB2_5162 Depth=2
	v_bfe_u32 v34, v10, 20, 1
	s_delay_alu instid0(VALU_DEP_1) | instskip(NEXT) | instid1(VALU_DEP_1)
	v_add_nc_u64_e32 v[96:97], v[10:11], v[34:35]
	v_add_nc_u64_e32 v[96:97], -1, v[96:97]
; %bb.5393:                             ;   in Loop: Header=BB2_5162 Depth=2
	s_or_b32 exec_lo, exec_lo, s40
	v_add_nc_u32_e32 v11, 0xffffff81, v119
	v_lshrrev_b32_e32 v34, 23, v10
	s_mov_b32 s10, exec_lo
	s_delay_alu instid0(VALU_DEP_2) | instskip(NEXT) | instid1(VALU_DEP_1)
	v_cndmask_b32_e64 v11, v11, 0xffffff82, vcc_lo
	v_add3_u32 v97, v41, v11, v34
	v_and_b32_e32 v11, 0xfffff, v96
                                        ; implicit-def: $vgpr96
	s_delay_alu instid0(VALU_DEP_1) | instskip(NEXT) | instid1(VALU_DEP_1)
	v_dual_add_nc_u32 v119, 6, v97 :: v_dual_add_nc_u32 v34, v11, v10
                                        ; implicit-def: $vgpr10_vgpr11
	v_cmpx_ne_u32_e32 0, v119
	s_xor_b32 s10, exec_lo, s10
; %bb.5394:                             ;   in Loop: Header=BB2_5162 Depth=2
	s_delay_alu instid0(VALU_DEP_2) | instskip(SKIP_1) | instid1(VALU_DEP_1)
	v_cmp_lt_u64_e32 vcc_lo, 0xffffff, v[34:35]
	v_add_nc_u32_e32 v10, 7, v97
	v_cndmask_b32_e32 v96, v119, v10, vcc_lo
	v_cndmask_b32_e64 v10, 0, 1, vcc_lo
	s_delay_alu instid0(VALU_DEP_1)
	v_lshrrev_b64 v[10:11], v10, v[34:35]
; %bb.5395:                             ;   in Loop: Header=BB2_5162 Depth=2
	s_and_not1_saveexec_b32 s10, s10
; %bb.5396:                             ;   in Loop: Header=BB2_5162 Depth=2
	v_mov_b64_e32 v[10:11], v[34:35]
	v_bfe_u32 v96, v34, 23, 1
; %bb.5397:                             ;   in Loop: Header=BB2_5162 Depth=2
	s_or_b32 exec_lo, exec_lo, s10
	s_delay_alu instid0(VALU_DEP_2) | instskip(NEXT) | instid1(VALU_DEP_2)
	v_lshrrev_b64 v[10:11], 20, v[10:11]
	v_cmp_gt_i32_e32 vcc_lo, 16, v96
	v_min_i32_e32 v34, 15, v96
	v_cmp_eq_u32_e64 s10, 0, v96
	s_delay_alu instid0(VALU_DEP_2) | instskip(SKIP_1) | instid1(VALU_DEP_2)
	v_dual_cndmask_b32 v11, 0, v11 :: v_dual_lshlrev_b32 v34, 3, v34
	v_cndmask_b32_e32 v10, 7, v10, vcc_lo
	v_and_b32_e32 v34, 0xf8, v34
	s_delay_alu instid0(VALU_DEP_2) | instskip(NEXT) | instid1(VALU_DEP_2)
	v_cmp_eq_u64_e32 vcc_lo, 0, v[10:11]
	v_and_or_b32 v10, v10, 7, v34
	s_and_b32 s10, s10, vcc_lo
	s_delay_alu instid0(VALU_DEP_1) | instid1(SALU_CYCLE_1)
	v_cndmask_b32_e64 v10, v10, 0, s10
	s_delay_alu instid0(VALU_DEP_1)
	v_or_b32_e32 v119, v10, v40
.LBB2_5398:                             ;   in Loop: Header=BB2_5162 Depth=2
	s_or_b32 exec_lo, exec_lo, s29
                                        ; implicit-def: $vgpr40
.LBB2_5399:                             ;   in Loop: Header=BB2_5162 Depth=2
	s_and_not1_saveexec_b32 s10, s28
; %bb.5400:                             ;   in Loop: Header=BB2_5162 Depth=2
	v_or_b32_e32 v119, 0x7e, v40
; %bb.5401:                             ;   in Loop: Header=BB2_5162 Depth=2
	s_or_b32 exec_lo, exec_lo, s10
                                        ; implicit-def: $vgpr11
.LBB2_5402:                             ;   in Loop: Header=BB2_5162 Depth=2
	s_and_not1_saveexec_b32 s10, s27
; %bb.5403:                             ;   in Loop: Header=BB2_5162 Depth=2
	v_or_b32_e32 v119, 0x7f, v11
; %bb.5404:                             ;   in Loop: Header=BB2_5162 Depth=2
	s_or_b32 exec_lo, exec_lo, s10
	v_dual_mov_b32 v11, 0 :: v_dual_lshrrev_b32 v10, 16, v12
	s_mov_b32 s10, exec_lo
	s_delay_alu instid0(VALU_DEP_1) | instskip(NEXT) | instid1(VALU_DEP_1)
	v_and_b32_e32 v34, 0xff, v10
	v_cmpx_ne_u16_e32 0, v34
	s_cbranch_execz .LBB2_5412
; %bb.5405:                             ;   in Loop: Header=BB2_5162 Depth=2
	v_bfrev_b32_e32 v11, 1
	s_mov_b32 s27, exec_lo
	v_cmpx_ne_u16_e32 0x80, v34
	s_cbranch_execz .LBB2_5411
; %bb.5406:                             ;   in Loop: Header=BB2_5162 Depth=2
	v_bfe_u32 v96, v12, 16, 7
	v_mov_b32_e32 v11, 0x7f800001
	s_mov_b32 s28, exec_lo
	s_delay_alu instid0(VALU_DEP_2)
	v_cmpx_ne_u32_e32 0x7f, v96
	s_cbranch_execz .LBB2_5410
; %bb.5407:                             ;   in Loop: Header=BB2_5162 Depth=2
	v_dual_lshrrev_b32 v11, 3, v96 :: v_dual_bitop2_b32 v34, 7, v10 bitop3:0x40
	s_mov_b32 s29, exec_lo
	v_cmpx_gt_u32_e32 8, v96
; %bb.5408:                             ;   in Loop: Header=BB2_5162 Depth=2
	s_delay_alu instid0(VALU_DEP_2) | instskip(NEXT) | instid1(VALU_DEP_1)
	v_clz_i32_u32_e32 v11, v34
	v_min_u32_e32 v11, 32, v11
	s_delay_alu instid0(VALU_DEP_1) | instskip(NEXT) | instid1(VALU_DEP_1)
	v_subrev_nc_u32_e32 v96, 28, v11
	v_lshlrev_b64_e32 v[96:97], v96, v[34:35]
	s_delay_alu instid0(VALU_DEP_1)
	v_dual_sub_nc_u32 v11, 29, v11 :: v_dual_bitop2_b32 v34, 7, v96 bitop3:0x40
; %bb.5409:                             ;   in Loop: Header=BB2_5162 Depth=2
	s_or_b32 exec_lo, exec_lo, s29
	v_lshlrev_b32_e32 v10, 24, v10
	s_delay_alu instid0(VALU_DEP_2) | instskip(NEXT) | instid1(VALU_DEP_3)
	v_lshlrev_b32_e32 v34, 20, v34
	v_lshl_add_u32 v11, v11, 23, 0x3c000000
	s_delay_alu instid0(VALU_DEP_3) | instskip(NEXT) | instid1(VALU_DEP_1)
	v_and_b32_e32 v10, 0x80000000, v10
	v_or3_b32 v11, v34, v10, v11
.LBB2_5410:                             ;   in Loop: Header=BB2_5162 Depth=2
	s_or_b32 exec_lo, exec_lo, s28
.LBB2_5411:                             ;   in Loop: Header=BB2_5162 Depth=2
	s_delay_alu instid0(SALU_CYCLE_1)
	s_or_b32 exec_lo, exec_lo, s27
.LBB2_5412:                             ;   in Loop: Header=BB2_5162 Depth=2
	s_delay_alu instid0(SALU_CYCLE_1) | instskip(NEXT) | instid1(VALU_DEP_1)
	s_or_b32 exec_lo, exec_lo, s10
	v_mul_f32_e32 v10, s26, v11
                                        ; implicit-def: $vgpr40
	s_mov_b32 s10, exec_lo
	s_delay_alu instid0(VALU_DEP_1) | instskip(SKIP_1) | instid1(VALU_DEP_2)
	v_and_b32_e32 v34, 0x7f800000, v10
	v_lshrrev_b32_e32 v11, 24, v10
	v_cmpx_ne_u64_e32 0x7f800000, v[34:35]
	s_xor_b32 s27, exec_lo, s10
	s_cbranch_execz .LBB2_5426
; %bb.5413:                             ;   in Loop: Header=BB2_5162 Depth=2
	v_and_b32_e32 v34, 0x7fffffff, v10
	v_and_b32_e32 v41, 0x80, v11
                                        ; implicit-def: $vgpr40
	s_mov_b32 s10, exec_lo
	s_delay_alu instid0(VALU_DEP_2)
	v_cmpx_gt_u64_e32 0x43e00001, v[34:35]
	s_xor_b32 s28, exec_lo, s10
	s_cbranch_execz .LBB2_5423
; %bb.5414:                             ;   in Loop: Header=BB2_5162 Depth=2
	v_mov_b32_e32 v40, 0
	s_mov_b32 s29, exec_lo
	v_cmpx_ne_u32_e32 0, v10
	s_cbranch_execz .LBB2_5422
; %bb.5415:                             ;   in Loop: Header=BB2_5162 Depth=2
	v_bfe_u32 v40, v10, 23, 8
	v_and_b32_e32 v34, 0x7fffff, v10
	s_delay_alu instid0(VALU_DEP_2) | instskip(NEXT) | instid1(VALU_DEP_2)
	v_cmp_gt_u32_e32 vcc_lo, 0x7a, v40
	v_or_b32_e32 v96, 0x800000, v34
	v_sub_nc_u32_e32 v11, 0x79, v40
	s_delay_alu instid0(VALU_DEP_1) | instskip(SKIP_1) | instid1(VALU_DEP_2)
	v_cndmask_b32_e32 v11, 0, v11, vcc_lo
	v_cmp_eq_u32_e32 vcc_lo, 0, v40
	v_cndmask_b32_e64 v42, v11, 0x78, vcc_lo
	v_cndmask_b32_e32 v34, v96, v34, vcc_lo
	s_delay_alu instid0(VALU_DEP_2) | instskip(NEXT) | instid1(VALU_DEP_1)
	v_dual_add_nc_u32 v10, 20, v42 :: v_dual_add_nc_u32 v97, 19, v42
	v_lshlrev_b64_e64 v[10:11], v10, -1
	s_delay_alu instid0(VALU_DEP_2) | instskip(NEXT) | instid1(VALU_DEP_2)
	v_lshlrev_b64_e64 v[96:97], v97, 1
	v_bfi_b32 v45, v11, 0, 0
	s_delay_alu instid0(VALU_DEP_3) | instskip(SKIP_1) | instid1(VALU_DEP_2)
	v_bfi_b32 v44, v10, 0, v34
	v_lshrrev_b64 v[10:11], v42, v[34:35]
	v_cmp_eq_u64_e64 s10, v[44:45], v[96:97]
	s_delay_alu instid0(VALU_DEP_2)
	v_mov_b64_e32 v[96:97], v[10:11]
	s_and_saveexec_b32 s40, s10
; %bb.5416:                             ;   in Loop: Header=BB2_5162 Depth=2
	v_bfe_u32 v34, v10, 20, 1
	s_delay_alu instid0(VALU_DEP_1) | instskip(NEXT) | instid1(VALU_DEP_1)
	v_add_nc_u64_e32 v[96:97], v[10:11], v[34:35]
	v_add_nc_u64_e32 v[96:97], -1, v[96:97]
; %bb.5417:                             ;   in Loop: Header=BB2_5162 Depth=2
	s_or_b32 exec_lo, exec_lo, s40
	v_add_nc_u32_e32 v11, 0xffffff81, v40
	v_lshrrev_b32_e32 v34, 23, v10
	s_mov_b32 s10, exec_lo
	s_delay_alu instid0(VALU_DEP_2) | instskip(NEXT) | instid1(VALU_DEP_1)
	v_cndmask_b32_e64 v11, v11, 0xffffff82, vcc_lo
	v_add3_u32 v97, v42, v11, v34
	v_and_b32_e32 v11, 0xfffff, v96
                                        ; implicit-def: $vgpr96
	s_delay_alu instid0(VALU_DEP_1) | instskip(NEXT) | instid1(VALU_DEP_1)
	v_dual_add_nc_u32 v40, 6, v97 :: v_dual_add_nc_u32 v34, v11, v10
                                        ; implicit-def: $vgpr10_vgpr11
	v_cmpx_ne_u32_e32 0, v40
	s_xor_b32 s10, exec_lo, s10
; %bb.5418:                             ;   in Loop: Header=BB2_5162 Depth=2
	s_delay_alu instid0(VALU_DEP_2) | instskip(SKIP_1) | instid1(VALU_DEP_1)
	v_cmp_lt_u64_e32 vcc_lo, 0xffffff, v[34:35]
	v_add_nc_u32_e32 v10, 7, v97
	v_cndmask_b32_e32 v96, v40, v10, vcc_lo
	v_cndmask_b32_e64 v10, 0, 1, vcc_lo
	s_delay_alu instid0(VALU_DEP_1)
	v_lshrrev_b64 v[10:11], v10, v[34:35]
; %bb.5419:                             ;   in Loop: Header=BB2_5162 Depth=2
	s_and_not1_saveexec_b32 s10, s10
; %bb.5420:                             ;   in Loop: Header=BB2_5162 Depth=2
	v_mov_b64_e32 v[10:11], v[34:35]
	v_bfe_u32 v96, v34, 23, 1
; %bb.5421:                             ;   in Loop: Header=BB2_5162 Depth=2
	s_or_b32 exec_lo, exec_lo, s10
	s_delay_alu instid0(VALU_DEP_2) | instskip(NEXT) | instid1(VALU_DEP_2)
	v_lshrrev_b64 v[10:11], 20, v[10:11]
	v_cmp_gt_i32_e32 vcc_lo, 16, v96
	v_min_i32_e32 v34, 15, v96
	v_cmp_eq_u32_e64 s10, 0, v96
	s_delay_alu instid0(VALU_DEP_2) | instskip(SKIP_1) | instid1(VALU_DEP_2)
	v_dual_cndmask_b32 v11, 0, v11 :: v_dual_lshlrev_b32 v34, 3, v34
	v_cndmask_b32_e32 v10, 7, v10, vcc_lo
	v_and_b32_e32 v34, 0xf8, v34
	s_delay_alu instid0(VALU_DEP_2) | instskip(NEXT) | instid1(VALU_DEP_2)
	v_cmp_eq_u64_e32 vcc_lo, 0, v[10:11]
	v_and_or_b32 v10, v10, 7, v34
	s_and_b32 s10, s10, vcc_lo
	s_delay_alu instid0(VALU_DEP_1) | instid1(SALU_CYCLE_1)
	v_cndmask_b32_e64 v10, v10, 0, s10
	s_delay_alu instid0(VALU_DEP_1)
	v_or_b32_e32 v40, v10, v41
.LBB2_5422:                             ;   in Loop: Header=BB2_5162 Depth=2
	s_or_b32 exec_lo, exec_lo, s29
                                        ; implicit-def: $vgpr41
.LBB2_5423:                             ;   in Loop: Header=BB2_5162 Depth=2
	s_and_not1_saveexec_b32 s10, s28
; %bb.5424:                             ;   in Loop: Header=BB2_5162 Depth=2
	v_or_b32_e32 v40, 0x7e, v41
; %bb.5425:                             ;   in Loop: Header=BB2_5162 Depth=2
	s_or_b32 exec_lo, exec_lo, s10
                                        ; implicit-def: $vgpr11
.LBB2_5426:                             ;   in Loop: Header=BB2_5162 Depth=2
	s_and_not1_saveexec_b32 s10, s27
; %bb.5427:                             ;   in Loop: Header=BB2_5162 Depth=2
	v_or_b32_e32 v40, 0x7f, v11
; %bb.5428:                             ;   in Loop: Header=BB2_5162 Depth=2
	s_or_b32 exec_lo, exec_lo, s10
	v_mov_b32_e32 v11, 0
	s_mov_b32 s10, exec_lo
	v_cmpx_lt_u32_e32 0xffffff, v12
	s_cbranch_execz .LBB2_5436
; %bb.5429:                             ;   in Loop: Header=BB2_5162 Depth=2
	v_lshrrev_b32_e32 v10, 24, v12
	v_bfrev_b32_e32 v11, 1
	s_mov_b32 s27, exec_lo
	s_delay_alu instid0(VALU_DEP_2)
	v_cmpx_ne_u32_e32 0x80, v10
	s_cbranch_execz .LBB2_5435
; %bb.5430:                             ;   in Loop: Header=BB2_5162 Depth=2
	v_bfe_u32 v96, v12, 24, 7
	v_mov_b32_e32 v11, 0x7f800001
	s_mov_b32 s28, exec_lo
	s_delay_alu instid0(VALU_DEP_2)
	v_cmpx_ne_u32_e32 0x7f, v96
	s_cbranch_execz .LBB2_5434
; %bb.5431:                             ;   in Loop: Header=BB2_5162 Depth=2
	v_dual_lshrrev_b32 v11, 3, v96 :: v_dual_bitop2_b32 v34, 7, v10 bitop3:0x40
	s_mov_b32 s29, exec_lo
	v_cmpx_gt_u32_e32 8, v96
; %bb.5432:                             ;   in Loop: Header=BB2_5162 Depth=2
	s_delay_alu instid0(VALU_DEP_2) | instskip(NEXT) | instid1(VALU_DEP_1)
	v_clz_i32_u32_e32 v11, v34
	v_min_u32_e32 v11, 32, v11
	s_delay_alu instid0(VALU_DEP_1) | instskip(NEXT) | instid1(VALU_DEP_1)
	v_subrev_nc_u32_e32 v96, 28, v11
	v_lshlrev_b64_e32 v[96:97], v96, v[34:35]
	s_delay_alu instid0(VALU_DEP_1)
	v_dual_sub_nc_u32 v11, 29, v11 :: v_dual_bitop2_b32 v34, 7, v96 bitop3:0x40
; %bb.5433:                             ;   in Loop: Header=BB2_5162 Depth=2
	s_or_b32 exec_lo, exec_lo, s29
	v_lshlrev_b32_e32 v10, 24, v10
	s_delay_alu instid0(VALU_DEP_2) | instskip(NEXT) | instid1(VALU_DEP_3)
	v_lshlrev_b32_e32 v34, 20, v34
	v_lshl_add_u32 v11, v11, 23, 0x3c000000
	s_delay_alu instid0(VALU_DEP_3) | instskip(NEXT) | instid1(VALU_DEP_1)
	v_and_b32_e32 v10, 0x80000000, v10
	v_or3_b32 v11, v34, v10, v11
.LBB2_5434:                             ;   in Loop: Header=BB2_5162 Depth=2
	s_or_b32 exec_lo, exec_lo, s28
.LBB2_5435:                             ;   in Loop: Header=BB2_5162 Depth=2
	s_delay_alu instid0(SALU_CYCLE_1)
	s_or_b32 exec_lo, exec_lo, s27
.LBB2_5436:                             ;   in Loop: Header=BB2_5162 Depth=2
	s_delay_alu instid0(SALU_CYCLE_1) | instskip(NEXT) | instid1(VALU_DEP_1)
	s_or_b32 exec_lo, exec_lo, s10
	v_mul_f32_e32 v10, s26, v11
                                        ; implicit-def: $vgpr41
	s_mov_b32 s10, exec_lo
	s_delay_alu instid0(VALU_DEP_1) | instskip(SKIP_1) | instid1(VALU_DEP_2)
	v_and_b32_e32 v34, 0x7f800000, v10
	v_lshrrev_b32_e32 v11, 24, v10
	v_cmpx_ne_u64_e32 0x7f800000, v[34:35]
	s_xor_b32 s27, exec_lo, s10
	s_cbranch_execz .LBB2_5450
; %bb.5437:                             ;   in Loop: Header=BB2_5162 Depth=2
	v_and_b32_e32 v34, 0x7fffffff, v10
	v_and_b32_e32 v42, 0x80, v11
                                        ; implicit-def: $vgpr41
	s_mov_b32 s10, exec_lo
	s_delay_alu instid0(VALU_DEP_2)
	v_cmpx_gt_u64_e32 0x43e00001, v[34:35]
	s_xor_b32 s28, exec_lo, s10
	s_cbranch_execz .LBB2_5447
; %bb.5438:                             ;   in Loop: Header=BB2_5162 Depth=2
	v_mov_b32_e32 v41, 0
	s_mov_b32 s29, exec_lo
	v_cmpx_ne_u32_e32 0, v10
	s_cbranch_execz .LBB2_5446
; %bb.5439:                             ;   in Loop: Header=BB2_5162 Depth=2
	v_bfe_u32 v41, v10, 23, 8
	v_and_b32_e32 v34, 0x7fffff, v10
	s_delay_alu instid0(VALU_DEP_2) | instskip(NEXT) | instid1(VALU_DEP_2)
	v_cmp_gt_u32_e32 vcc_lo, 0x7a, v41
	v_or_b32_e32 v96, 0x800000, v34
	v_sub_nc_u32_e32 v11, 0x79, v41
	s_delay_alu instid0(VALU_DEP_1) | instskip(SKIP_1) | instid1(VALU_DEP_2)
	v_cndmask_b32_e32 v11, 0, v11, vcc_lo
	v_cmp_eq_u32_e32 vcc_lo, 0, v41
	v_cndmask_b32_e64 v43, v11, 0x78, vcc_lo
	s_delay_alu instid0(VALU_DEP_1) | instskip(SKIP_1) | instid1(VALU_DEP_2)
	v_dual_cndmask_b32 v34, v96, v34, vcc_lo :: v_dual_add_nc_u32 v10, 20, v43
	v_add_nc_u32_e32 v97, 19, v43
	v_lshlrev_b64_e64 v[10:11], v10, -1
	s_delay_alu instid0(VALU_DEP_2) | instskip(NEXT) | instid1(VALU_DEP_2)
	v_lshlrev_b64_e64 v[96:97], v97, 1
	v_bfi_b32 v45, v11, 0, 0
	s_delay_alu instid0(VALU_DEP_3) | instskip(SKIP_1) | instid1(VALU_DEP_2)
	v_bfi_b32 v44, v10, 0, v34
	v_lshrrev_b64 v[10:11], v43, v[34:35]
	v_cmp_eq_u64_e64 s10, v[44:45], v[96:97]
	s_delay_alu instid0(VALU_DEP_2)
	v_mov_b64_e32 v[96:97], v[10:11]
	s_and_saveexec_b32 s40, s10
; %bb.5440:                             ;   in Loop: Header=BB2_5162 Depth=2
	v_bfe_u32 v34, v10, 20, 1
	s_delay_alu instid0(VALU_DEP_1) | instskip(NEXT) | instid1(VALU_DEP_1)
	v_add_nc_u64_e32 v[96:97], v[10:11], v[34:35]
	v_add_nc_u64_e32 v[96:97], -1, v[96:97]
; %bb.5441:                             ;   in Loop: Header=BB2_5162 Depth=2
	s_or_b32 exec_lo, exec_lo, s40
	v_add_nc_u32_e32 v11, 0xffffff81, v41
	v_lshrrev_b32_e32 v34, 23, v10
	s_mov_b32 s10, exec_lo
	s_delay_alu instid0(VALU_DEP_2) | instskip(NEXT) | instid1(VALU_DEP_1)
	v_cndmask_b32_e64 v11, v11, 0xffffff82, vcc_lo
	v_add3_u32 v97, v43, v11, v34
	v_and_b32_e32 v11, 0xfffff, v96
                                        ; implicit-def: $vgpr96
	s_delay_alu instid0(VALU_DEP_1) | instskip(NEXT) | instid1(VALU_DEP_1)
	v_dual_add_nc_u32 v41, 6, v97 :: v_dual_add_nc_u32 v34, v11, v10
                                        ; implicit-def: $vgpr10_vgpr11
	v_cmpx_ne_u32_e32 0, v41
	s_xor_b32 s10, exec_lo, s10
; %bb.5442:                             ;   in Loop: Header=BB2_5162 Depth=2
	s_delay_alu instid0(VALU_DEP_2) | instskip(SKIP_1) | instid1(VALU_DEP_1)
	v_cmp_lt_u64_e32 vcc_lo, 0xffffff, v[34:35]
	v_add_nc_u32_e32 v10, 7, v97
	v_cndmask_b32_e32 v96, v41, v10, vcc_lo
	v_cndmask_b32_e64 v10, 0, 1, vcc_lo
	s_delay_alu instid0(VALU_DEP_1)
	v_lshrrev_b64 v[10:11], v10, v[34:35]
; %bb.5443:                             ;   in Loop: Header=BB2_5162 Depth=2
	s_and_not1_saveexec_b32 s10, s10
; %bb.5444:                             ;   in Loop: Header=BB2_5162 Depth=2
	v_mov_b64_e32 v[10:11], v[34:35]
	v_bfe_u32 v96, v34, 23, 1
; %bb.5445:                             ;   in Loop: Header=BB2_5162 Depth=2
	s_or_b32 exec_lo, exec_lo, s10
	s_delay_alu instid0(VALU_DEP_2) | instskip(NEXT) | instid1(VALU_DEP_2)
	v_lshrrev_b64 v[10:11], 20, v[10:11]
	v_cmp_gt_i32_e32 vcc_lo, 16, v96
	v_min_i32_e32 v34, 15, v96
	v_cmp_eq_u32_e64 s10, 0, v96
	s_delay_alu instid0(VALU_DEP_2) | instskip(SKIP_1) | instid1(VALU_DEP_2)
	v_dual_cndmask_b32 v11, 0, v11 :: v_dual_lshlrev_b32 v34, 3, v34
	v_cndmask_b32_e32 v10, 7, v10, vcc_lo
	v_and_b32_e32 v34, 0xf8, v34
	s_delay_alu instid0(VALU_DEP_2) | instskip(NEXT) | instid1(VALU_DEP_2)
	v_cmp_eq_u64_e32 vcc_lo, 0, v[10:11]
	v_and_or_b32 v10, v10, 7, v34
	s_and_b32 s10, s10, vcc_lo
	s_delay_alu instid0(VALU_DEP_1) | instid1(SALU_CYCLE_1)
	v_cndmask_b32_e64 v10, v10, 0, s10
	s_delay_alu instid0(VALU_DEP_1)
	v_or_b32_e32 v41, v10, v42
.LBB2_5446:                             ;   in Loop: Header=BB2_5162 Depth=2
	s_or_b32 exec_lo, exec_lo, s29
                                        ; implicit-def: $vgpr42
.LBB2_5447:                             ;   in Loop: Header=BB2_5162 Depth=2
	s_and_not1_saveexec_b32 s10, s28
; %bb.5448:                             ;   in Loop: Header=BB2_5162 Depth=2
	v_or_b32_e32 v41, 0x7e, v42
; %bb.5449:                             ;   in Loop: Header=BB2_5162 Depth=2
	s_or_b32 exec_lo, exec_lo, s10
                                        ; implicit-def: $vgpr11
.LBB2_5450:                             ;   in Loop: Header=BB2_5162 Depth=2
	s_and_not1_saveexec_b32 s10, s27
; %bb.5451:                             ;   in Loop: Header=BB2_5162 Depth=2
	v_or_b32_e32 v41, 0x7f, v11
; %bb.5452:                             ;   in Loop: Header=BB2_5162 Depth=2
	s_or_b32 exec_lo, exec_lo, s10
	v_and_b32_e32 v11, 0xff, v13
	v_dual_mov_b32 v34, v13 :: v_dual_mov_b32 v10, 0
	s_mov_b32 s10, exec_lo
	s_delay_alu instid0(VALU_DEP_2)
	v_cmpx_ne_u16_e32 0, v11
	s_cbranch_execz .LBB2_5458
; %bb.5453:                             ;   in Loop: Header=BB2_5162 Depth=2
	v_bfrev_b32_e32 v10, 1
	s_mov_b32 s27, exec_lo
	v_cmpx_ne_u16_e32 0x80, v11
	s_cbranch_execz .LBB2_5457
; %bb.5454:                             ;   in Loop: Header=BB2_5162 Depth=2
	v_and_b32_e32 v11, 0x7f, v13
	v_mov_b32_e32 v10, 0x7f800001
	s_mov_b32 s28, exec_lo
	s_delay_alu instid0(VALU_DEP_2)
	v_cmpx_ne_u32_e32 0x7f, v11
	s_cbranch_execz .LBB2_5456
; %bb.5455:                             ;   in Loop: Header=BB2_5162 Depth=2
	v_dual_lshrrev_b32 v96, 3, v11 :: v_dual_bitop2_b32 v10, 7, v13 bitop3:0x40
	v_cmp_gt_u32_e32 vcc_lo, 8, v11
	s_delay_alu instid0(VALU_DEP_2) | instskip(NEXT) | instid1(VALU_DEP_1)
	v_clz_i32_u32_e32 v10, v10
	v_min_u32_e32 v10, 32, v10
	s_delay_alu instid0(VALU_DEP_1) | instskip(SKIP_1) | instid1(VALU_DEP_1)
	v_subrev_nc_u32_e32 v97, 28, v10
	v_sub_nc_u32_e32 v10, 29, v10
	v_dual_cndmask_b32 v96, v96, v10, vcc_lo :: v_dual_cndmask_b32 v10, 0, v97, vcc_lo
	s_delay_alu instid0(VALU_DEP_1) | instskip(NEXT) | instid1(VALU_DEP_2)
	v_lshl_add_u32 v96, v96, 23, 0x3c000000
	v_lshlrev_b64_e32 v[10:11], v10, v[34:35]
	v_lshlrev_b32_e32 v11, 24, v34
	s_delay_alu instid0(VALU_DEP_1) | instskip(NEXT) | instid1(VALU_DEP_3)
	v_and_b32_e32 v11, 0x80000000, v11
	v_lshlrev_b32_e32 v10, 20, v10
	s_delay_alu instid0(VALU_DEP_1) | instskip(NEXT) | instid1(VALU_DEP_1)
	v_and_b32_e32 v10, 0x700000, v10
	v_or3_b32 v10, v10, v11, v96
.LBB2_5456:                             ;   in Loop: Header=BB2_5162 Depth=2
	s_or_b32 exec_lo, exec_lo, s28
.LBB2_5457:                             ;   in Loop: Header=BB2_5162 Depth=2
	s_delay_alu instid0(SALU_CYCLE_1)
	s_or_b32 exec_lo, exec_lo, s27
.LBB2_5458:                             ;   in Loop: Header=BB2_5162 Depth=2
	s_delay_alu instid0(SALU_CYCLE_1) | instskip(NEXT) | instid1(VALU_DEP_1)
	s_or_b32 exec_lo, exec_lo, s10
	v_dual_mul_f32 v10, s26, v10 :: v_dual_mov_b32 v97, v35
                                        ; implicit-def: $vgpr42
	s_mov_b32 s10, exec_lo
	s_delay_alu instid0(VALU_DEP_1) | instskip(SKIP_1) | instid1(VALU_DEP_2)
	v_and_b32_e32 v96, 0x7f800000, v10
	v_lshrrev_b32_e32 v11, 24, v10
	v_cmpx_ne_u64_e32 0x7f800000, v[96:97]
	s_xor_b32 s27, exec_lo, s10
	s_cbranch_execz .LBB2_5472
; %bb.5459:                             ;   in Loop: Header=BB2_5162 Depth=2
	v_and_b32_e32 v96, 0x7fffffff, v10
	v_mov_b32_e32 v97, v35
	v_and_b32_e32 v43, 0x80, v11
                                        ; implicit-def: $vgpr42
	s_mov_b32 s10, exec_lo
	s_delay_alu instid0(VALU_DEP_2)
	v_cmpx_gt_u64_e32 0x43e00001, v[96:97]
	s_xor_b32 s28, exec_lo, s10
	s_cbranch_execz .LBB2_5469
; %bb.5460:                             ;   in Loop: Header=BB2_5162 Depth=2
	v_mov_b32_e32 v42, 0
	s_mov_b32 s29, exec_lo
	v_cmpx_ne_u32_e32 0, v10
	s_cbranch_execz .LBB2_5468
; %bb.5461:                             ;   in Loop: Header=BB2_5162 Depth=2
	v_bfe_u32 v42, v10, 23, 8
	v_and_b32_e32 v96, 0x7fffff, v10
	s_mov_b32 s40, exec_lo
	s_delay_alu instid0(VALU_DEP_2) | instskip(NEXT) | instid1(VALU_DEP_2)
	v_cmp_gt_u32_e32 vcc_lo, 0x7a, v42
	v_or_b32_e32 v97, 0x800000, v96
	v_sub_nc_u32_e32 v11, 0x79, v42
	s_delay_alu instid0(VALU_DEP_1) | instskip(SKIP_1) | instid1(VALU_DEP_2)
	v_cndmask_b32_e32 v11, 0, v11, vcc_lo
	v_cmp_eq_u32_e32 vcc_lo, 0, v42
	v_cndmask_b32_e64 v44, v11, 0x78, vcc_lo
	v_dual_cndmask_b32 v96, v97, v96 :: v_dual_mov_b32 v97, v35
	s_delay_alu instid0(VALU_DEP_2) | instskip(NEXT) | instid1(VALU_DEP_1)
	v_dual_add_nc_u32 v45, 19, v44 :: v_dual_add_nc_u32 v10, 20, v44
	v_lshlrev_b64_e64 v[46:47], v45, 1
	s_delay_alu instid0(VALU_DEP_2) | instskip(NEXT) | instid1(VALU_DEP_1)
	v_lshlrev_b64_e64 v[10:11], v10, -1
	v_bfi_b32 v57, v11, 0, 0
	s_delay_alu instid0(VALU_DEP_2) | instskip(SKIP_1) | instid1(VALU_DEP_1)
	v_bfi_b32 v56, v10, 0, v96
	v_lshrrev_b64 v[10:11], v44, v[96:97]
	v_mov_b64_e32 v[96:97], v[10:11]
	s_delay_alu instid0(VALU_DEP_3)
	v_cmpx_eq_u64_e64 v[56:57], v[46:47]
; %bb.5462:                             ;   in Loop: Header=BB2_5162 Depth=2
	v_bfe_u32 v96, v10, 20, 1
	v_mov_b32_e32 v97, v35
	s_delay_alu instid0(VALU_DEP_1) | instskip(NEXT) | instid1(VALU_DEP_1)
	v_add_nc_u64_e32 v[96:97], v[10:11], v[96:97]
	v_add_nc_u64_e32 v[96:97], -1, v[96:97]
; %bb.5463:                             ;   in Loop: Header=BB2_5162 Depth=2
	s_or_b32 exec_lo, exec_lo, s40
	v_add_nc_u32_e32 v11, 0xffffff81, v42
	v_lshrrev_b32_e32 v97, 23, v10
	s_mov_b32 s10, exec_lo
	s_delay_alu instid0(VALU_DEP_2) | instskip(NEXT) | instid1(VALU_DEP_1)
	v_cndmask_b32_e64 v11, v11, 0xffffff82, vcc_lo
	v_add3_u32 v97, v44, v11, v97
	v_and_b32_e32 v11, 0xfffff, v96
                                        ; implicit-def: $vgpr96
	s_delay_alu instid0(VALU_DEP_1) | instskip(SKIP_1) | instid1(VALU_DEP_2)
	v_dual_add_nc_u32 v42, 6, v97 :: v_dual_add_nc_u32 v10, v11, v10
	v_mov_b32_e32 v11, v35
	v_cmpx_ne_u32_e32 0, v42
	s_xor_b32 s10, exec_lo, s10
; %bb.5464:                             ;   in Loop: Header=BB2_5162 Depth=2
	s_delay_alu instid0(VALU_DEP_2) | instskip(SKIP_2) | instid1(VALU_DEP_2)
	v_cmp_lt_u64_e32 vcc_lo, 0xffffff, v[10:11]
	v_add_nc_u32_e32 v96, 7, v97
	v_cndmask_b32_e64 v97, 0, 1, vcc_lo
	v_cndmask_b32_e32 v96, v42, v96, vcc_lo
	s_delay_alu instid0(VALU_DEP_2)
	v_lshrrev_b64 v[10:11], v97, v[10:11]
; %bb.5465:                             ;   in Loop: Header=BB2_5162 Depth=2
	s_and_not1_saveexec_b32 s10, s10
; %bb.5466:                             ;   in Loop: Header=BB2_5162 Depth=2
	s_delay_alu instid0(VALU_DEP_1)
	v_bfe_u32 v96, v10, 23, 1
; %bb.5467:                             ;   in Loop: Header=BB2_5162 Depth=2
	s_or_b32 exec_lo, exec_lo, s10
	s_delay_alu instid0(VALU_DEP_2) | instskip(NEXT) | instid1(VALU_DEP_2)
	v_lshrrev_b64 v[10:11], 20, v[10:11]
	v_cmp_gt_i32_e32 vcc_lo, 16, v96
	v_min_i32_e32 v97, 15, v96
	v_cmp_eq_u32_e64 s10, 0, v96
	s_delay_alu instid0(VALU_DEP_2) | instskip(SKIP_1) | instid1(VALU_DEP_2)
	v_dual_cndmask_b32 v11, 0, v11, vcc_lo :: v_dual_lshlrev_b32 v97, 3, v97
	v_cndmask_b32_e32 v10, 7, v10, vcc_lo
	v_and_b32_e32 v97, 0xf8, v97
	s_delay_alu instid0(VALU_DEP_2) | instskip(NEXT) | instid1(VALU_DEP_2)
	v_cmp_eq_u64_e32 vcc_lo, 0, v[10:11]
	v_and_or_b32 v10, v10, 7, v97
	s_and_b32 s10, s10, vcc_lo
	s_delay_alu instid0(VALU_DEP_1) | instid1(SALU_CYCLE_1)
	v_cndmask_b32_e64 v10, v10, 0, s10
	s_delay_alu instid0(VALU_DEP_1)
	v_or_b32_e32 v42, v10, v43
.LBB2_5468:                             ;   in Loop: Header=BB2_5162 Depth=2
	s_or_b32 exec_lo, exec_lo, s29
                                        ; implicit-def: $vgpr43
.LBB2_5469:                             ;   in Loop: Header=BB2_5162 Depth=2
	s_and_not1_saveexec_b32 s10, s28
; %bb.5470:                             ;   in Loop: Header=BB2_5162 Depth=2
	v_or_b32_e32 v42, 0x7e, v43
; %bb.5471:                             ;   in Loop: Header=BB2_5162 Depth=2
	s_or_b32 exec_lo, exec_lo, s10
                                        ; implicit-def: $vgpr11
.LBB2_5472:                             ;   in Loop: Header=BB2_5162 Depth=2
	s_and_not1_saveexec_b32 s10, s27
; %bb.5473:                             ;   in Loop: Header=BB2_5162 Depth=2
	v_or_b32_e32 v42, 0x7f, v11
; %bb.5474:                             ;   in Loop: Header=BB2_5162 Depth=2
	s_or_b32 exec_lo, exec_lo, s10
	v_lshrrev_b16 v11, 8, v34
	v_mov_b32_e32 v10, 0
	s_mov_b32 s10, exec_lo
	s_delay_alu instid0(VALU_DEP_2)
	v_cmpx_ne_u16_e32 0, v11
	s_cbranch_execz .LBB2_5482
; %bb.5475:                             ;   in Loop: Header=BB2_5162 Depth=2
	v_bfrev_b32_e32 v10, 1
	s_mov_b32 s27, exec_lo
	v_cmpx_ne_u16_e32 0x80, v11
	s_cbranch_execz .LBB2_5481
; %bb.5476:                             ;   in Loop: Header=BB2_5162 Depth=2
	v_and_b32_e32 v11, 0xffff, v11
	v_mov_b32_e32 v10, 0x7f800001
	s_mov_b32 s28, exec_lo
	s_delay_alu instid0(VALU_DEP_2) | instskip(NEXT) | instid1(VALU_DEP_1)
	v_and_b32_e32 v97, 0x7f, v11
	v_cmpx_ne_u32_e32 0x7f, v97
	s_cbranch_execz .LBB2_5480
; %bb.5477:                             ;   in Loop: Header=BB2_5162 Depth=2
	v_dual_mov_b32 v11, v35 :: v_dual_bitop2_b32 v10, 7, v11 bitop3:0x40
	v_lshrrev_b32_e32 v96, 3, v97
	s_mov_b32 s29, exec_lo
	v_cmpx_gt_u32_e32 8, v97
; %bb.5478:                             ;   in Loop: Header=BB2_5162 Depth=2
	s_delay_alu instid0(VALU_DEP_3) | instskip(NEXT) | instid1(VALU_DEP_1)
	v_clz_i32_u32_e32 v96, v10
	v_min_u32_e32 v96, 32, v96
	s_delay_alu instid0(VALU_DEP_1) | instskip(NEXT) | instid1(VALU_DEP_1)
	v_subrev_nc_u32_e32 v97, 28, v96
	v_lshlrev_b64_e32 v[10:11], v97, v[10:11]
	s_delay_alu instid0(VALU_DEP_1)
	v_dual_sub_nc_u32 v96, 29, v96 :: v_dual_bitop2_b32 v10, 7, v10 bitop3:0x40
; %bb.5479:                             ;   in Loop: Header=BB2_5162 Depth=2
	s_or_b32 exec_lo, exec_lo, s29
	v_lshlrev_b32_e32 v11, 16, v34
	s_delay_alu instid0(VALU_DEP_2) | instskip(NEXT) | instid1(VALU_DEP_3)
	v_lshlrev_b32_e32 v10, 20, v10
	v_lshl_add_u32 v34, v96, 23, 0x3c000000
	s_delay_alu instid0(VALU_DEP_3) | instskip(NEXT) | instid1(VALU_DEP_1)
	v_and_b32_e32 v11, 0x80000000, v11
	v_or3_b32 v10, v10, v11, v34
.LBB2_5480:                             ;   in Loop: Header=BB2_5162 Depth=2
	s_or_b32 exec_lo, exec_lo, s28
.LBB2_5481:                             ;   in Loop: Header=BB2_5162 Depth=2
	s_delay_alu instid0(SALU_CYCLE_1)
	s_or_b32 exec_lo, exec_lo, s27
.LBB2_5482:                             ;   in Loop: Header=BB2_5162 Depth=2
	s_delay_alu instid0(SALU_CYCLE_1) | instskip(NEXT) | instid1(VALU_DEP_1)
	s_or_b32 exec_lo, exec_lo, s10
	v_mul_f32_e32 v10, s26, v10
                                        ; implicit-def: $vgpr43
	s_mov_b32 s10, exec_lo
	s_delay_alu instid0(VALU_DEP_1) | instskip(SKIP_1) | instid1(VALU_DEP_2)
	v_and_b32_e32 v34, 0x7f800000, v10
	v_lshrrev_b32_e32 v11, 24, v10
	v_cmpx_ne_u64_e32 0x7f800000, v[34:35]
	s_xor_b32 s27, exec_lo, s10
	s_cbranch_execz .LBB2_5496
; %bb.5483:                             ;   in Loop: Header=BB2_5162 Depth=2
	v_and_b32_e32 v34, 0x7fffffff, v10
	v_and_b32_e32 v44, 0x80, v11
                                        ; implicit-def: $vgpr43
	s_mov_b32 s10, exec_lo
	s_delay_alu instid0(VALU_DEP_2)
	v_cmpx_gt_u64_e32 0x43e00001, v[34:35]
	s_xor_b32 s28, exec_lo, s10
	s_cbranch_execz .LBB2_5493
; %bb.5484:                             ;   in Loop: Header=BB2_5162 Depth=2
	v_mov_b32_e32 v43, 0
	s_mov_b32 s29, exec_lo
	v_cmpx_ne_u32_e32 0, v10
	s_cbranch_execz .LBB2_5492
; %bb.5485:                             ;   in Loop: Header=BB2_5162 Depth=2
	v_bfe_u32 v43, v10, 23, 8
	v_and_b32_e32 v34, 0x7fffff, v10
	s_delay_alu instid0(VALU_DEP_2) | instskip(NEXT) | instid1(VALU_DEP_2)
	v_cmp_gt_u32_e32 vcc_lo, 0x7a, v43
	v_or_b32_e32 v96, 0x800000, v34
	v_sub_nc_u32_e32 v11, 0x79, v43
	s_delay_alu instid0(VALU_DEP_1) | instskip(SKIP_1) | instid1(VALU_DEP_2)
	v_cndmask_b32_e32 v11, 0, v11, vcc_lo
	v_cmp_eq_u32_e32 vcc_lo, 0, v43
	v_cndmask_b32_e64 v45, v11, 0x78, vcc_lo
	s_delay_alu instid0(VALU_DEP_1) | instskip(SKIP_1) | instid1(VALU_DEP_2)
	v_dual_cndmask_b32 v34, v96, v34, vcc_lo :: v_dual_add_nc_u32 v10, 20, v45
	v_add_nc_u32_e32 v97, 19, v45
	v_lshlrev_b64_e64 v[10:11], v10, -1
	s_delay_alu instid0(VALU_DEP_2) | instskip(NEXT) | instid1(VALU_DEP_2)
	v_lshlrev_b64_e64 v[96:97], v97, 1
	v_bfi_b32 v47, v11, 0, 0
	s_delay_alu instid0(VALU_DEP_3) | instskip(SKIP_1) | instid1(VALU_DEP_2)
	v_bfi_b32 v46, v10, 0, v34
	v_lshrrev_b64 v[10:11], v45, v[34:35]
	v_cmp_eq_u64_e64 s10, v[46:47], v[96:97]
	s_delay_alu instid0(VALU_DEP_2)
	v_mov_b64_e32 v[96:97], v[10:11]
	s_and_saveexec_b32 s40, s10
; %bb.5486:                             ;   in Loop: Header=BB2_5162 Depth=2
	v_bfe_u32 v34, v10, 20, 1
	s_delay_alu instid0(VALU_DEP_1) | instskip(NEXT) | instid1(VALU_DEP_1)
	v_add_nc_u64_e32 v[96:97], v[10:11], v[34:35]
	v_add_nc_u64_e32 v[96:97], -1, v[96:97]
; %bb.5487:                             ;   in Loop: Header=BB2_5162 Depth=2
	s_or_b32 exec_lo, exec_lo, s40
	v_add_nc_u32_e32 v11, 0xffffff81, v43
	v_lshrrev_b32_e32 v34, 23, v10
	s_mov_b32 s10, exec_lo
	s_delay_alu instid0(VALU_DEP_2) | instskip(NEXT) | instid1(VALU_DEP_1)
	v_cndmask_b32_e64 v11, v11, 0xffffff82, vcc_lo
	v_add3_u32 v97, v45, v11, v34
	v_and_b32_e32 v11, 0xfffff, v96
                                        ; implicit-def: $vgpr96
	s_delay_alu instid0(VALU_DEP_1) | instskip(NEXT) | instid1(VALU_DEP_1)
	v_dual_add_nc_u32 v43, 6, v97 :: v_dual_add_nc_u32 v34, v11, v10
                                        ; implicit-def: $vgpr10_vgpr11
	v_cmpx_ne_u32_e32 0, v43
	s_xor_b32 s10, exec_lo, s10
; %bb.5488:                             ;   in Loop: Header=BB2_5162 Depth=2
	s_delay_alu instid0(VALU_DEP_2) | instskip(SKIP_1) | instid1(VALU_DEP_1)
	v_cmp_lt_u64_e32 vcc_lo, 0xffffff, v[34:35]
	v_add_nc_u32_e32 v10, 7, v97
	v_cndmask_b32_e32 v96, v43, v10, vcc_lo
	v_cndmask_b32_e64 v10, 0, 1, vcc_lo
	s_delay_alu instid0(VALU_DEP_1)
	v_lshrrev_b64 v[10:11], v10, v[34:35]
; %bb.5489:                             ;   in Loop: Header=BB2_5162 Depth=2
	s_and_not1_saveexec_b32 s10, s10
; %bb.5490:                             ;   in Loop: Header=BB2_5162 Depth=2
	v_mov_b64_e32 v[10:11], v[34:35]
	v_bfe_u32 v96, v34, 23, 1
; %bb.5491:                             ;   in Loop: Header=BB2_5162 Depth=2
	s_or_b32 exec_lo, exec_lo, s10
	s_delay_alu instid0(VALU_DEP_2) | instskip(NEXT) | instid1(VALU_DEP_2)
	v_lshrrev_b64 v[10:11], 20, v[10:11]
	v_cmp_gt_i32_e32 vcc_lo, 16, v96
	v_min_i32_e32 v34, 15, v96
	v_cmp_eq_u32_e64 s10, 0, v96
	s_delay_alu instid0(VALU_DEP_2) | instskip(SKIP_1) | instid1(VALU_DEP_2)
	v_dual_cndmask_b32 v11, 0, v11 :: v_dual_lshlrev_b32 v34, 3, v34
	v_cndmask_b32_e32 v10, 7, v10, vcc_lo
	v_and_b32_e32 v34, 0xf8, v34
	s_delay_alu instid0(VALU_DEP_2) | instskip(NEXT) | instid1(VALU_DEP_2)
	v_cmp_eq_u64_e32 vcc_lo, 0, v[10:11]
	v_and_or_b32 v10, v10, 7, v34
	s_and_b32 s10, s10, vcc_lo
	s_delay_alu instid0(VALU_DEP_1) | instid1(SALU_CYCLE_1)
	v_cndmask_b32_e64 v10, v10, 0, s10
	s_delay_alu instid0(VALU_DEP_1)
	v_or_b32_e32 v43, v10, v44
.LBB2_5492:                             ;   in Loop: Header=BB2_5162 Depth=2
	s_or_b32 exec_lo, exec_lo, s29
                                        ; implicit-def: $vgpr44
.LBB2_5493:                             ;   in Loop: Header=BB2_5162 Depth=2
	s_and_not1_saveexec_b32 s10, s28
; %bb.5494:                             ;   in Loop: Header=BB2_5162 Depth=2
	v_or_b32_e32 v43, 0x7e, v44
; %bb.5495:                             ;   in Loop: Header=BB2_5162 Depth=2
	s_or_b32 exec_lo, exec_lo, s10
                                        ; implicit-def: $vgpr11
.LBB2_5496:                             ;   in Loop: Header=BB2_5162 Depth=2
	s_and_not1_saveexec_b32 s10, s27
; %bb.5497:                             ;   in Loop: Header=BB2_5162 Depth=2
	v_or_b32_e32 v43, 0x7f, v11
; %bb.5498:                             ;   in Loop: Header=BB2_5162 Depth=2
	s_or_b32 exec_lo, exec_lo, s10
	v_dual_mov_b32 v11, 0 :: v_dual_lshrrev_b32 v10, 16, v13
	s_mov_b32 s10, exec_lo
	s_delay_alu instid0(VALU_DEP_1) | instskip(NEXT) | instid1(VALU_DEP_1)
	v_and_b32_e32 v34, 0xff, v10
	v_cmpx_ne_u16_e32 0, v34
	s_cbranch_execz .LBB2_5506
; %bb.5499:                             ;   in Loop: Header=BB2_5162 Depth=2
	v_bfrev_b32_e32 v11, 1
	s_mov_b32 s27, exec_lo
	v_cmpx_ne_u16_e32 0x80, v34
	s_cbranch_execz .LBB2_5505
; %bb.5500:                             ;   in Loop: Header=BB2_5162 Depth=2
	v_bfe_u32 v96, v13, 16, 7
	v_mov_b32_e32 v11, 0x7f800001
	s_mov_b32 s28, exec_lo
	s_delay_alu instid0(VALU_DEP_2)
	v_cmpx_ne_u32_e32 0x7f, v96
	s_cbranch_execz .LBB2_5504
; %bb.5501:                             ;   in Loop: Header=BB2_5162 Depth=2
	v_dual_lshrrev_b32 v11, 3, v96 :: v_dual_bitop2_b32 v34, 7, v10 bitop3:0x40
	s_mov_b32 s29, exec_lo
	v_cmpx_gt_u32_e32 8, v96
; %bb.5502:                             ;   in Loop: Header=BB2_5162 Depth=2
	s_delay_alu instid0(VALU_DEP_2) | instskip(NEXT) | instid1(VALU_DEP_1)
	v_clz_i32_u32_e32 v11, v34
	v_min_u32_e32 v11, 32, v11
	s_delay_alu instid0(VALU_DEP_1) | instskip(NEXT) | instid1(VALU_DEP_1)
	v_subrev_nc_u32_e32 v96, 28, v11
	v_lshlrev_b64_e32 v[96:97], v96, v[34:35]
	s_delay_alu instid0(VALU_DEP_1)
	v_dual_sub_nc_u32 v11, 29, v11 :: v_dual_bitop2_b32 v34, 7, v96 bitop3:0x40
; %bb.5503:                             ;   in Loop: Header=BB2_5162 Depth=2
	s_or_b32 exec_lo, exec_lo, s29
	v_lshlrev_b32_e32 v10, 24, v10
	s_delay_alu instid0(VALU_DEP_2) | instskip(NEXT) | instid1(VALU_DEP_3)
	v_lshlrev_b32_e32 v34, 20, v34
	v_lshl_add_u32 v11, v11, 23, 0x3c000000
	s_delay_alu instid0(VALU_DEP_3) | instskip(NEXT) | instid1(VALU_DEP_1)
	v_and_b32_e32 v10, 0x80000000, v10
	v_or3_b32 v11, v34, v10, v11
.LBB2_5504:                             ;   in Loop: Header=BB2_5162 Depth=2
	s_or_b32 exec_lo, exec_lo, s28
.LBB2_5505:                             ;   in Loop: Header=BB2_5162 Depth=2
	s_delay_alu instid0(SALU_CYCLE_1)
	s_or_b32 exec_lo, exec_lo, s27
.LBB2_5506:                             ;   in Loop: Header=BB2_5162 Depth=2
	s_delay_alu instid0(SALU_CYCLE_1) | instskip(NEXT) | instid1(VALU_DEP_1)
	s_or_b32 exec_lo, exec_lo, s10
	v_mul_f32_e32 v10, s26, v11
                                        ; implicit-def: $vgpr44
	s_mov_b32 s10, exec_lo
	s_delay_alu instid0(VALU_DEP_1) | instskip(SKIP_1) | instid1(VALU_DEP_2)
	v_and_b32_e32 v34, 0x7f800000, v10
	v_lshrrev_b32_e32 v11, 24, v10
	v_cmpx_ne_u64_e32 0x7f800000, v[34:35]
	s_xor_b32 s27, exec_lo, s10
	s_cbranch_execz .LBB2_5520
; %bb.5507:                             ;   in Loop: Header=BB2_5162 Depth=2
	v_and_b32_e32 v34, 0x7fffffff, v10
	v_and_b32_e32 v45, 0x80, v11
                                        ; implicit-def: $vgpr44
	s_mov_b32 s10, exec_lo
	s_delay_alu instid0(VALU_DEP_2)
	v_cmpx_gt_u64_e32 0x43e00001, v[34:35]
	s_xor_b32 s28, exec_lo, s10
	s_cbranch_execz .LBB2_5517
; %bb.5508:                             ;   in Loop: Header=BB2_5162 Depth=2
	v_mov_b32_e32 v44, 0
	s_mov_b32 s29, exec_lo
	v_cmpx_ne_u32_e32 0, v10
	s_cbranch_execz .LBB2_5516
; %bb.5509:                             ;   in Loop: Header=BB2_5162 Depth=2
	v_bfe_u32 v44, v10, 23, 8
	v_and_b32_e32 v34, 0x7fffff, v10
	s_delay_alu instid0(VALU_DEP_2) | instskip(NEXT) | instid1(VALU_DEP_2)
	v_cmp_gt_u32_e32 vcc_lo, 0x7a, v44
	v_or_b32_e32 v96, 0x800000, v34
	v_sub_nc_u32_e32 v11, 0x79, v44
	s_delay_alu instid0(VALU_DEP_1) | instskip(SKIP_1) | instid1(VALU_DEP_2)
	v_cndmask_b32_e32 v11, 0, v11, vcc_lo
	v_cmp_eq_u32_e32 vcc_lo, 0, v44
	v_cndmask_b32_e64 v46, v11, 0x78, vcc_lo
	v_cndmask_b32_e32 v34, v96, v34, vcc_lo
	s_delay_alu instid0(VALU_DEP_2) | instskip(NEXT) | instid1(VALU_DEP_1)
	v_dual_add_nc_u32 v10, 20, v46 :: v_dual_add_nc_u32 v97, 19, v46
	v_lshlrev_b64_e64 v[10:11], v10, -1
	s_delay_alu instid0(VALU_DEP_2) | instskip(NEXT) | instid1(VALU_DEP_2)
	v_lshlrev_b64_e64 v[96:97], v97, 1
	v_bfi_b32 v57, v11, 0, 0
	s_delay_alu instid0(VALU_DEP_3) | instskip(SKIP_1) | instid1(VALU_DEP_2)
	v_bfi_b32 v56, v10, 0, v34
	v_lshrrev_b64 v[10:11], v46, v[34:35]
	v_cmp_eq_u64_e64 s10, v[56:57], v[96:97]
	s_delay_alu instid0(VALU_DEP_2)
	v_mov_b64_e32 v[96:97], v[10:11]
	s_and_saveexec_b32 s40, s10
; %bb.5510:                             ;   in Loop: Header=BB2_5162 Depth=2
	v_bfe_u32 v34, v10, 20, 1
	s_delay_alu instid0(VALU_DEP_1) | instskip(NEXT) | instid1(VALU_DEP_1)
	v_add_nc_u64_e32 v[96:97], v[10:11], v[34:35]
	v_add_nc_u64_e32 v[96:97], -1, v[96:97]
; %bb.5511:                             ;   in Loop: Header=BB2_5162 Depth=2
	s_or_b32 exec_lo, exec_lo, s40
	v_add_nc_u32_e32 v11, 0xffffff81, v44
	v_lshrrev_b32_e32 v34, 23, v10
	s_mov_b32 s10, exec_lo
	s_delay_alu instid0(VALU_DEP_2) | instskip(NEXT) | instid1(VALU_DEP_1)
	v_cndmask_b32_e64 v11, v11, 0xffffff82, vcc_lo
	v_add3_u32 v97, v46, v11, v34
	v_and_b32_e32 v11, 0xfffff, v96
                                        ; implicit-def: $vgpr96
	s_delay_alu instid0(VALU_DEP_1) | instskip(NEXT) | instid1(VALU_DEP_1)
	v_dual_add_nc_u32 v44, 6, v97 :: v_dual_add_nc_u32 v34, v11, v10
                                        ; implicit-def: $vgpr10_vgpr11
	v_cmpx_ne_u32_e32 0, v44
	s_xor_b32 s10, exec_lo, s10
; %bb.5512:                             ;   in Loop: Header=BB2_5162 Depth=2
	s_delay_alu instid0(VALU_DEP_2) | instskip(SKIP_1) | instid1(VALU_DEP_1)
	v_cmp_lt_u64_e32 vcc_lo, 0xffffff, v[34:35]
	v_add_nc_u32_e32 v10, 7, v97
	v_cndmask_b32_e32 v96, v44, v10, vcc_lo
	v_cndmask_b32_e64 v10, 0, 1, vcc_lo
	s_delay_alu instid0(VALU_DEP_1)
	v_lshrrev_b64 v[10:11], v10, v[34:35]
; %bb.5513:                             ;   in Loop: Header=BB2_5162 Depth=2
	s_and_not1_saveexec_b32 s10, s10
; %bb.5514:                             ;   in Loop: Header=BB2_5162 Depth=2
	v_mov_b64_e32 v[10:11], v[34:35]
	v_bfe_u32 v96, v34, 23, 1
; %bb.5515:                             ;   in Loop: Header=BB2_5162 Depth=2
	s_or_b32 exec_lo, exec_lo, s10
	s_delay_alu instid0(VALU_DEP_2) | instskip(NEXT) | instid1(VALU_DEP_2)
	v_lshrrev_b64 v[10:11], 20, v[10:11]
	v_cmp_gt_i32_e32 vcc_lo, 16, v96
	v_min_i32_e32 v34, 15, v96
	v_cmp_eq_u32_e64 s10, 0, v96
	s_delay_alu instid0(VALU_DEP_2) | instskip(SKIP_1) | instid1(VALU_DEP_2)
	v_dual_cndmask_b32 v11, 0, v11 :: v_dual_lshlrev_b32 v34, 3, v34
	v_cndmask_b32_e32 v10, 7, v10, vcc_lo
	v_and_b32_e32 v34, 0xf8, v34
	s_delay_alu instid0(VALU_DEP_2) | instskip(NEXT) | instid1(VALU_DEP_2)
	v_cmp_eq_u64_e32 vcc_lo, 0, v[10:11]
	v_and_or_b32 v10, v10, 7, v34
	s_and_b32 s10, s10, vcc_lo
	s_delay_alu instid0(VALU_DEP_1) | instid1(SALU_CYCLE_1)
	v_cndmask_b32_e64 v10, v10, 0, s10
	s_delay_alu instid0(VALU_DEP_1)
	v_or_b32_e32 v44, v10, v45
.LBB2_5516:                             ;   in Loop: Header=BB2_5162 Depth=2
	s_or_b32 exec_lo, exec_lo, s29
                                        ; implicit-def: $vgpr45
.LBB2_5517:                             ;   in Loop: Header=BB2_5162 Depth=2
	s_and_not1_saveexec_b32 s10, s28
; %bb.5518:                             ;   in Loop: Header=BB2_5162 Depth=2
	v_or_b32_e32 v44, 0x7e, v45
; %bb.5519:                             ;   in Loop: Header=BB2_5162 Depth=2
	s_or_b32 exec_lo, exec_lo, s10
                                        ; implicit-def: $vgpr11
.LBB2_5520:                             ;   in Loop: Header=BB2_5162 Depth=2
	s_and_not1_saveexec_b32 s10, s27
; %bb.5521:                             ;   in Loop: Header=BB2_5162 Depth=2
	v_or_b32_e32 v44, 0x7f, v11
; %bb.5522:                             ;   in Loop: Header=BB2_5162 Depth=2
	s_or_b32 exec_lo, exec_lo, s10
	v_mov_b32_e32 v11, 0
	s_mov_b32 s10, exec_lo
	v_cmpx_lt_u64_e64 s[12:13], v[12:13]
	s_cbranch_execz .LBB2_5530
; %bb.5523:                             ;   in Loop: Header=BB2_5162 Depth=2
	v_lshrrev_b32_e32 v10, 24, v13
	v_bfrev_b32_e32 v11, 1
	s_mov_b32 s27, exec_lo
	s_delay_alu instid0(VALU_DEP_2)
	v_cmpx_ne_u32_e32 0x80, v10
	s_cbranch_execz .LBB2_5529
; %bb.5524:                             ;   in Loop: Header=BB2_5162 Depth=2
	v_bfe_u32 v12, v13, 24, 7
	v_mov_b32_e32 v11, 0x7f800001
	s_mov_b32 s28, exec_lo
	s_delay_alu instid0(VALU_DEP_2)
	v_cmpx_ne_u32_e32 0x7f, v12
	s_cbranch_execz .LBB2_5528
; %bb.5525:                             ;   in Loop: Header=BB2_5162 Depth=2
	v_dual_lshrrev_b32 v11, 3, v12 :: v_dual_bitop2_b32 v34, 7, v10 bitop3:0x40
	s_mov_b32 s29, exec_lo
	v_cmpx_gt_u32_e32 8, v12
; %bb.5526:                             ;   in Loop: Header=BB2_5162 Depth=2
	s_delay_alu instid0(VALU_DEP_2) | instskip(NEXT) | instid1(VALU_DEP_1)
	v_clz_i32_u32_e32 v11, v34
	v_min_u32_e32 v11, 32, v11
	s_delay_alu instid0(VALU_DEP_1) | instskip(NEXT) | instid1(VALU_DEP_1)
	v_subrev_nc_u32_e32 v12, 28, v11
	v_lshlrev_b64_e32 v[12:13], v12, v[34:35]
	s_delay_alu instid0(VALU_DEP_1)
	v_dual_sub_nc_u32 v11, 29, v11 :: v_dual_bitop2_b32 v34, 7, v12 bitop3:0x40
; %bb.5527:                             ;   in Loop: Header=BB2_5162 Depth=2
	s_or_b32 exec_lo, exec_lo, s29
	v_lshlrev_b32_e32 v10, 24, v10
	s_delay_alu instid0(VALU_DEP_2) | instskip(NEXT) | instid1(VALU_DEP_3)
	v_lshlrev_b32_e32 v12, 20, v34
	v_lshl_add_u32 v11, v11, 23, 0x3c000000
	s_delay_alu instid0(VALU_DEP_3) | instskip(NEXT) | instid1(VALU_DEP_1)
	v_and_b32_e32 v10, 0x80000000, v10
	v_or3_b32 v11, v12, v10, v11
.LBB2_5528:                             ;   in Loop: Header=BB2_5162 Depth=2
	s_or_b32 exec_lo, exec_lo, s28
.LBB2_5529:                             ;   in Loop: Header=BB2_5162 Depth=2
	s_delay_alu instid0(SALU_CYCLE_1)
	s_or_b32 exec_lo, exec_lo, s27
.LBB2_5530:                             ;   in Loop: Header=BB2_5162 Depth=2
	s_delay_alu instid0(SALU_CYCLE_1) | instskip(NEXT) | instid1(VALU_DEP_1)
	s_or_b32 exec_lo, exec_lo, s10
	v_mul_f32_e32 v10, s26, v11
                                        ; implicit-def: $vgpr45
	s_mov_b32 s10, exec_lo
	s_delay_alu instid0(VALU_DEP_1) | instskip(SKIP_1) | instid1(VALU_DEP_2)
	v_and_b32_e32 v34, 0x7f800000, v10
	v_lshrrev_b32_e32 v11, 24, v10
	v_cmpx_ne_u64_e32 0x7f800000, v[34:35]
	s_xor_b32 s27, exec_lo, s10
	s_cbranch_execz .LBB2_5544
; %bb.5531:                             ;   in Loop: Header=BB2_5162 Depth=2
	v_and_b32_e32 v34, 0x7fffffff, v10
	v_and_b32_e32 v96, 0x80, v11
                                        ; implicit-def: $vgpr45
	s_mov_b32 s10, exec_lo
	s_delay_alu instid0(VALU_DEP_2)
	v_cmpx_gt_u64_e32 0x43e00001, v[34:35]
	s_xor_b32 s28, exec_lo, s10
	s_cbranch_execz .LBB2_5541
; %bb.5532:                             ;   in Loop: Header=BB2_5162 Depth=2
	v_mov_b32_e32 v45, 0
	s_mov_b32 s29, exec_lo
	v_cmpx_ne_u32_e32 0, v10
	s_cbranch_execz .LBB2_5540
; %bb.5533:                             ;   in Loop: Header=BB2_5162 Depth=2
	v_bfe_u32 v97, v10, 23, 8
	v_and_b32_e32 v12, 0x7fffff, v10
	s_delay_alu instid0(VALU_DEP_2) | instskip(NEXT) | instid1(VALU_DEP_2)
	v_cmp_gt_u32_e32 vcc_lo, 0x7a, v97
	v_or_b32_e32 v13, 0x800000, v12
	v_sub_nc_u32_e32 v11, 0x79, v97
	s_delay_alu instid0(VALU_DEP_1) | instskip(SKIP_1) | instid1(VALU_DEP_2)
	v_cndmask_b32_e32 v11, 0, v11, vcc_lo
	v_cmp_eq_u32_e32 vcc_lo, 0, v97
	v_cndmask_b32_e64 v45, v11, 0x78, vcc_lo
	s_delay_alu instid0(VALU_DEP_1) | instskip(SKIP_1) | instid1(VALU_DEP_2)
	v_dual_cndmask_b32 v34, v13, v12, vcc_lo :: v_dual_add_nc_u32 v10, 20, v45
	v_add_nc_u32_e32 v46, 19, v45
	v_lshlrev_b64_e64 v[10:11], v10, -1
	s_delay_alu instid0(VALU_DEP_2) | instskip(NEXT) | instid1(VALU_DEP_2)
	v_lshlrev_b64_e64 v[12:13], v46, 1
	v_bfi_b32 v47, v11, 0, 0
	s_delay_alu instid0(VALU_DEP_3) | instskip(SKIP_1) | instid1(VALU_DEP_2)
	v_bfi_b32 v46, v10, 0, v34
	v_lshrrev_b64 v[10:11], v45, v[34:35]
	v_cmp_eq_u64_e64 s10, v[46:47], v[12:13]
	s_delay_alu instid0(VALU_DEP_2)
	v_mov_b64_e32 v[12:13], v[10:11]
	s_and_saveexec_b32 s40, s10
; %bb.5534:                             ;   in Loop: Header=BB2_5162 Depth=2
	v_bfe_u32 v34, v10, 20, 1
	s_delay_alu instid0(VALU_DEP_1) | instskip(NEXT) | instid1(VALU_DEP_1)
	v_add_nc_u64_e32 v[12:13], v[10:11], v[34:35]
	v_add_nc_u64_e32 v[12:13], -1, v[12:13]
; %bb.5535:                             ;   in Loop: Header=BB2_5162 Depth=2
	s_or_b32 exec_lo, exec_lo, s40
	v_add_nc_u32_e32 v11, 0xffffff81, v97
	v_lshrrev_b32_e32 v13, 23, v10
	s_mov_b32 s10, exec_lo
	s_delay_alu instid0(VALU_DEP_2) | instskip(NEXT) | instid1(VALU_DEP_1)
	v_cndmask_b32_e64 v11, v11, 0xffffff82, vcc_lo
	v_add3_u32 v13, v45, v11, v13
	v_and_b32_e32 v11, 0xfffff, v12
                                        ; implicit-def: $vgpr12
	s_delay_alu instid0(VALU_DEP_1) | instskip(NEXT) | instid1(VALU_DEP_1)
	v_dual_add_nc_u32 v97, 6, v13 :: v_dual_add_nc_u32 v34, v11, v10
                                        ; implicit-def: $vgpr10_vgpr11
	v_cmpx_ne_u32_e32 0, v97
	s_xor_b32 s10, exec_lo, s10
; %bb.5536:                             ;   in Loop: Header=BB2_5162 Depth=2
	s_delay_alu instid0(VALU_DEP_2) | instskip(SKIP_1) | instid1(VALU_DEP_1)
	v_cmp_lt_u64_e32 vcc_lo, 0xffffff, v[34:35]
	v_add_nc_u32_e32 v10, 7, v13
	v_cndmask_b32_e32 v12, v97, v10, vcc_lo
	v_cndmask_b32_e64 v10, 0, 1, vcc_lo
	s_delay_alu instid0(VALU_DEP_1)
	v_lshrrev_b64 v[10:11], v10, v[34:35]
; %bb.5537:                             ;   in Loop: Header=BB2_5162 Depth=2
	s_and_not1_saveexec_b32 s10, s10
; %bb.5538:                             ;   in Loop: Header=BB2_5162 Depth=2
	v_mov_b64_e32 v[10:11], v[34:35]
	v_bfe_u32 v12, v34, 23, 1
; %bb.5539:                             ;   in Loop: Header=BB2_5162 Depth=2
	s_or_b32 exec_lo, exec_lo, s10
	s_delay_alu instid0(VALU_DEP_2) | instskip(NEXT) | instid1(VALU_DEP_2)
	v_lshrrev_b64 v[10:11], 20, v[10:11]
	v_cmp_gt_i32_e32 vcc_lo, 16, v12
	v_min_i32_e32 v13, 15, v12
	v_cmp_eq_u32_e64 s10, 0, v12
	s_delay_alu instid0(VALU_DEP_2) | instskip(SKIP_1) | instid1(VALU_DEP_2)
	v_dual_cndmask_b32 v11, 0, v11, vcc_lo :: v_dual_lshlrev_b32 v13, 3, v13
	v_cndmask_b32_e32 v10, 7, v10, vcc_lo
	v_and_b32_e32 v13, 0xf8, v13
	s_delay_alu instid0(VALU_DEP_2) | instskip(NEXT) | instid1(VALU_DEP_2)
	v_cmp_eq_u64_e32 vcc_lo, 0, v[10:11]
	v_and_or_b32 v10, v10, 7, v13
	s_and_b32 s10, s10, vcc_lo
	s_delay_alu instid0(VALU_DEP_1) | instid1(SALU_CYCLE_1)
	v_cndmask_b32_e64 v10, v10, 0, s10
	s_delay_alu instid0(VALU_DEP_1)
	v_or_b32_e32 v45, v10, v96
.LBB2_5540:                             ;   in Loop: Header=BB2_5162 Depth=2
	s_or_b32 exec_lo, exec_lo, s29
                                        ; implicit-def: $vgpr96
.LBB2_5541:                             ;   in Loop: Header=BB2_5162 Depth=2
	s_and_not1_saveexec_b32 s10, s28
; %bb.5542:                             ;   in Loop: Header=BB2_5162 Depth=2
	v_or_b32_e32 v45, 0x7e, v96
; %bb.5543:                             ;   in Loop: Header=BB2_5162 Depth=2
	s_or_b32 exec_lo, exec_lo, s10
                                        ; implicit-def: $vgpr11
.LBB2_5544:                             ;   in Loop: Header=BB2_5162 Depth=2
	s_and_not1_saveexec_b32 s10, s27
; %bb.5545:                             ;   in Loop: Header=BB2_5162 Depth=2
	v_or_b32_e32 v45, 0x7f, v11
; %bb.5546:                             ;   in Loop: Header=BB2_5162 Depth=2
	s_or_b32 exec_lo, exec_lo, s10
	global_load_b128 v[10:13], v[86:87], off offset:512 th:TH_LOAD_NT
	v_mov_b32_e32 v34, 0
	s_mov_b32 s10, exec_lo
	s_wait_loadcnt 0x0
	v_and_b32_e32 v86, 0xff, v10
	s_delay_alu instid0(VALU_DEP_1)
	v_cmpx_ne_u16_e32 0, v86
	s_cbranch_execz .LBB2_5552
; %bb.5547:                             ;   in Loop: Header=BB2_5162 Depth=2
	v_bfrev_b32_e32 v34, 1
	s_mov_b32 s27, exec_lo
	v_cmpx_ne_u16_e32 0x80, v86
	s_cbranch_execz .LBB2_5551
; %bb.5548:                             ;   in Loop: Header=BB2_5162 Depth=2
	v_and_b32_e32 v86, 0x7f, v10
	v_mov_b32_e32 v34, 0x7f800001
	s_mov_b32 s28, exec_lo
	s_delay_alu instid0(VALU_DEP_2)
	v_cmpx_ne_u32_e32 0x7f, v86
	s_cbranch_execz .LBB2_5550
; %bb.5549:                             ;   in Loop: Header=BB2_5162 Depth=2
	v_cmp_gt_u32_e32 vcc_lo, 8, v86
	v_and_b32_e32 v34, 7, v10
	v_lshrrev_b32_e32 v87, 3, v86
	s_delay_alu instid0(VALU_DEP_2) | instskip(NEXT) | instid1(VALU_DEP_1)
	v_clz_i32_u32_e32 v34, v34
	v_min_u32_e32 v34, 32, v34
	s_delay_alu instid0(VALU_DEP_1) | instskip(NEXT) | instid1(VALU_DEP_1)
	v_subrev_nc_u32_e32 v96, 28, v34
	v_dual_sub_nc_u32 v34, 29, v34 :: v_dual_cndmask_b32 v86, 0, v96, vcc_lo
	s_delay_alu instid0(VALU_DEP_1) | instskip(NEXT) | instid1(VALU_DEP_2)
	v_cndmask_b32_e32 v34, v87, v34, vcc_lo
	v_lshlrev_b64_e32 v[86:87], v86, v[10:11]
	v_lshlrev_b32_e32 v87, 24, v10
	s_delay_alu instid0(VALU_DEP_3) | instskip(NEXT) | instid1(VALU_DEP_2)
	v_lshl_add_u32 v34, v34, 23, 0x3c000000
	v_and_b32_e32 v87, 0x80000000, v87
	s_delay_alu instid0(VALU_DEP_4) | instskip(NEXT) | instid1(VALU_DEP_1)
	v_lshlrev_b32_e32 v86, 20, v86
	v_and_b32_e32 v86, 0x700000, v86
	s_delay_alu instid0(VALU_DEP_1)
	v_or3_b32 v34, v86, v87, v34
.LBB2_5550:                             ;   in Loop: Header=BB2_5162 Depth=2
	s_or_b32 exec_lo, exec_lo, s28
.LBB2_5551:                             ;   in Loop: Header=BB2_5162 Depth=2
	s_delay_alu instid0(SALU_CYCLE_1)
	s_or_b32 exec_lo, exec_lo, s27
.LBB2_5552:                             ;   in Loop: Header=BB2_5162 Depth=2
	s_delay_alu instid0(SALU_CYCLE_1) | instskip(NEXT) | instid1(VALU_DEP_1)
	s_or_b32 exec_lo, exec_lo, s10
	v_mul_f32_e32 v86, s26, v34
                                        ; implicit-def: $vgpr46
	s_mov_b32 s10, exec_lo
	s_delay_alu instid0(VALU_DEP_1) | instskip(SKIP_1) | instid1(VALU_DEP_2)
	v_and_b32_e32 v34, 0x7f800000, v86
	v_lshrrev_b32_e32 v87, 24, v86
	v_cmpx_ne_u64_e32 0x7f800000, v[34:35]
	s_xor_b32 s27, exec_lo, s10
	s_cbranch_execz .LBB2_5566
; %bb.5553:                             ;   in Loop: Header=BB2_5162 Depth=2
	v_and_b32_e32 v34, 0x7fffffff, v86
	v_and_b32_e32 v47, 0x80, v87
                                        ; implicit-def: $vgpr46
	s_mov_b32 s10, exec_lo
	s_delay_alu instid0(VALU_DEP_2)
	v_cmpx_gt_u64_e32 0x43e00001, v[34:35]
	s_xor_b32 s28, exec_lo, s10
	s_cbranch_execz .LBB2_5563
; %bb.5554:                             ;   in Loop: Header=BB2_5162 Depth=2
	v_mov_b32_e32 v46, 0
	s_mov_b32 s29, exec_lo
	v_cmpx_ne_u32_e32 0, v86
	s_cbranch_execz .LBB2_5562
; %bb.5555:                             ;   in Loop: Header=BB2_5162 Depth=2
	v_bfe_u32 v46, v86, 23, 8
	s_delay_alu instid0(VALU_DEP_1) | instskip(SKIP_1) | instid1(VALU_DEP_2)
	v_sub_nc_u32_e32 v34, 0x79, v46
	v_cmp_gt_u32_e32 vcc_lo, 0x7a, v46
	v_cndmask_b32_e32 v34, 0, v34, vcc_lo
	v_cmp_eq_u32_e32 vcc_lo, 0, v46
	s_delay_alu instid0(VALU_DEP_2) | instskip(SKIP_1) | instid1(VALU_DEP_2)
	v_cndmask_b32_e64 v56, v34, 0x78, vcc_lo
	v_and_b32_e32 v34, 0x7fffff, v86
	v_add_nc_u32_e32 v86, 20, v56
	s_delay_alu instid0(VALU_DEP_2) | instskip(SKIP_1) | instid1(VALU_DEP_3)
	v_or_b32_e32 v96, 0x800000, v34
	v_add_nc_u32_e32 v97, 19, v56
	v_lshlrev_b64_e64 v[86:87], v86, -1
	s_delay_alu instid0(VALU_DEP_3) | instskip(NEXT) | instid1(VALU_DEP_3)
	v_cndmask_b32_e32 v34, v96, v34, vcc_lo
	v_lshlrev_b64_e64 v[96:97], v97, 1
	s_delay_alu instid0(VALU_DEP_3) | instskip(NEXT) | instid1(VALU_DEP_3)
	v_bfi_b32 v59, v87, 0, 0
	v_bfi_b32 v58, v86, 0, v34
	v_lshrrev_b64 v[86:87], v56, v[34:35]
	s_delay_alu instid0(VALU_DEP_2) | instskip(NEXT) | instid1(VALU_DEP_2)
	v_cmp_eq_u64_e64 s10, v[58:59], v[96:97]
	v_mov_b64_e32 v[96:97], v[86:87]
	s_and_saveexec_b32 s40, s10
; %bb.5556:                             ;   in Loop: Header=BB2_5162 Depth=2
	v_bfe_u32 v34, v86, 20, 1
	s_delay_alu instid0(VALU_DEP_1) | instskip(NEXT) | instid1(VALU_DEP_1)
	v_add_nc_u64_e32 v[96:97], v[86:87], v[34:35]
	v_add_nc_u64_e32 v[96:97], -1, v[96:97]
; %bb.5557:                             ;   in Loop: Header=BB2_5162 Depth=2
	s_or_b32 exec_lo, exec_lo, s40
	v_add_nc_u32_e32 v34, 0xffffff81, v46
	v_lshrrev_b32_e32 v87, 23, v86
	s_mov_b32 s10, exec_lo
	s_delay_alu instid0(VALU_DEP_2) | instskip(NEXT) | instid1(VALU_DEP_1)
	v_cndmask_b32_e64 v34, v34, 0xffffff82, vcc_lo
	v_add3_u32 v97, v56, v34, v87
	v_and_b32_e32 v34, 0xfffff, v96
                                        ; implicit-def: $vgpr96
	s_delay_alu instid0(VALU_DEP_1) | instskip(NEXT) | instid1(VALU_DEP_1)
	v_dual_add_nc_u32 v46, 6, v97 :: v_dual_add_nc_u32 v34, v34, v86
                                        ; implicit-def: $vgpr86_vgpr87
	v_cmpx_ne_u32_e32 0, v46
	s_xor_b32 s10, exec_lo, s10
; %bb.5558:                             ;   in Loop: Header=BB2_5162 Depth=2
	s_delay_alu instid0(VALU_DEP_2) | instskip(SKIP_1) | instid1(VALU_DEP_1)
	v_cmp_lt_u64_e32 vcc_lo, 0xffffff, v[34:35]
	v_add_nc_u32_e32 v86, 7, v97
	v_cndmask_b32_e32 v96, v46, v86, vcc_lo
	v_cndmask_b32_e64 v86, 0, 1, vcc_lo
	s_delay_alu instid0(VALU_DEP_1)
	v_lshrrev_b64 v[86:87], v86, v[34:35]
; %bb.5559:                             ;   in Loop: Header=BB2_5162 Depth=2
	s_and_not1_saveexec_b32 s10, s10
; %bb.5560:                             ;   in Loop: Header=BB2_5162 Depth=2
	v_mov_b64_e32 v[86:87], v[34:35]
	v_bfe_u32 v96, v34, 23, 1
; %bb.5561:                             ;   in Loop: Header=BB2_5162 Depth=2
	s_or_b32 exec_lo, exec_lo, s10
	s_delay_alu instid0(VALU_DEP_2) | instskip(NEXT) | instid1(VALU_DEP_2)
	v_lshrrev_b64 v[86:87], 20, v[86:87]
	v_cmp_gt_i32_e32 vcc_lo, 16, v96
	v_min_i32_e32 v34, 15, v96
	v_cmp_eq_u32_e64 s10, 0, v96
	s_delay_alu instid0(VALU_DEP_2) | instskip(SKIP_1) | instid1(VALU_DEP_2)
	v_dual_cndmask_b32 v87, 0, v87 :: v_dual_lshlrev_b32 v34, 3, v34
	v_cndmask_b32_e32 v86, 7, v86, vcc_lo
	v_and_b32_e32 v34, 0xf8, v34
	s_delay_alu instid0(VALU_DEP_2) | instskip(NEXT) | instid1(VALU_DEP_2)
	v_cmp_eq_u64_e32 vcc_lo, 0, v[86:87]
	v_and_or_b32 v34, v86, 7, v34
	s_and_b32 s10, s10, vcc_lo
	s_delay_alu instid0(VALU_DEP_1) | instid1(SALU_CYCLE_1)
	v_cndmask_b32_e64 v34, v34, 0, s10
	s_delay_alu instid0(VALU_DEP_1)
	v_or_b32_e32 v46, v34, v47
.LBB2_5562:                             ;   in Loop: Header=BB2_5162 Depth=2
	s_or_b32 exec_lo, exec_lo, s29
                                        ; implicit-def: $vgpr47
.LBB2_5563:                             ;   in Loop: Header=BB2_5162 Depth=2
	s_and_not1_saveexec_b32 s10, s28
; %bb.5564:                             ;   in Loop: Header=BB2_5162 Depth=2
	v_or_b32_e32 v46, 0x7e, v47
; %bb.5565:                             ;   in Loop: Header=BB2_5162 Depth=2
	s_or_b32 exec_lo, exec_lo, s10
                                        ; implicit-def: $vgpr87
.LBB2_5566:                             ;   in Loop: Header=BB2_5162 Depth=2
	s_and_not1_saveexec_b32 s10, s27
; %bb.5567:                             ;   in Loop: Header=BB2_5162 Depth=2
	v_or_b32_e32 v46, 0x7f, v87
; %bb.5568:                             ;   in Loop: Header=BB2_5162 Depth=2
	s_or_b32 exec_lo, exec_lo, s10
	v_lshrrev_b16 v86, 8, v10
	v_mov_b32_e32 v34, 0
	s_mov_b32 s10, exec_lo
	s_delay_alu instid0(VALU_DEP_2)
	v_cmpx_ne_u16_e32 0, v86
	s_cbranch_execz .LBB2_5576
; %bb.5569:                             ;   in Loop: Header=BB2_5162 Depth=2
	v_bfrev_b32_e32 v34, 1
	s_mov_b32 s27, exec_lo
	v_cmpx_ne_u16_e32 0x80, v86
	s_cbranch_execz .LBB2_5575
; %bb.5570:                             ;   in Loop: Header=BB2_5162 Depth=2
	v_and_b32_e32 v86, 0xffff, v86
	v_mov_b32_e32 v34, 0x7f800001
	s_mov_b32 s28, exec_lo
	s_delay_alu instid0(VALU_DEP_2) | instskip(NEXT) | instid1(VALU_DEP_1)
	v_and_b32_e32 v87, 0x7f, v86
	v_cmpx_ne_u32_e32 0x7f, v87
	s_cbranch_execz .LBB2_5574
; %bb.5571:                             ;   in Loop: Header=BB2_5162 Depth=2
	v_dual_lshrrev_b32 v86, 3, v87 :: v_dual_bitop2_b32 v34, 7, v86 bitop3:0x40
	s_mov_b32 s29, exec_lo
	v_cmpx_gt_u32_e32 8, v87
; %bb.5572:                             ;   in Loop: Header=BB2_5162 Depth=2
	s_delay_alu instid0(VALU_DEP_2) | instskip(NEXT) | instid1(VALU_DEP_1)
	v_clz_i32_u32_e32 v86, v34
	v_min_u32_e32 v86, 32, v86
	s_delay_alu instid0(VALU_DEP_1) | instskip(NEXT) | instid1(VALU_DEP_1)
	v_subrev_nc_u32_e32 v87, 28, v86
	v_lshlrev_b64_e32 v[96:97], v87, v[34:35]
	s_delay_alu instid0(VALU_DEP_1)
	v_dual_sub_nc_u32 v86, 29, v86 :: v_dual_bitop2_b32 v34, 7, v96 bitop3:0x40
; %bb.5573:                             ;   in Loop: Header=BB2_5162 Depth=2
	s_or_b32 exec_lo, exec_lo, s29
	v_lshlrev_b32_e32 v87, 16, v10
	s_delay_alu instid0(VALU_DEP_2) | instskip(NEXT) | instid1(VALU_DEP_3)
	v_lshlrev_b32_e32 v34, 20, v34
	v_lshl_add_u32 v86, v86, 23, 0x3c000000
	s_delay_alu instid0(VALU_DEP_3) | instskip(NEXT) | instid1(VALU_DEP_1)
	v_and_b32_e32 v87, 0x80000000, v87
	v_or3_b32 v34, v34, v87, v86
.LBB2_5574:                             ;   in Loop: Header=BB2_5162 Depth=2
	s_or_b32 exec_lo, exec_lo, s28
.LBB2_5575:                             ;   in Loop: Header=BB2_5162 Depth=2
	s_delay_alu instid0(SALU_CYCLE_1)
	s_or_b32 exec_lo, exec_lo, s27
.LBB2_5576:                             ;   in Loop: Header=BB2_5162 Depth=2
	s_delay_alu instid0(SALU_CYCLE_1) | instskip(NEXT) | instid1(VALU_DEP_1)
	s_or_b32 exec_lo, exec_lo, s10
	v_mul_f32_e32 v86, s26, v34
                                        ; implicit-def: $vgpr47
	s_mov_b32 s10, exec_lo
	s_delay_alu instid0(VALU_DEP_1) | instskip(SKIP_1) | instid1(VALU_DEP_2)
	v_and_b32_e32 v34, 0x7f800000, v86
	v_lshrrev_b32_e32 v87, 24, v86
	v_cmpx_ne_u64_e32 0x7f800000, v[34:35]
	s_xor_b32 s27, exec_lo, s10
	s_cbranch_execz .LBB2_5590
; %bb.5577:                             ;   in Loop: Header=BB2_5162 Depth=2
	v_and_b32_e32 v34, 0x7fffffff, v86
	v_and_b32_e32 v56, 0x80, v87
                                        ; implicit-def: $vgpr47
	s_mov_b32 s10, exec_lo
	s_delay_alu instid0(VALU_DEP_2)
	v_cmpx_gt_u64_e32 0x43e00001, v[34:35]
	s_xor_b32 s28, exec_lo, s10
	s_cbranch_execz .LBB2_5587
; %bb.5578:                             ;   in Loop: Header=BB2_5162 Depth=2
	v_mov_b32_e32 v47, 0
	s_mov_b32 s29, exec_lo
	v_cmpx_ne_u32_e32 0, v86
	s_cbranch_execz .LBB2_5586
; %bb.5579:                             ;   in Loop: Header=BB2_5162 Depth=2
	v_bfe_u32 v47, v86, 23, 8
	s_delay_alu instid0(VALU_DEP_1) | instskip(SKIP_1) | instid1(VALU_DEP_2)
	v_sub_nc_u32_e32 v34, 0x79, v47
	v_cmp_gt_u32_e32 vcc_lo, 0x7a, v47
	v_cndmask_b32_e32 v34, 0, v34, vcc_lo
	v_cmp_eq_u32_e32 vcc_lo, 0, v47
	s_delay_alu instid0(VALU_DEP_2) | instskip(SKIP_1) | instid1(VALU_DEP_2)
	v_cndmask_b32_e64 v57, v34, 0x78, vcc_lo
	v_and_b32_e32 v34, 0x7fffff, v86
	v_add_nc_u32_e32 v86, 20, v57
	s_delay_alu instid0(VALU_DEP_2) | instskip(SKIP_1) | instid1(VALU_DEP_3)
	v_or_b32_e32 v96, 0x800000, v34
	v_add_nc_u32_e32 v97, 19, v57
	v_lshlrev_b64_e64 v[86:87], v86, -1
	s_delay_alu instid0(VALU_DEP_3) | instskip(NEXT) | instid1(VALU_DEP_3)
	v_cndmask_b32_e32 v34, v96, v34, vcc_lo
	v_lshlrev_b64_e64 v[96:97], v97, 1
	s_delay_alu instid0(VALU_DEP_3) | instskip(NEXT) | instid1(VALU_DEP_3)
	v_bfi_b32 v59, v87, 0, 0
	v_bfi_b32 v58, v86, 0, v34
	v_lshrrev_b64 v[86:87], v57, v[34:35]
	s_delay_alu instid0(VALU_DEP_2) | instskip(NEXT) | instid1(VALU_DEP_2)
	v_cmp_eq_u64_e64 s10, v[58:59], v[96:97]
	v_mov_b64_e32 v[96:97], v[86:87]
	s_and_saveexec_b32 s40, s10
; %bb.5580:                             ;   in Loop: Header=BB2_5162 Depth=2
	v_bfe_u32 v34, v86, 20, 1
	s_delay_alu instid0(VALU_DEP_1) | instskip(NEXT) | instid1(VALU_DEP_1)
	v_add_nc_u64_e32 v[96:97], v[86:87], v[34:35]
	v_add_nc_u64_e32 v[96:97], -1, v[96:97]
; %bb.5581:                             ;   in Loop: Header=BB2_5162 Depth=2
	s_or_b32 exec_lo, exec_lo, s40
	v_add_nc_u32_e32 v34, 0xffffff81, v47
	v_lshrrev_b32_e32 v87, 23, v86
	s_mov_b32 s10, exec_lo
	s_delay_alu instid0(VALU_DEP_2) | instskip(NEXT) | instid1(VALU_DEP_1)
	v_cndmask_b32_e64 v34, v34, 0xffffff82, vcc_lo
	v_add3_u32 v97, v57, v34, v87
	v_and_b32_e32 v34, 0xfffff, v96
                                        ; implicit-def: $vgpr96
	s_delay_alu instid0(VALU_DEP_1) | instskip(NEXT) | instid1(VALU_DEP_1)
	v_dual_add_nc_u32 v47, 6, v97 :: v_dual_add_nc_u32 v34, v34, v86
                                        ; implicit-def: $vgpr86_vgpr87
	v_cmpx_ne_u32_e32 0, v47
	s_xor_b32 s10, exec_lo, s10
; %bb.5582:                             ;   in Loop: Header=BB2_5162 Depth=2
	s_delay_alu instid0(VALU_DEP_2) | instskip(SKIP_1) | instid1(VALU_DEP_1)
	v_cmp_lt_u64_e32 vcc_lo, 0xffffff, v[34:35]
	v_add_nc_u32_e32 v86, 7, v97
	v_cndmask_b32_e32 v96, v47, v86, vcc_lo
	v_cndmask_b32_e64 v86, 0, 1, vcc_lo
	s_delay_alu instid0(VALU_DEP_1)
	v_lshrrev_b64 v[86:87], v86, v[34:35]
; %bb.5583:                             ;   in Loop: Header=BB2_5162 Depth=2
	s_and_not1_saveexec_b32 s10, s10
; %bb.5584:                             ;   in Loop: Header=BB2_5162 Depth=2
	v_mov_b64_e32 v[86:87], v[34:35]
	v_bfe_u32 v96, v34, 23, 1
; %bb.5585:                             ;   in Loop: Header=BB2_5162 Depth=2
	s_or_b32 exec_lo, exec_lo, s10
	s_delay_alu instid0(VALU_DEP_2) | instskip(NEXT) | instid1(VALU_DEP_2)
	v_lshrrev_b64 v[86:87], 20, v[86:87]
	v_cmp_gt_i32_e32 vcc_lo, 16, v96
	v_min_i32_e32 v34, 15, v96
	v_cmp_eq_u32_e64 s10, 0, v96
	s_delay_alu instid0(VALU_DEP_2) | instskip(SKIP_1) | instid1(VALU_DEP_2)
	v_dual_cndmask_b32 v87, 0, v87 :: v_dual_lshlrev_b32 v34, 3, v34
	v_cndmask_b32_e32 v86, 7, v86, vcc_lo
	v_and_b32_e32 v34, 0xf8, v34
	s_delay_alu instid0(VALU_DEP_2) | instskip(NEXT) | instid1(VALU_DEP_2)
	v_cmp_eq_u64_e32 vcc_lo, 0, v[86:87]
	v_and_or_b32 v34, v86, 7, v34
	s_and_b32 s10, s10, vcc_lo
	s_delay_alu instid0(VALU_DEP_1) | instid1(SALU_CYCLE_1)
	v_cndmask_b32_e64 v34, v34, 0, s10
	s_delay_alu instid0(VALU_DEP_1)
	v_or_b32_e32 v47, v34, v56
.LBB2_5586:                             ;   in Loop: Header=BB2_5162 Depth=2
	s_or_b32 exec_lo, exec_lo, s29
                                        ; implicit-def: $vgpr56
.LBB2_5587:                             ;   in Loop: Header=BB2_5162 Depth=2
	s_and_not1_saveexec_b32 s10, s28
; %bb.5588:                             ;   in Loop: Header=BB2_5162 Depth=2
	v_or_b32_e32 v47, 0x7e, v56
; %bb.5589:                             ;   in Loop: Header=BB2_5162 Depth=2
	s_or_b32 exec_lo, exec_lo, s10
                                        ; implicit-def: $vgpr87
.LBB2_5590:                             ;   in Loop: Header=BB2_5162 Depth=2
	s_and_not1_saveexec_b32 s10, s27
; %bb.5591:                             ;   in Loop: Header=BB2_5162 Depth=2
	v_or_b32_e32 v47, 0x7f, v87
; %bb.5592:                             ;   in Loop: Header=BB2_5162 Depth=2
	s_or_b32 exec_lo, exec_lo, s10
	v_dual_lshrrev_b32 v86, 16, v10 :: v_dual_mov_b32 v34, 0
	s_mov_b32 s10, exec_lo
	s_delay_alu instid0(VALU_DEP_1) | instskip(NEXT) | instid1(VALU_DEP_1)
	v_and_b32_e32 v87, 0xff, v86
	v_cmpx_ne_u16_e32 0, v87
	s_cbranch_execz .LBB2_5600
; %bb.5593:                             ;   in Loop: Header=BB2_5162 Depth=2
	v_bfrev_b32_e32 v34, 1
	s_mov_b32 s27, exec_lo
	v_cmpx_ne_u16_e32 0x80, v87
	s_cbranch_execz .LBB2_5599
; %bb.5594:                             ;   in Loop: Header=BB2_5162 Depth=2
	v_bfe_u32 v96, v10, 16, 7
	v_mov_b32_e32 v34, 0x7f800001
	s_mov_b32 s28, exec_lo
	s_delay_alu instid0(VALU_DEP_2)
	v_cmpx_ne_u32_e32 0x7f, v96
	s_cbranch_execz .LBB2_5598
; %bb.5595:                             ;   in Loop: Header=BB2_5162 Depth=2
	v_dual_lshrrev_b32 v87, 3, v96 :: v_dual_bitop2_b32 v34, 7, v86 bitop3:0x40
	s_mov_b32 s29, exec_lo
	v_cmpx_gt_u32_e32 8, v96
; %bb.5596:                             ;   in Loop: Header=BB2_5162 Depth=2
	s_delay_alu instid0(VALU_DEP_2) | instskip(NEXT) | instid1(VALU_DEP_1)
	v_clz_i32_u32_e32 v87, v34
	v_min_u32_e32 v87, 32, v87
	s_delay_alu instid0(VALU_DEP_1) | instskip(NEXT) | instid1(VALU_DEP_1)
	v_subrev_nc_u32_e32 v96, 28, v87
	v_lshlrev_b64_e32 v[96:97], v96, v[34:35]
	s_delay_alu instid0(VALU_DEP_1)
	v_dual_sub_nc_u32 v87, 29, v87 :: v_dual_bitop2_b32 v34, 7, v96 bitop3:0x40
; %bb.5597:                             ;   in Loop: Header=BB2_5162 Depth=2
	s_or_b32 exec_lo, exec_lo, s29
	v_lshlrev_b32_e32 v86, 24, v86
	s_delay_alu instid0(VALU_DEP_2) | instskip(NEXT) | instid1(VALU_DEP_3)
	v_lshlrev_b32_e32 v34, 20, v34
	v_lshl_add_u32 v87, v87, 23, 0x3c000000
	s_delay_alu instid0(VALU_DEP_3) | instskip(NEXT) | instid1(VALU_DEP_1)
	v_and_b32_e32 v86, 0x80000000, v86
	v_or3_b32 v34, v34, v86, v87
.LBB2_5598:                             ;   in Loop: Header=BB2_5162 Depth=2
	s_or_b32 exec_lo, exec_lo, s28
.LBB2_5599:                             ;   in Loop: Header=BB2_5162 Depth=2
	s_delay_alu instid0(SALU_CYCLE_1)
	s_or_b32 exec_lo, exec_lo, s27
.LBB2_5600:                             ;   in Loop: Header=BB2_5162 Depth=2
	s_delay_alu instid0(SALU_CYCLE_1) | instskip(NEXT) | instid1(VALU_DEP_1)
	s_or_b32 exec_lo, exec_lo, s10
	v_mul_f32_e32 v86, s26, v34
                                        ; implicit-def: $vgpr56
	s_mov_b32 s10, exec_lo
	s_delay_alu instid0(VALU_DEP_1) | instskip(SKIP_1) | instid1(VALU_DEP_2)
	v_and_b32_e32 v34, 0x7f800000, v86
	v_lshrrev_b32_e32 v87, 24, v86
	v_cmpx_ne_u64_e32 0x7f800000, v[34:35]
	s_xor_b32 s27, exec_lo, s10
	s_cbranch_execz .LBB2_5614
; %bb.5601:                             ;   in Loop: Header=BB2_5162 Depth=2
	v_and_b32_e32 v34, 0x7fffffff, v86
	v_and_b32_e32 v57, 0x80, v87
                                        ; implicit-def: $vgpr56
	s_mov_b32 s10, exec_lo
	s_delay_alu instid0(VALU_DEP_2)
	v_cmpx_gt_u64_e32 0x43e00001, v[34:35]
	s_xor_b32 s28, exec_lo, s10
	s_cbranch_execz .LBB2_5611
; %bb.5602:                             ;   in Loop: Header=BB2_5162 Depth=2
	v_mov_b32_e32 v56, 0
	s_mov_b32 s29, exec_lo
	v_cmpx_ne_u32_e32 0, v86
	s_cbranch_execz .LBB2_5610
; %bb.5603:                             ;   in Loop: Header=BB2_5162 Depth=2
	v_bfe_u32 v56, v86, 23, 8
	s_delay_alu instid0(VALU_DEP_1) | instskip(SKIP_1) | instid1(VALU_DEP_2)
	v_sub_nc_u32_e32 v34, 0x79, v56
	v_cmp_gt_u32_e32 vcc_lo, 0x7a, v56
	v_cndmask_b32_e32 v34, 0, v34, vcc_lo
	v_cmp_eq_u32_e32 vcc_lo, 0, v56
	s_delay_alu instid0(VALU_DEP_2) | instskip(SKIP_1) | instid1(VALU_DEP_2)
	v_cndmask_b32_e64 v58, v34, 0x78, vcc_lo
	v_and_b32_e32 v34, 0x7fffff, v86
	v_dual_add_nc_u32 v86, 20, v58 :: v_dual_add_nc_u32 v97, 19, v58
	s_delay_alu instid0(VALU_DEP_2) | instskip(NEXT) | instid1(VALU_DEP_2)
	v_or_b32_e32 v96, 0x800000, v34
	v_lshlrev_b64_e64 v[86:87], v86, -1
	s_delay_alu instid0(VALU_DEP_2) | instskip(NEXT) | instid1(VALU_DEP_4)
	v_cndmask_b32_e32 v34, v96, v34, vcc_lo
	v_lshlrev_b64_e64 v[96:97], v97, 1
	s_delay_alu instid0(VALU_DEP_3) | instskip(NEXT) | instid1(VALU_DEP_3)
	v_bfi_b32 v61, v87, 0, 0
	v_bfi_b32 v60, v86, 0, v34
	v_lshrrev_b64 v[86:87], v58, v[34:35]
	s_delay_alu instid0(VALU_DEP_2) | instskip(NEXT) | instid1(VALU_DEP_2)
	v_cmp_eq_u64_e64 s10, v[60:61], v[96:97]
	v_mov_b64_e32 v[96:97], v[86:87]
	s_and_saveexec_b32 s40, s10
; %bb.5604:                             ;   in Loop: Header=BB2_5162 Depth=2
	v_bfe_u32 v34, v86, 20, 1
	s_delay_alu instid0(VALU_DEP_1) | instskip(NEXT) | instid1(VALU_DEP_1)
	v_add_nc_u64_e32 v[96:97], v[86:87], v[34:35]
	v_add_nc_u64_e32 v[96:97], -1, v[96:97]
; %bb.5605:                             ;   in Loop: Header=BB2_5162 Depth=2
	s_or_b32 exec_lo, exec_lo, s40
	v_add_nc_u32_e32 v34, 0xffffff81, v56
	v_lshrrev_b32_e32 v87, 23, v86
	s_mov_b32 s10, exec_lo
	s_delay_alu instid0(VALU_DEP_2) | instskip(NEXT) | instid1(VALU_DEP_1)
	v_cndmask_b32_e64 v34, v34, 0xffffff82, vcc_lo
	v_add3_u32 v97, v58, v34, v87
	v_and_b32_e32 v34, 0xfffff, v96
                                        ; implicit-def: $vgpr96
	s_delay_alu instid0(VALU_DEP_1) | instskip(NEXT) | instid1(VALU_DEP_1)
	v_dual_add_nc_u32 v56, 6, v97 :: v_dual_add_nc_u32 v34, v34, v86
                                        ; implicit-def: $vgpr86_vgpr87
	v_cmpx_ne_u32_e32 0, v56
	s_xor_b32 s10, exec_lo, s10
; %bb.5606:                             ;   in Loop: Header=BB2_5162 Depth=2
	s_delay_alu instid0(VALU_DEP_2) | instskip(SKIP_1) | instid1(VALU_DEP_1)
	v_cmp_lt_u64_e32 vcc_lo, 0xffffff, v[34:35]
	v_add_nc_u32_e32 v86, 7, v97
	v_cndmask_b32_e32 v96, v56, v86, vcc_lo
	v_cndmask_b32_e64 v86, 0, 1, vcc_lo
	s_delay_alu instid0(VALU_DEP_1)
	v_lshrrev_b64 v[86:87], v86, v[34:35]
; %bb.5607:                             ;   in Loop: Header=BB2_5162 Depth=2
	s_and_not1_saveexec_b32 s10, s10
; %bb.5608:                             ;   in Loop: Header=BB2_5162 Depth=2
	v_mov_b64_e32 v[86:87], v[34:35]
	v_bfe_u32 v96, v34, 23, 1
; %bb.5609:                             ;   in Loop: Header=BB2_5162 Depth=2
	s_or_b32 exec_lo, exec_lo, s10
	s_delay_alu instid0(VALU_DEP_2) | instskip(NEXT) | instid1(VALU_DEP_2)
	v_lshrrev_b64 v[86:87], 20, v[86:87]
	v_cmp_gt_i32_e32 vcc_lo, 16, v96
	v_min_i32_e32 v34, 15, v96
	v_cmp_eq_u32_e64 s10, 0, v96
	s_delay_alu instid0(VALU_DEP_2) | instskip(SKIP_1) | instid1(VALU_DEP_2)
	v_dual_cndmask_b32 v87, 0, v87 :: v_dual_lshlrev_b32 v34, 3, v34
	v_cndmask_b32_e32 v86, 7, v86, vcc_lo
	v_and_b32_e32 v34, 0xf8, v34
	s_delay_alu instid0(VALU_DEP_2) | instskip(NEXT) | instid1(VALU_DEP_2)
	v_cmp_eq_u64_e32 vcc_lo, 0, v[86:87]
	v_and_or_b32 v34, v86, 7, v34
	s_and_b32 s10, s10, vcc_lo
	s_delay_alu instid0(VALU_DEP_1) | instid1(SALU_CYCLE_1)
	v_cndmask_b32_e64 v34, v34, 0, s10
	s_delay_alu instid0(VALU_DEP_1)
	v_or_b32_e32 v56, v34, v57
.LBB2_5610:                             ;   in Loop: Header=BB2_5162 Depth=2
	s_or_b32 exec_lo, exec_lo, s29
                                        ; implicit-def: $vgpr57
.LBB2_5611:                             ;   in Loop: Header=BB2_5162 Depth=2
	s_and_not1_saveexec_b32 s10, s28
; %bb.5612:                             ;   in Loop: Header=BB2_5162 Depth=2
	v_or_b32_e32 v56, 0x7e, v57
; %bb.5613:                             ;   in Loop: Header=BB2_5162 Depth=2
	s_or_b32 exec_lo, exec_lo, s10
                                        ; implicit-def: $vgpr87
.LBB2_5614:                             ;   in Loop: Header=BB2_5162 Depth=2
	s_and_not1_saveexec_b32 s10, s27
; %bb.5615:                             ;   in Loop: Header=BB2_5162 Depth=2
	v_or_b32_e32 v56, 0x7f, v87
; %bb.5616:                             ;   in Loop: Header=BB2_5162 Depth=2
	s_or_b32 exec_lo, exec_lo, s10
	v_mov_b32_e32 v34, 0
	s_mov_b32 s10, exec_lo
	v_cmpx_lt_u32_e32 0xffffff, v10
	s_cbranch_execz .LBB2_5624
; %bb.5617:                             ;   in Loop: Header=BB2_5162 Depth=2
	v_lshrrev_b32_e32 v86, 24, v10
	v_bfrev_b32_e32 v34, 1
	s_mov_b32 s27, exec_lo
	s_delay_alu instid0(VALU_DEP_2)
	v_cmpx_ne_u32_e32 0x80, v86
	s_cbranch_execz .LBB2_5623
; %bb.5618:                             ;   in Loop: Header=BB2_5162 Depth=2
	v_bfe_u32 v96, v10, 24, 7
	v_mov_b32_e32 v34, 0x7f800001
	s_mov_b32 s28, exec_lo
	s_delay_alu instid0(VALU_DEP_2)
	v_cmpx_ne_u32_e32 0x7f, v96
	s_cbranch_execz .LBB2_5622
; %bb.5619:                             ;   in Loop: Header=BB2_5162 Depth=2
	v_dual_lshrrev_b32 v87, 3, v96 :: v_dual_bitop2_b32 v34, 7, v86 bitop3:0x40
	s_mov_b32 s29, exec_lo
	v_cmpx_gt_u32_e32 8, v96
; %bb.5620:                             ;   in Loop: Header=BB2_5162 Depth=2
	s_delay_alu instid0(VALU_DEP_2) | instskip(NEXT) | instid1(VALU_DEP_1)
	v_clz_i32_u32_e32 v87, v34
	v_min_u32_e32 v87, 32, v87
	s_delay_alu instid0(VALU_DEP_1) | instskip(NEXT) | instid1(VALU_DEP_1)
	v_subrev_nc_u32_e32 v96, 28, v87
	v_lshlrev_b64_e32 v[96:97], v96, v[34:35]
	s_delay_alu instid0(VALU_DEP_1)
	v_dual_sub_nc_u32 v87, 29, v87 :: v_dual_bitop2_b32 v34, 7, v96 bitop3:0x40
; %bb.5621:                             ;   in Loop: Header=BB2_5162 Depth=2
	s_or_b32 exec_lo, exec_lo, s29
	v_lshlrev_b32_e32 v86, 24, v86
	s_delay_alu instid0(VALU_DEP_2) | instskip(NEXT) | instid1(VALU_DEP_3)
	v_lshlrev_b32_e32 v34, 20, v34
	v_lshl_add_u32 v87, v87, 23, 0x3c000000
	s_delay_alu instid0(VALU_DEP_3) | instskip(NEXT) | instid1(VALU_DEP_1)
	v_and_b32_e32 v86, 0x80000000, v86
	v_or3_b32 v34, v34, v86, v87
.LBB2_5622:                             ;   in Loop: Header=BB2_5162 Depth=2
	s_or_b32 exec_lo, exec_lo, s28
.LBB2_5623:                             ;   in Loop: Header=BB2_5162 Depth=2
	s_delay_alu instid0(SALU_CYCLE_1)
	s_or_b32 exec_lo, exec_lo, s27
.LBB2_5624:                             ;   in Loop: Header=BB2_5162 Depth=2
	s_delay_alu instid0(SALU_CYCLE_1) | instskip(NEXT) | instid1(VALU_DEP_1)
	s_or_b32 exec_lo, exec_lo, s10
	v_mul_f32_e32 v86, s26, v34
                                        ; implicit-def: $vgpr57
	s_mov_b32 s10, exec_lo
	s_delay_alu instid0(VALU_DEP_1) | instskip(SKIP_1) | instid1(VALU_DEP_2)
	v_and_b32_e32 v34, 0x7f800000, v86
	v_lshrrev_b32_e32 v87, 24, v86
	v_cmpx_ne_u64_e32 0x7f800000, v[34:35]
	s_xor_b32 s27, exec_lo, s10
	s_cbranch_execz .LBB2_5638
; %bb.5625:                             ;   in Loop: Header=BB2_5162 Depth=2
	v_and_b32_e32 v34, 0x7fffffff, v86
	v_and_b32_e32 v58, 0x80, v87
                                        ; implicit-def: $vgpr57
	s_mov_b32 s10, exec_lo
	s_delay_alu instid0(VALU_DEP_2)
	v_cmpx_gt_u64_e32 0x43e00001, v[34:35]
	s_xor_b32 s28, exec_lo, s10
	s_cbranch_execz .LBB2_5635
; %bb.5626:                             ;   in Loop: Header=BB2_5162 Depth=2
	v_mov_b32_e32 v57, 0
	s_mov_b32 s29, exec_lo
	v_cmpx_ne_u32_e32 0, v86
	s_cbranch_execz .LBB2_5634
; %bb.5627:                             ;   in Loop: Header=BB2_5162 Depth=2
	v_bfe_u32 v57, v86, 23, 8
	s_delay_alu instid0(VALU_DEP_1) | instskip(SKIP_1) | instid1(VALU_DEP_2)
	v_sub_nc_u32_e32 v34, 0x79, v57
	v_cmp_gt_u32_e32 vcc_lo, 0x7a, v57
	v_cndmask_b32_e32 v34, 0, v34, vcc_lo
	v_cmp_eq_u32_e32 vcc_lo, 0, v57
	s_delay_alu instid0(VALU_DEP_2) | instskip(SKIP_1) | instid1(VALU_DEP_2)
	v_cndmask_b32_e64 v59, v34, 0x78, vcc_lo
	v_and_b32_e32 v34, 0x7fffff, v86
	v_add_nc_u32_e32 v86, 20, v59
	s_delay_alu instid0(VALU_DEP_2) | instskip(SKIP_1) | instid1(VALU_DEP_3)
	v_or_b32_e32 v96, 0x800000, v34
	v_add_nc_u32_e32 v97, 19, v59
	v_lshlrev_b64_e64 v[86:87], v86, -1
	s_delay_alu instid0(VALU_DEP_3) | instskip(NEXT) | instid1(VALU_DEP_3)
	v_cndmask_b32_e32 v34, v96, v34, vcc_lo
	v_lshlrev_b64_e64 v[96:97], v97, 1
	s_delay_alu instid0(VALU_DEP_3) | instskip(NEXT) | instid1(VALU_DEP_3)
	v_bfi_b32 v61, v87, 0, 0
	v_bfi_b32 v60, v86, 0, v34
	v_lshrrev_b64 v[86:87], v59, v[34:35]
	s_delay_alu instid0(VALU_DEP_2) | instskip(NEXT) | instid1(VALU_DEP_2)
	v_cmp_eq_u64_e64 s10, v[60:61], v[96:97]
	v_mov_b64_e32 v[96:97], v[86:87]
	s_and_saveexec_b32 s40, s10
; %bb.5628:                             ;   in Loop: Header=BB2_5162 Depth=2
	v_bfe_u32 v34, v86, 20, 1
	s_delay_alu instid0(VALU_DEP_1) | instskip(NEXT) | instid1(VALU_DEP_1)
	v_add_nc_u64_e32 v[96:97], v[86:87], v[34:35]
	v_add_nc_u64_e32 v[96:97], -1, v[96:97]
; %bb.5629:                             ;   in Loop: Header=BB2_5162 Depth=2
	s_or_b32 exec_lo, exec_lo, s40
	v_add_nc_u32_e32 v34, 0xffffff81, v57
	v_lshrrev_b32_e32 v87, 23, v86
	s_mov_b32 s10, exec_lo
	s_delay_alu instid0(VALU_DEP_2) | instskip(NEXT) | instid1(VALU_DEP_1)
	v_cndmask_b32_e64 v34, v34, 0xffffff82, vcc_lo
	v_add3_u32 v97, v59, v34, v87
	v_and_b32_e32 v34, 0xfffff, v96
                                        ; implicit-def: $vgpr96
	s_delay_alu instid0(VALU_DEP_1) | instskip(NEXT) | instid1(VALU_DEP_1)
	v_dual_add_nc_u32 v57, 6, v97 :: v_dual_add_nc_u32 v34, v34, v86
                                        ; implicit-def: $vgpr86_vgpr87
	v_cmpx_ne_u32_e32 0, v57
	s_xor_b32 s10, exec_lo, s10
; %bb.5630:                             ;   in Loop: Header=BB2_5162 Depth=2
	s_delay_alu instid0(VALU_DEP_2) | instskip(SKIP_1) | instid1(VALU_DEP_1)
	v_cmp_lt_u64_e32 vcc_lo, 0xffffff, v[34:35]
	v_add_nc_u32_e32 v86, 7, v97
	v_cndmask_b32_e32 v96, v57, v86, vcc_lo
	v_cndmask_b32_e64 v86, 0, 1, vcc_lo
	s_delay_alu instid0(VALU_DEP_1)
	v_lshrrev_b64 v[86:87], v86, v[34:35]
; %bb.5631:                             ;   in Loop: Header=BB2_5162 Depth=2
	s_and_not1_saveexec_b32 s10, s10
; %bb.5632:                             ;   in Loop: Header=BB2_5162 Depth=2
	v_mov_b64_e32 v[86:87], v[34:35]
	v_bfe_u32 v96, v34, 23, 1
; %bb.5633:                             ;   in Loop: Header=BB2_5162 Depth=2
	s_or_b32 exec_lo, exec_lo, s10
	s_delay_alu instid0(VALU_DEP_2) | instskip(NEXT) | instid1(VALU_DEP_2)
	v_lshrrev_b64 v[86:87], 20, v[86:87]
	v_cmp_gt_i32_e32 vcc_lo, 16, v96
	v_min_i32_e32 v34, 15, v96
	v_cmp_eq_u32_e64 s10, 0, v96
	s_delay_alu instid0(VALU_DEP_2) | instskip(SKIP_1) | instid1(VALU_DEP_2)
	v_dual_cndmask_b32 v87, 0, v87 :: v_dual_lshlrev_b32 v34, 3, v34
	v_cndmask_b32_e32 v86, 7, v86, vcc_lo
	v_and_b32_e32 v34, 0xf8, v34
	s_delay_alu instid0(VALU_DEP_2) | instskip(NEXT) | instid1(VALU_DEP_2)
	v_cmp_eq_u64_e32 vcc_lo, 0, v[86:87]
	v_and_or_b32 v34, v86, 7, v34
	s_and_b32 s10, s10, vcc_lo
	s_delay_alu instid0(VALU_DEP_1) | instid1(SALU_CYCLE_1)
	v_cndmask_b32_e64 v34, v34, 0, s10
	s_delay_alu instid0(VALU_DEP_1)
	v_or_b32_e32 v57, v34, v58
.LBB2_5634:                             ;   in Loop: Header=BB2_5162 Depth=2
	s_or_b32 exec_lo, exec_lo, s29
                                        ; implicit-def: $vgpr58
.LBB2_5635:                             ;   in Loop: Header=BB2_5162 Depth=2
	s_and_not1_saveexec_b32 s10, s28
; %bb.5636:                             ;   in Loop: Header=BB2_5162 Depth=2
	v_or_b32_e32 v57, 0x7e, v58
; %bb.5637:                             ;   in Loop: Header=BB2_5162 Depth=2
	s_or_b32 exec_lo, exec_lo, s10
                                        ; implicit-def: $vgpr87
.LBB2_5638:                             ;   in Loop: Header=BB2_5162 Depth=2
	s_and_not1_saveexec_b32 s10, s27
; %bb.5639:                             ;   in Loop: Header=BB2_5162 Depth=2
	v_or_b32_e32 v57, 0x7f, v87
; %bb.5640:                             ;   in Loop: Header=BB2_5162 Depth=2
	s_or_b32 exec_lo, exec_lo, s10
	v_and_b32_e32 v87, 0xff, v11
	v_dual_mov_b32 v34, v11 :: v_dual_mov_b32 v86, 0
	s_mov_b32 s10, exec_lo
	s_delay_alu instid0(VALU_DEP_2)
	v_cmpx_ne_u16_e32 0, v87
	s_cbranch_execz .LBB2_5646
; %bb.5641:                             ;   in Loop: Header=BB2_5162 Depth=2
	v_bfrev_b32_e32 v86, 1
	s_mov_b32 s27, exec_lo
	v_cmpx_ne_u16_e32 0x80, v87
	s_cbranch_execz .LBB2_5645
; %bb.5642:                             ;   in Loop: Header=BB2_5162 Depth=2
	v_and_b32_e32 v87, 0x7f, v11
	v_mov_b32_e32 v86, 0x7f800001
	s_mov_b32 s28, exec_lo
	s_delay_alu instid0(VALU_DEP_2)
	v_cmpx_ne_u32_e32 0x7f, v87
	s_cbranch_execz .LBB2_5644
; %bb.5643:                             ;   in Loop: Header=BB2_5162 Depth=2
	v_and_b32_e32 v86, 7, v11
	v_cmp_gt_u32_e32 vcc_lo, 8, v87
	s_delay_alu instid0(VALU_DEP_2) | instskip(NEXT) | instid1(VALU_DEP_1)
	v_clz_i32_u32_e32 v86, v86
	v_min_u32_e32 v86, 32, v86
	v_lshrrev_b32_e32 v96, 3, v87
	s_delay_alu instid0(VALU_DEP_2) | instskip(SKIP_1) | instid1(VALU_DEP_1)
	v_subrev_nc_u32_e32 v97, 28, v86
	v_sub_nc_u32_e32 v86, 29, v86
	v_dual_cndmask_b32 v96, v96, v86, vcc_lo :: v_dual_cndmask_b32 v86, 0, v97, vcc_lo
	s_delay_alu instid0(VALU_DEP_1) | instskip(NEXT) | instid1(VALU_DEP_2)
	v_lshl_add_u32 v96, v96, 23, 0x3c000000
	v_lshlrev_b64_e32 v[86:87], v86, v[34:35]
	v_lshlrev_b32_e32 v87, 24, v34
	s_delay_alu instid0(VALU_DEP_1) | instskip(NEXT) | instid1(VALU_DEP_3)
	v_and_b32_e32 v87, 0x80000000, v87
	v_lshlrev_b32_e32 v86, 20, v86
	s_delay_alu instid0(VALU_DEP_1) | instskip(NEXT) | instid1(VALU_DEP_1)
	v_and_b32_e32 v86, 0x700000, v86
	v_or3_b32 v86, v86, v87, v96
.LBB2_5644:                             ;   in Loop: Header=BB2_5162 Depth=2
	s_or_b32 exec_lo, exec_lo, s28
.LBB2_5645:                             ;   in Loop: Header=BB2_5162 Depth=2
	s_delay_alu instid0(SALU_CYCLE_1)
	s_or_b32 exec_lo, exec_lo, s27
.LBB2_5646:                             ;   in Loop: Header=BB2_5162 Depth=2
	s_delay_alu instid0(SALU_CYCLE_1) | instskip(NEXT) | instid1(VALU_DEP_1)
	s_or_b32 exec_lo, exec_lo, s10
	v_dual_mul_f32 v86, s26, v86 :: v_dual_mov_b32 v97, v35
                                        ; implicit-def: $vgpr58
	s_mov_b32 s10, exec_lo
	s_delay_alu instid0(VALU_DEP_1) | instskip(SKIP_1) | instid1(VALU_DEP_2)
	v_and_b32_e32 v96, 0x7f800000, v86
	v_lshrrev_b32_e32 v87, 24, v86
	v_cmpx_ne_u64_e32 0x7f800000, v[96:97]
	s_xor_b32 s27, exec_lo, s10
	s_cbranch_execz .LBB2_5660
; %bb.5647:                             ;   in Loop: Header=BB2_5162 Depth=2
	v_and_b32_e32 v96, 0x7fffffff, v86
	v_mov_b32_e32 v97, v35
	v_and_b32_e32 v59, 0x80, v87
                                        ; implicit-def: $vgpr58
	s_mov_b32 s10, exec_lo
	s_delay_alu instid0(VALU_DEP_2)
	v_cmpx_gt_u64_e32 0x43e00001, v[96:97]
	s_xor_b32 s28, exec_lo, s10
	s_cbranch_execz .LBB2_5657
; %bb.5648:                             ;   in Loop: Header=BB2_5162 Depth=2
	v_mov_b32_e32 v58, 0
	s_mov_b32 s29, exec_lo
	v_cmpx_ne_u32_e32 0, v86
	s_cbranch_execz .LBB2_5656
; %bb.5649:                             ;   in Loop: Header=BB2_5162 Depth=2
	v_bfe_u32 v58, v86, 23, 8
	v_and_b32_e32 v96, 0x7fffff, v86
	s_mov_b32 s40, exec_lo
	s_delay_alu instid0(VALU_DEP_2) | instskip(NEXT) | instid1(VALU_DEP_2)
	v_cmp_gt_u32_e32 vcc_lo, 0x7a, v58
	v_or_b32_e32 v97, 0x800000, v96
	v_sub_nc_u32_e32 v87, 0x79, v58
	s_delay_alu instid0(VALU_DEP_1) | instskip(SKIP_1) | instid1(VALU_DEP_2)
	v_cndmask_b32_e32 v87, 0, v87, vcc_lo
	v_cmp_eq_u32_e32 vcc_lo, 0, v58
	v_cndmask_b32_e64 v60, v87, 0x78, vcc_lo
	v_dual_cndmask_b32 v96, v97, v96 :: v_dual_mov_b32 v97, v35
	s_delay_alu instid0(VALU_DEP_2) | instskip(NEXT) | instid1(VALU_DEP_1)
	v_dual_add_nc_u32 v61, 19, v60 :: v_dual_add_nc_u32 v86, 20, v60
	v_lshlrev_b64_e64 v[62:63], v61, 1
	s_delay_alu instid0(VALU_DEP_2) | instskip(NEXT) | instid1(VALU_DEP_1)
	v_lshlrev_b64_e64 v[86:87], v86, -1
	v_bfi_b32 v73, v87, 0, 0
	s_delay_alu instid0(VALU_DEP_2) | instskip(SKIP_1) | instid1(VALU_DEP_1)
	v_bfi_b32 v72, v86, 0, v96
	v_lshrrev_b64 v[86:87], v60, v[96:97]
	v_mov_b64_e32 v[96:97], v[86:87]
	s_delay_alu instid0(VALU_DEP_3)
	v_cmpx_eq_u64_e64 v[72:73], v[62:63]
; %bb.5650:                             ;   in Loop: Header=BB2_5162 Depth=2
	v_bfe_u32 v96, v86, 20, 1
	v_mov_b32_e32 v97, v35
	s_delay_alu instid0(VALU_DEP_1) | instskip(NEXT) | instid1(VALU_DEP_1)
	v_add_nc_u64_e32 v[96:97], v[86:87], v[96:97]
	v_add_nc_u64_e32 v[96:97], -1, v[96:97]
; %bb.5651:                             ;   in Loop: Header=BB2_5162 Depth=2
	s_or_b32 exec_lo, exec_lo, s40
	v_add_nc_u32_e32 v87, 0xffffff81, v58
	v_lshrrev_b32_e32 v97, 23, v86
	s_mov_b32 s10, exec_lo
	s_delay_alu instid0(VALU_DEP_2) | instskip(NEXT) | instid1(VALU_DEP_1)
	v_cndmask_b32_e64 v87, v87, 0xffffff82, vcc_lo
	v_add3_u32 v97, v60, v87, v97
	v_and_b32_e32 v87, 0xfffff, v96
                                        ; implicit-def: $vgpr96
	s_delay_alu instid0(VALU_DEP_1) | instskip(SKIP_1) | instid1(VALU_DEP_2)
	v_dual_add_nc_u32 v58, 6, v97 :: v_dual_add_nc_u32 v86, v87, v86
	v_mov_b32_e32 v87, v35
	v_cmpx_ne_u32_e32 0, v58
	s_xor_b32 s10, exec_lo, s10
; %bb.5652:                             ;   in Loop: Header=BB2_5162 Depth=2
	s_delay_alu instid0(VALU_DEP_2) | instskip(SKIP_2) | instid1(VALU_DEP_2)
	v_cmp_lt_u64_e32 vcc_lo, 0xffffff, v[86:87]
	v_add_nc_u32_e32 v96, 7, v97
	v_cndmask_b32_e64 v97, 0, 1, vcc_lo
	v_cndmask_b32_e32 v96, v58, v96, vcc_lo
	s_delay_alu instid0(VALU_DEP_2)
	v_lshrrev_b64 v[86:87], v97, v[86:87]
; %bb.5653:                             ;   in Loop: Header=BB2_5162 Depth=2
	s_and_not1_saveexec_b32 s10, s10
; %bb.5654:                             ;   in Loop: Header=BB2_5162 Depth=2
	s_delay_alu instid0(VALU_DEP_1)
	v_bfe_u32 v96, v86, 23, 1
; %bb.5655:                             ;   in Loop: Header=BB2_5162 Depth=2
	s_or_b32 exec_lo, exec_lo, s10
	s_delay_alu instid0(VALU_DEP_2) | instskip(NEXT) | instid1(VALU_DEP_2)
	v_lshrrev_b64 v[86:87], 20, v[86:87]
	v_cmp_gt_i32_e32 vcc_lo, 16, v96
	v_min_i32_e32 v97, 15, v96
	v_cmp_eq_u32_e64 s10, 0, v96
	s_delay_alu instid0(VALU_DEP_2) | instskip(SKIP_1) | instid1(VALU_DEP_2)
	v_dual_cndmask_b32 v87, 0, v87, vcc_lo :: v_dual_lshlrev_b32 v97, 3, v97
	v_cndmask_b32_e32 v86, 7, v86, vcc_lo
	v_and_b32_e32 v97, 0xf8, v97
	s_delay_alu instid0(VALU_DEP_2) | instskip(NEXT) | instid1(VALU_DEP_2)
	v_cmp_eq_u64_e32 vcc_lo, 0, v[86:87]
	v_and_or_b32 v86, v86, 7, v97
	s_and_b32 s10, s10, vcc_lo
	s_delay_alu instid0(VALU_DEP_1) | instid1(SALU_CYCLE_1)
	v_cndmask_b32_e64 v86, v86, 0, s10
	s_delay_alu instid0(VALU_DEP_1)
	v_or_b32_e32 v58, v86, v59
.LBB2_5656:                             ;   in Loop: Header=BB2_5162 Depth=2
	s_or_b32 exec_lo, exec_lo, s29
                                        ; implicit-def: $vgpr59
.LBB2_5657:                             ;   in Loop: Header=BB2_5162 Depth=2
	s_and_not1_saveexec_b32 s10, s28
; %bb.5658:                             ;   in Loop: Header=BB2_5162 Depth=2
	v_or_b32_e32 v58, 0x7e, v59
; %bb.5659:                             ;   in Loop: Header=BB2_5162 Depth=2
	s_or_b32 exec_lo, exec_lo, s10
                                        ; implicit-def: $vgpr87
.LBB2_5660:                             ;   in Loop: Header=BB2_5162 Depth=2
	s_and_not1_saveexec_b32 s10, s27
; %bb.5661:                             ;   in Loop: Header=BB2_5162 Depth=2
	v_or_b32_e32 v58, 0x7f, v87
; %bb.5662:                             ;   in Loop: Header=BB2_5162 Depth=2
	s_or_b32 exec_lo, exec_lo, s10
	v_lshrrev_b16 v87, 8, v34
	v_mov_b32_e32 v86, 0
	s_mov_b32 s10, exec_lo
	s_delay_alu instid0(VALU_DEP_2)
	v_cmpx_ne_u16_e32 0, v87
	s_cbranch_execz .LBB2_5670
; %bb.5663:                             ;   in Loop: Header=BB2_5162 Depth=2
	v_bfrev_b32_e32 v86, 1
	s_mov_b32 s27, exec_lo
	v_cmpx_ne_u16_e32 0x80, v87
	s_cbranch_execz .LBB2_5669
; %bb.5664:                             ;   in Loop: Header=BB2_5162 Depth=2
	v_and_b32_e32 v87, 0xffff, v87
	v_mov_b32_e32 v86, 0x7f800001
	s_mov_b32 s28, exec_lo
	s_delay_alu instid0(VALU_DEP_2) | instskip(NEXT) | instid1(VALU_DEP_1)
	v_and_b32_e32 v97, 0x7f, v87
	v_cmpx_ne_u32_e32 0x7f, v97
	s_cbranch_execz .LBB2_5668
; %bb.5665:                             ;   in Loop: Header=BB2_5162 Depth=2
	v_dual_mov_b32 v87, v35 :: v_dual_bitop2_b32 v86, 7, v87 bitop3:0x40
	v_lshrrev_b32_e32 v96, 3, v97
	s_mov_b32 s29, exec_lo
	v_cmpx_gt_u32_e32 8, v97
; %bb.5666:                             ;   in Loop: Header=BB2_5162 Depth=2
	s_delay_alu instid0(VALU_DEP_3) | instskip(NEXT) | instid1(VALU_DEP_1)
	v_clz_i32_u32_e32 v96, v86
	v_min_u32_e32 v96, 32, v96
	s_delay_alu instid0(VALU_DEP_1) | instskip(NEXT) | instid1(VALU_DEP_1)
	v_subrev_nc_u32_e32 v97, 28, v96
	v_lshlrev_b64_e32 v[86:87], v97, v[86:87]
	s_delay_alu instid0(VALU_DEP_1)
	v_dual_sub_nc_u32 v96, 29, v96 :: v_dual_bitop2_b32 v86, 7, v86 bitop3:0x40
; %bb.5667:                             ;   in Loop: Header=BB2_5162 Depth=2
	s_or_b32 exec_lo, exec_lo, s29
	v_lshlrev_b32_e32 v34, 16, v34
	s_delay_alu instid0(VALU_DEP_2) | instskip(NEXT) | instid1(VALU_DEP_3)
	v_lshlrev_b32_e32 v86, 20, v86
	v_lshl_add_u32 v87, v96, 23, 0x3c000000
	s_delay_alu instid0(VALU_DEP_3) | instskip(NEXT) | instid1(VALU_DEP_1)
	v_and_b32_e32 v34, 0x80000000, v34
	v_or3_b32 v86, v86, v34, v87
.LBB2_5668:                             ;   in Loop: Header=BB2_5162 Depth=2
	s_or_b32 exec_lo, exec_lo, s28
.LBB2_5669:                             ;   in Loop: Header=BB2_5162 Depth=2
	s_delay_alu instid0(SALU_CYCLE_1)
	s_or_b32 exec_lo, exec_lo, s27
.LBB2_5670:                             ;   in Loop: Header=BB2_5162 Depth=2
	s_delay_alu instid0(SALU_CYCLE_1) | instskip(NEXT) | instid1(VALU_DEP_1)
	s_or_b32 exec_lo, exec_lo, s10
	v_mul_f32_e32 v86, s26, v86
                                        ; implicit-def: $vgpr59
	s_mov_b32 s10, exec_lo
	s_delay_alu instid0(VALU_DEP_1) | instskip(SKIP_1) | instid1(VALU_DEP_2)
	v_and_b32_e32 v34, 0x7f800000, v86
	v_lshrrev_b32_e32 v87, 24, v86
	v_cmpx_ne_u64_e32 0x7f800000, v[34:35]
	s_xor_b32 s27, exec_lo, s10
	s_cbranch_execz .LBB2_5684
; %bb.5671:                             ;   in Loop: Header=BB2_5162 Depth=2
	v_and_b32_e32 v34, 0x7fffffff, v86
	v_and_b32_e32 v60, 0x80, v87
                                        ; implicit-def: $vgpr59
	s_mov_b32 s10, exec_lo
	s_delay_alu instid0(VALU_DEP_2)
	v_cmpx_gt_u64_e32 0x43e00001, v[34:35]
	s_xor_b32 s28, exec_lo, s10
	s_cbranch_execz .LBB2_5681
; %bb.5672:                             ;   in Loop: Header=BB2_5162 Depth=2
	v_mov_b32_e32 v59, 0
	s_mov_b32 s29, exec_lo
	v_cmpx_ne_u32_e32 0, v86
	s_cbranch_execz .LBB2_5680
; %bb.5673:                             ;   in Loop: Header=BB2_5162 Depth=2
	v_bfe_u32 v59, v86, 23, 8
	s_delay_alu instid0(VALU_DEP_1) | instskip(SKIP_1) | instid1(VALU_DEP_2)
	v_sub_nc_u32_e32 v34, 0x79, v59
	v_cmp_gt_u32_e32 vcc_lo, 0x7a, v59
	v_cndmask_b32_e32 v34, 0, v34, vcc_lo
	v_cmp_eq_u32_e32 vcc_lo, 0, v59
	s_delay_alu instid0(VALU_DEP_2) | instskip(SKIP_1) | instid1(VALU_DEP_2)
	v_cndmask_b32_e64 v61, v34, 0x78, vcc_lo
	v_and_b32_e32 v34, 0x7fffff, v86
	v_add_nc_u32_e32 v86, 20, v61
	s_delay_alu instid0(VALU_DEP_2) | instskip(SKIP_1) | instid1(VALU_DEP_3)
	v_or_b32_e32 v96, 0x800000, v34
	v_add_nc_u32_e32 v97, 19, v61
	v_lshlrev_b64_e64 v[86:87], v86, -1
	s_delay_alu instid0(VALU_DEP_3) | instskip(NEXT) | instid1(VALU_DEP_3)
	v_cndmask_b32_e32 v34, v96, v34, vcc_lo
	v_lshlrev_b64_e64 v[96:97], v97, 1
	s_delay_alu instid0(VALU_DEP_3) | instskip(NEXT) | instid1(VALU_DEP_3)
	v_bfi_b32 v63, v87, 0, 0
	v_bfi_b32 v62, v86, 0, v34
	v_lshrrev_b64 v[86:87], v61, v[34:35]
	s_delay_alu instid0(VALU_DEP_2) | instskip(NEXT) | instid1(VALU_DEP_2)
	v_cmp_eq_u64_e64 s10, v[62:63], v[96:97]
	v_mov_b64_e32 v[96:97], v[86:87]
	s_and_saveexec_b32 s40, s10
; %bb.5674:                             ;   in Loop: Header=BB2_5162 Depth=2
	v_bfe_u32 v34, v86, 20, 1
	s_delay_alu instid0(VALU_DEP_1) | instskip(NEXT) | instid1(VALU_DEP_1)
	v_add_nc_u64_e32 v[96:97], v[86:87], v[34:35]
	v_add_nc_u64_e32 v[96:97], -1, v[96:97]
; %bb.5675:                             ;   in Loop: Header=BB2_5162 Depth=2
	s_or_b32 exec_lo, exec_lo, s40
	v_add_nc_u32_e32 v34, 0xffffff81, v59
	v_lshrrev_b32_e32 v87, 23, v86
	s_mov_b32 s10, exec_lo
	s_delay_alu instid0(VALU_DEP_2) | instskip(NEXT) | instid1(VALU_DEP_1)
	v_cndmask_b32_e64 v34, v34, 0xffffff82, vcc_lo
	v_add3_u32 v97, v61, v34, v87
	v_and_b32_e32 v34, 0xfffff, v96
                                        ; implicit-def: $vgpr96
	s_delay_alu instid0(VALU_DEP_1) | instskip(NEXT) | instid1(VALU_DEP_1)
	v_dual_add_nc_u32 v59, 6, v97 :: v_dual_add_nc_u32 v34, v34, v86
                                        ; implicit-def: $vgpr86_vgpr87
	v_cmpx_ne_u32_e32 0, v59
	s_xor_b32 s10, exec_lo, s10
; %bb.5676:                             ;   in Loop: Header=BB2_5162 Depth=2
	s_delay_alu instid0(VALU_DEP_2) | instskip(SKIP_1) | instid1(VALU_DEP_1)
	v_cmp_lt_u64_e32 vcc_lo, 0xffffff, v[34:35]
	v_add_nc_u32_e32 v86, 7, v97
	v_cndmask_b32_e32 v96, v59, v86, vcc_lo
	v_cndmask_b32_e64 v86, 0, 1, vcc_lo
	s_delay_alu instid0(VALU_DEP_1)
	v_lshrrev_b64 v[86:87], v86, v[34:35]
; %bb.5677:                             ;   in Loop: Header=BB2_5162 Depth=2
	s_and_not1_saveexec_b32 s10, s10
; %bb.5678:                             ;   in Loop: Header=BB2_5162 Depth=2
	v_mov_b64_e32 v[86:87], v[34:35]
	v_bfe_u32 v96, v34, 23, 1
; %bb.5679:                             ;   in Loop: Header=BB2_5162 Depth=2
	s_or_b32 exec_lo, exec_lo, s10
	s_delay_alu instid0(VALU_DEP_2) | instskip(NEXT) | instid1(VALU_DEP_2)
	v_lshrrev_b64 v[86:87], 20, v[86:87]
	v_cmp_gt_i32_e32 vcc_lo, 16, v96
	v_min_i32_e32 v34, 15, v96
	v_cmp_eq_u32_e64 s10, 0, v96
	s_delay_alu instid0(VALU_DEP_2) | instskip(SKIP_1) | instid1(VALU_DEP_2)
	v_dual_cndmask_b32 v87, 0, v87 :: v_dual_lshlrev_b32 v34, 3, v34
	v_cndmask_b32_e32 v86, 7, v86, vcc_lo
	v_and_b32_e32 v34, 0xf8, v34
	s_delay_alu instid0(VALU_DEP_2) | instskip(NEXT) | instid1(VALU_DEP_2)
	v_cmp_eq_u64_e32 vcc_lo, 0, v[86:87]
	v_and_or_b32 v34, v86, 7, v34
	s_and_b32 s10, s10, vcc_lo
	s_delay_alu instid0(VALU_DEP_1) | instid1(SALU_CYCLE_1)
	v_cndmask_b32_e64 v34, v34, 0, s10
	s_delay_alu instid0(VALU_DEP_1)
	v_or_b32_e32 v59, v34, v60
.LBB2_5680:                             ;   in Loop: Header=BB2_5162 Depth=2
	s_or_b32 exec_lo, exec_lo, s29
                                        ; implicit-def: $vgpr60
.LBB2_5681:                             ;   in Loop: Header=BB2_5162 Depth=2
	s_and_not1_saveexec_b32 s10, s28
; %bb.5682:                             ;   in Loop: Header=BB2_5162 Depth=2
	v_or_b32_e32 v59, 0x7e, v60
; %bb.5683:                             ;   in Loop: Header=BB2_5162 Depth=2
	s_or_b32 exec_lo, exec_lo, s10
                                        ; implicit-def: $vgpr87
.LBB2_5684:                             ;   in Loop: Header=BB2_5162 Depth=2
	s_and_not1_saveexec_b32 s10, s27
; %bb.5685:                             ;   in Loop: Header=BB2_5162 Depth=2
	v_or_b32_e32 v59, 0x7f, v87
; %bb.5686:                             ;   in Loop: Header=BB2_5162 Depth=2
	s_or_b32 exec_lo, exec_lo, s10
	v_dual_lshrrev_b32 v86, 16, v11 :: v_dual_mov_b32 v34, 0
	s_mov_b32 s10, exec_lo
	s_delay_alu instid0(VALU_DEP_1) | instskip(NEXT) | instid1(VALU_DEP_1)
	v_and_b32_e32 v87, 0xff, v86
	v_cmpx_ne_u16_e32 0, v87
	s_cbranch_execz .LBB2_5694
; %bb.5687:                             ;   in Loop: Header=BB2_5162 Depth=2
	v_bfrev_b32_e32 v34, 1
	s_mov_b32 s27, exec_lo
	v_cmpx_ne_u16_e32 0x80, v87
	s_cbranch_execz .LBB2_5693
; %bb.5688:                             ;   in Loop: Header=BB2_5162 Depth=2
	v_bfe_u32 v96, v11, 16, 7
	v_mov_b32_e32 v34, 0x7f800001
	s_mov_b32 s28, exec_lo
	s_delay_alu instid0(VALU_DEP_2)
	v_cmpx_ne_u32_e32 0x7f, v96
	s_cbranch_execz .LBB2_5692
; %bb.5689:                             ;   in Loop: Header=BB2_5162 Depth=2
	v_dual_lshrrev_b32 v87, 3, v96 :: v_dual_bitop2_b32 v34, 7, v86 bitop3:0x40
	s_mov_b32 s29, exec_lo
	v_cmpx_gt_u32_e32 8, v96
; %bb.5690:                             ;   in Loop: Header=BB2_5162 Depth=2
	s_delay_alu instid0(VALU_DEP_2) | instskip(NEXT) | instid1(VALU_DEP_1)
	v_clz_i32_u32_e32 v87, v34
	v_min_u32_e32 v87, 32, v87
	s_delay_alu instid0(VALU_DEP_1) | instskip(NEXT) | instid1(VALU_DEP_1)
	v_subrev_nc_u32_e32 v96, 28, v87
	v_lshlrev_b64_e32 v[96:97], v96, v[34:35]
	s_delay_alu instid0(VALU_DEP_1)
	v_dual_sub_nc_u32 v87, 29, v87 :: v_dual_bitop2_b32 v34, 7, v96 bitop3:0x40
; %bb.5691:                             ;   in Loop: Header=BB2_5162 Depth=2
	s_or_b32 exec_lo, exec_lo, s29
	v_lshlrev_b32_e32 v86, 24, v86
	s_delay_alu instid0(VALU_DEP_2) | instskip(NEXT) | instid1(VALU_DEP_3)
	v_lshlrev_b32_e32 v34, 20, v34
	v_lshl_add_u32 v87, v87, 23, 0x3c000000
	s_delay_alu instid0(VALU_DEP_3) | instskip(NEXT) | instid1(VALU_DEP_1)
	v_and_b32_e32 v86, 0x80000000, v86
	v_or3_b32 v34, v34, v86, v87
.LBB2_5692:                             ;   in Loop: Header=BB2_5162 Depth=2
	s_or_b32 exec_lo, exec_lo, s28
.LBB2_5693:                             ;   in Loop: Header=BB2_5162 Depth=2
	s_delay_alu instid0(SALU_CYCLE_1)
	s_or_b32 exec_lo, exec_lo, s27
.LBB2_5694:                             ;   in Loop: Header=BB2_5162 Depth=2
	s_delay_alu instid0(SALU_CYCLE_1) | instskip(NEXT) | instid1(VALU_DEP_1)
	s_or_b32 exec_lo, exec_lo, s10
	v_mul_f32_e32 v86, s26, v34
                                        ; implicit-def: $vgpr96
	s_mov_b32 s10, exec_lo
	s_delay_alu instid0(VALU_DEP_1) | instskip(SKIP_1) | instid1(VALU_DEP_2)
	v_and_b32_e32 v34, 0x7f800000, v86
	v_lshrrev_b32_e32 v87, 24, v86
	v_cmpx_ne_u64_e32 0x7f800000, v[34:35]
	s_xor_b32 s27, exec_lo, s10
	s_cbranch_execz .LBB2_5708
; %bb.5695:                             ;   in Loop: Header=BB2_5162 Depth=2
	v_and_b32_e32 v34, 0x7fffffff, v86
	v_and_b32_e32 v60, 0x80, v87
                                        ; implicit-def: $vgpr96
	s_mov_b32 s10, exec_lo
	s_delay_alu instid0(VALU_DEP_2)
	v_cmpx_gt_u64_e32 0x43e00001, v[34:35]
	s_xor_b32 s28, exec_lo, s10
	s_cbranch_execz .LBB2_5705
; %bb.5696:                             ;   in Loop: Header=BB2_5162 Depth=2
	v_mov_b32_e32 v96, 0
	s_mov_b32 s29, exec_lo
	v_cmpx_ne_u32_e32 0, v86
	s_cbranch_execz .LBB2_5704
; %bb.5697:                             ;   in Loop: Header=BB2_5162 Depth=2
	v_bfe_u32 v61, v86, 23, 8
	s_delay_alu instid0(VALU_DEP_1) | instskip(SKIP_1) | instid1(VALU_DEP_2)
	v_sub_nc_u32_e32 v34, 0x79, v61
	v_cmp_gt_u32_e32 vcc_lo, 0x7a, v61
	v_cndmask_b32_e32 v34, 0, v34, vcc_lo
	v_cmp_eq_u32_e32 vcc_lo, 0, v61
	s_delay_alu instid0(VALU_DEP_2) | instskip(SKIP_1) | instid1(VALU_DEP_2)
	v_cndmask_b32_e64 v62, v34, 0x78, vcc_lo
	v_and_b32_e32 v34, 0x7fffff, v86
	v_dual_add_nc_u32 v86, 20, v62 :: v_dual_add_nc_u32 v97, 19, v62
	s_delay_alu instid0(VALU_DEP_2) | instskip(NEXT) | instid1(VALU_DEP_2)
	v_or_b32_e32 v96, 0x800000, v34
	v_lshlrev_b64_e64 v[86:87], v86, -1
	s_delay_alu instid0(VALU_DEP_2) | instskip(NEXT) | instid1(VALU_DEP_4)
	v_cndmask_b32_e32 v34, v96, v34, vcc_lo
	v_lshlrev_b64_e64 v[96:97], v97, 1
	s_delay_alu instid0(VALU_DEP_3) | instskip(NEXT) | instid1(VALU_DEP_3)
	v_bfi_b32 v73, v87, 0, 0
	v_bfi_b32 v72, v86, 0, v34
	v_lshrrev_b64 v[86:87], v62, v[34:35]
	s_delay_alu instid0(VALU_DEP_2) | instskip(NEXT) | instid1(VALU_DEP_2)
	v_cmp_eq_u64_e64 s10, v[72:73], v[96:97]
	v_mov_b64_e32 v[96:97], v[86:87]
	s_and_saveexec_b32 s40, s10
; %bb.5698:                             ;   in Loop: Header=BB2_5162 Depth=2
	v_bfe_u32 v34, v86, 20, 1
	s_delay_alu instid0(VALU_DEP_1) | instskip(NEXT) | instid1(VALU_DEP_1)
	v_add_nc_u64_e32 v[96:97], v[86:87], v[34:35]
	v_add_nc_u64_e32 v[96:97], -1, v[96:97]
; %bb.5699:                             ;   in Loop: Header=BB2_5162 Depth=2
	s_or_b32 exec_lo, exec_lo, s40
	v_add_nc_u32_e32 v34, 0xffffff81, v61
	v_lshrrev_b32_e32 v87, 23, v86
	s_mov_b32 s10, exec_lo
	s_delay_alu instid0(VALU_DEP_2) | instskip(NEXT) | instid1(VALU_DEP_1)
	v_cndmask_b32_e64 v34, v34, 0xffffff82, vcc_lo
	v_add3_u32 v97, v62, v34, v87
	v_and_b32_e32 v34, 0xfffff, v96
                                        ; implicit-def: $vgpr96
	s_delay_alu instid0(VALU_DEP_1) | instskip(NEXT) | instid1(VALU_DEP_1)
	v_dual_add_nc_u32 v61, 6, v97 :: v_dual_add_nc_u32 v34, v34, v86
                                        ; implicit-def: $vgpr86_vgpr87
	v_cmpx_ne_u32_e32 0, v61
	s_xor_b32 s10, exec_lo, s10
; %bb.5700:                             ;   in Loop: Header=BB2_5162 Depth=2
	s_delay_alu instid0(VALU_DEP_2) | instskip(SKIP_1) | instid1(VALU_DEP_1)
	v_cmp_lt_u64_e32 vcc_lo, 0xffffff, v[34:35]
	v_add_nc_u32_e32 v86, 7, v97
	v_cndmask_b32_e32 v96, v61, v86, vcc_lo
	v_cndmask_b32_e64 v86, 0, 1, vcc_lo
	s_delay_alu instid0(VALU_DEP_1)
	v_lshrrev_b64 v[86:87], v86, v[34:35]
; %bb.5701:                             ;   in Loop: Header=BB2_5162 Depth=2
	s_and_not1_saveexec_b32 s10, s10
; %bb.5702:                             ;   in Loop: Header=BB2_5162 Depth=2
	v_mov_b64_e32 v[86:87], v[34:35]
	v_bfe_u32 v96, v34, 23, 1
; %bb.5703:                             ;   in Loop: Header=BB2_5162 Depth=2
	s_or_b32 exec_lo, exec_lo, s10
	s_delay_alu instid0(VALU_DEP_2) | instskip(NEXT) | instid1(VALU_DEP_2)
	v_lshrrev_b64 v[86:87], 20, v[86:87]
	v_cmp_gt_i32_e32 vcc_lo, 16, v96
	v_min_i32_e32 v34, 15, v96
	v_cmp_eq_u32_e64 s10, 0, v96
	s_delay_alu instid0(VALU_DEP_2) | instskip(SKIP_1) | instid1(VALU_DEP_2)
	v_dual_cndmask_b32 v87, 0, v87 :: v_dual_lshlrev_b32 v34, 3, v34
	v_cndmask_b32_e32 v86, 7, v86, vcc_lo
	v_and_b32_e32 v34, 0xf8, v34
	s_delay_alu instid0(VALU_DEP_2) | instskip(NEXT) | instid1(VALU_DEP_2)
	v_cmp_eq_u64_e32 vcc_lo, 0, v[86:87]
	v_and_or_b32 v34, v86, 7, v34
	s_and_b32 s10, s10, vcc_lo
	s_delay_alu instid0(VALU_DEP_1) | instid1(SALU_CYCLE_1)
	v_cndmask_b32_e64 v34, v34, 0, s10
	s_delay_alu instid0(VALU_DEP_1)
	v_or_b32_e32 v96, v34, v60
.LBB2_5704:                             ;   in Loop: Header=BB2_5162 Depth=2
	s_or_b32 exec_lo, exec_lo, s29
                                        ; implicit-def: $vgpr60
.LBB2_5705:                             ;   in Loop: Header=BB2_5162 Depth=2
	s_and_not1_saveexec_b32 s10, s28
; %bb.5706:                             ;   in Loop: Header=BB2_5162 Depth=2
	v_or_b32_e32 v96, 0x7e, v60
; %bb.5707:                             ;   in Loop: Header=BB2_5162 Depth=2
	s_or_b32 exec_lo, exec_lo, s10
                                        ; implicit-def: $vgpr87
.LBB2_5708:                             ;   in Loop: Header=BB2_5162 Depth=2
	s_and_not1_saveexec_b32 s10, s27
; %bb.5709:                             ;   in Loop: Header=BB2_5162 Depth=2
	v_or_b32_e32 v96, 0x7f, v87
; %bb.5710:                             ;   in Loop: Header=BB2_5162 Depth=2
	s_or_b32 exec_lo, exec_lo, s10
	v_mov_b32_e32 v34, 0
	s_mov_b32 s10, exec_lo
	v_cmpx_lt_u64_e64 s[12:13], v[10:11]
	s_cbranch_execz .LBB2_5718
; %bb.5711:                             ;   in Loop: Header=BB2_5162 Depth=2
	v_lshrrev_b32_e32 v10, 24, v11
	v_bfrev_b32_e32 v34, 1
	s_mov_b32 s27, exec_lo
	s_delay_alu instid0(VALU_DEP_2)
	v_cmpx_ne_u32_e32 0x80, v10
	s_cbranch_execz .LBB2_5717
; %bb.5712:                             ;   in Loop: Header=BB2_5162 Depth=2
	v_bfe_u32 v86, v11, 24, 7
	v_mov_b32_e32 v34, 0x7f800001
	s_mov_b32 s28, exec_lo
	s_delay_alu instid0(VALU_DEP_2)
	v_cmpx_ne_u32_e32 0x7f, v86
	s_cbranch_execz .LBB2_5716
; %bb.5713:                             ;   in Loop: Header=BB2_5162 Depth=2
	v_and_b32_e32 v34, 7, v10
	v_lshrrev_b32_e32 v11, 3, v86
	s_mov_b32 s29, exec_lo
	v_cmpx_gt_u32_e32 8, v86
; %bb.5714:                             ;   in Loop: Header=BB2_5162 Depth=2
	s_delay_alu instid0(VALU_DEP_3) | instskip(NEXT) | instid1(VALU_DEP_1)
	v_clz_i32_u32_e32 v11, v34
	v_min_u32_e32 v11, 32, v11
	s_delay_alu instid0(VALU_DEP_1) | instskip(NEXT) | instid1(VALU_DEP_1)
	v_subrev_nc_u32_e32 v86, 28, v11
	v_lshlrev_b64_e32 v[86:87], v86, v[34:35]
	s_delay_alu instid0(VALU_DEP_1)
	v_dual_sub_nc_u32 v11, 29, v11 :: v_dual_bitop2_b32 v34, 7, v86 bitop3:0x40
; %bb.5715:                             ;   in Loop: Header=BB2_5162 Depth=2
	s_or_b32 exec_lo, exec_lo, s29
	v_lshlrev_b32_e32 v10, 24, v10
	s_delay_alu instid0(VALU_DEP_2) | instskip(NEXT) | instid1(VALU_DEP_3)
	v_lshlrev_b32_e32 v34, 20, v34
	v_lshl_add_u32 v11, v11, 23, 0x3c000000
	s_delay_alu instid0(VALU_DEP_3) | instskip(NEXT) | instid1(VALU_DEP_1)
	v_and_b32_e32 v10, 0x80000000, v10
	v_or3_b32 v34, v34, v10, v11
.LBB2_5716:                             ;   in Loop: Header=BB2_5162 Depth=2
	s_or_b32 exec_lo, exec_lo, s28
.LBB2_5717:                             ;   in Loop: Header=BB2_5162 Depth=2
	s_delay_alu instid0(SALU_CYCLE_1)
	s_or_b32 exec_lo, exec_lo, s27
.LBB2_5718:                             ;   in Loop: Header=BB2_5162 Depth=2
	s_delay_alu instid0(SALU_CYCLE_1) | instskip(NEXT) | instid1(VALU_DEP_1)
	s_or_b32 exec_lo, exec_lo, s10
	v_mul_f32_e32 v10, s26, v34
                                        ; implicit-def: $vgpr97
	s_mov_b32 s10, exec_lo
	s_delay_alu instid0(VALU_DEP_1) | instskip(SKIP_1) | instid1(VALU_DEP_2)
	v_and_b32_e32 v34, 0x7f800000, v10
	v_lshrrev_b32_e32 v11, 24, v10
	v_cmpx_ne_u64_e32 0x7f800000, v[34:35]
	s_xor_b32 s27, exec_lo, s10
	s_cbranch_execz .LBB2_5732
; %bb.5719:                             ;   in Loop: Header=BB2_5162 Depth=2
	v_and_b32_e32 v34, 0x7fffffff, v10
	v_and_b32_e32 v60, 0x80, v11
                                        ; implicit-def: $vgpr97
	s_mov_b32 s10, exec_lo
	s_delay_alu instid0(VALU_DEP_2)
	v_cmpx_gt_u64_e32 0x43e00001, v[34:35]
	s_xor_b32 s28, exec_lo, s10
	s_cbranch_execz .LBB2_5729
; %bb.5720:                             ;   in Loop: Header=BB2_5162 Depth=2
	v_mov_b32_e32 v97, 0
	s_mov_b32 s29, exec_lo
	v_cmpx_ne_u32_e32 0, v10
	s_cbranch_execz .LBB2_5728
; %bb.5721:                             ;   in Loop: Header=BB2_5162 Depth=2
	v_bfe_u32 v97, v10, 23, 8
	v_and_b32_e32 v34, 0x7fffff, v10
	s_delay_alu instid0(VALU_DEP_2) | instskip(NEXT) | instid1(VALU_DEP_2)
	v_cmp_gt_u32_e32 vcc_lo, 0x7a, v97
	v_or_b32_e32 v86, 0x800000, v34
	v_sub_nc_u32_e32 v11, 0x79, v97
	s_delay_alu instid0(VALU_DEP_1) | instskip(SKIP_1) | instid1(VALU_DEP_2)
	v_cndmask_b32_e32 v11, 0, v11, vcc_lo
	v_cmp_eq_u32_e32 vcc_lo, 0, v97
	v_cndmask_b32_e64 v61, v11, 0x78, vcc_lo
	s_delay_alu instid0(VALU_DEP_1) | instskip(SKIP_1) | instid1(VALU_DEP_2)
	v_dual_cndmask_b32 v34, v86, v34, vcc_lo :: v_dual_add_nc_u32 v10, 20, v61
	v_add_nc_u32_e32 v87, 19, v61
	v_lshlrev_b64_e64 v[10:11], v10, -1
	s_delay_alu instid0(VALU_DEP_2) | instskip(NEXT) | instid1(VALU_DEP_2)
	v_lshlrev_b64_e64 v[86:87], v87, 1
	v_bfi_b32 v63, v11, 0, 0
	s_delay_alu instid0(VALU_DEP_3) | instskip(SKIP_1) | instid1(VALU_DEP_2)
	v_bfi_b32 v62, v10, 0, v34
	v_lshrrev_b64 v[10:11], v61, v[34:35]
	v_cmp_eq_u64_e64 s10, v[62:63], v[86:87]
	s_delay_alu instid0(VALU_DEP_2)
	v_mov_b64_e32 v[86:87], v[10:11]
	s_and_saveexec_b32 s40, s10
; %bb.5722:                             ;   in Loop: Header=BB2_5162 Depth=2
	v_bfe_u32 v34, v10, 20, 1
	s_delay_alu instid0(VALU_DEP_1) | instskip(NEXT) | instid1(VALU_DEP_1)
	v_add_nc_u64_e32 v[86:87], v[10:11], v[34:35]
	v_add_nc_u64_e32 v[86:87], -1, v[86:87]
; %bb.5723:                             ;   in Loop: Header=BB2_5162 Depth=2
	s_or_b32 exec_lo, exec_lo, s40
	v_add_nc_u32_e32 v11, 0xffffff81, v97
	v_lshrrev_b32_e32 v34, 23, v10
	s_mov_b32 s10, exec_lo
	s_delay_alu instid0(VALU_DEP_2) | instskip(NEXT) | instid1(VALU_DEP_1)
	v_cndmask_b32_e64 v11, v11, 0xffffff82, vcc_lo
	v_add3_u32 v87, v61, v11, v34
	v_and_b32_e32 v11, 0xfffff, v86
                                        ; implicit-def: $vgpr86
	s_delay_alu instid0(VALU_DEP_1) | instskip(NEXT) | instid1(VALU_DEP_1)
	v_dual_add_nc_u32 v97, 6, v87 :: v_dual_add_nc_u32 v34, v11, v10
                                        ; implicit-def: $vgpr10_vgpr11
	v_cmpx_ne_u32_e32 0, v97
	s_xor_b32 s10, exec_lo, s10
; %bb.5724:                             ;   in Loop: Header=BB2_5162 Depth=2
	s_delay_alu instid0(VALU_DEP_2) | instskip(SKIP_1) | instid1(VALU_DEP_1)
	v_cmp_lt_u64_e32 vcc_lo, 0xffffff, v[34:35]
	v_add_nc_u32_e32 v10, 7, v87
	v_cndmask_b32_e32 v86, v97, v10, vcc_lo
	v_cndmask_b32_e64 v10, 0, 1, vcc_lo
	s_delay_alu instid0(VALU_DEP_1)
	v_lshrrev_b64 v[10:11], v10, v[34:35]
; %bb.5725:                             ;   in Loop: Header=BB2_5162 Depth=2
	s_and_not1_saveexec_b32 s10, s10
; %bb.5726:                             ;   in Loop: Header=BB2_5162 Depth=2
	v_mov_b64_e32 v[10:11], v[34:35]
	v_bfe_u32 v86, v34, 23, 1
; %bb.5727:                             ;   in Loop: Header=BB2_5162 Depth=2
	s_or_b32 exec_lo, exec_lo, s10
	s_delay_alu instid0(VALU_DEP_2) | instskip(NEXT) | instid1(VALU_DEP_2)
	v_lshrrev_b64 v[10:11], 20, v[10:11]
	v_cmp_gt_i32_e32 vcc_lo, 16, v86
	v_min_i32_e32 v34, 15, v86
	v_cmp_eq_u32_e64 s10, 0, v86
	s_delay_alu instid0(VALU_DEP_2) | instskip(SKIP_1) | instid1(VALU_DEP_2)
	v_dual_cndmask_b32 v11, 0, v11 :: v_dual_lshlrev_b32 v34, 3, v34
	v_cndmask_b32_e32 v10, 7, v10, vcc_lo
	v_and_b32_e32 v34, 0xf8, v34
	s_delay_alu instid0(VALU_DEP_2) | instskip(NEXT) | instid1(VALU_DEP_2)
	v_cmp_eq_u64_e32 vcc_lo, 0, v[10:11]
	v_and_or_b32 v10, v10, 7, v34
	s_and_b32 s10, s10, vcc_lo
	s_delay_alu instid0(VALU_DEP_1) | instid1(SALU_CYCLE_1)
	v_cndmask_b32_e64 v10, v10, 0, s10
	s_delay_alu instid0(VALU_DEP_1)
	v_or_b32_e32 v97, v10, v60
.LBB2_5728:                             ;   in Loop: Header=BB2_5162 Depth=2
	s_or_b32 exec_lo, exec_lo, s29
                                        ; implicit-def: $vgpr60
.LBB2_5729:                             ;   in Loop: Header=BB2_5162 Depth=2
	s_and_not1_saveexec_b32 s10, s28
; %bb.5730:                             ;   in Loop: Header=BB2_5162 Depth=2
	v_or_b32_e32 v97, 0x7e, v60
; %bb.5731:                             ;   in Loop: Header=BB2_5162 Depth=2
	s_or_b32 exec_lo, exec_lo, s10
                                        ; implicit-def: $vgpr11
.LBB2_5732:                             ;   in Loop: Header=BB2_5162 Depth=2
	s_and_not1_saveexec_b32 s10, s27
; %bb.5733:                             ;   in Loop: Header=BB2_5162 Depth=2
	v_or_b32_e32 v97, 0x7f, v11
; %bb.5734:                             ;   in Loop: Header=BB2_5162 Depth=2
	s_or_b32 exec_lo, exec_lo, s10
	v_and_b32_e32 v11, 0xff, v12
	v_mov_b32_e32 v10, 0
	s_mov_b32 s10, exec_lo
	s_delay_alu instid0(VALU_DEP_2)
	v_cmpx_ne_u16_e32 0, v11
	s_cbranch_execz .LBB2_5740
; %bb.5735:                             ;   in Loop: Header=BB2_5162 Depth=2
	v_bfrev_b32_e32 v10, 1
	s_mov_b32 s27, exec_lo
	v_cmpx_ne_u16_e32 0x80, v11
	s_cbranch_execz .LBB2_5739
; %bb.5736:                             ;   in Loop: Header=BB2_5162 Depth=2
	v_and_b32_e32 v11, 0x7f, v12
	v_mov_b32_e32 v10, 0x7f800001
	s_mov_b32 s28, exec_lo
	s_delay_alu instid0(VALU_DEP_2)
	v_cmpx_ne_u32_e32 0x7f, v11
	s_cbranch_execz .LBB2_5738
; %bb.5737:                             ;   in Loop: Header=BB2_5162 Depth=2
	v_dual_lshrrev_b32 v34, 3, v11 :: v_dual_bitop2_b32 v10, 7, v12 bitop3:0x40
	v_cmp_gt_u32_e32 vcc_lo, 8, v11
	s_delay_alu instid0(VALU_DEP_2) | instskip(NEXT) | instid1(VALU_DEP_1)
	v_clz_i32_u32_e32 v10, v10
	v_min_u32_e32 v10, 32, v10
	s_delay_alu instid0(VALU_DEP_1) | instskip(SKIP_1) | instid1(VALU_DEP_1)
	v_subrev_nc_u32_e32 v86, 28, v10
	v_sub_nc_u32_e32 v10, 29, v10
	v_cndmask_b32_e32 v34, v34, v10, vcc_lo
	s_delay_alu instid0(VALU_DEP_3) | instskip(NEXT) | instid1(VALU_DEP_1)
	v_cndmask_b32_e32 v10, 0, v86, vcc_lo
	v_lshlrev_b64_e32 v[10:11], v10, v[12:13]
	v_lshlrev_b32_e32 v11, 24, v12
	s_delay_alu instid0(VALU_DEP_1) | instskip(NEXT) | instid1(VALU_DEP_3)
	v_and_b32_e32 v11, 0x80000000, v11
	v_lshlrev_b32_e32 v10, 20, v10
	v_lshl_add_u32 v34, v34, 23, 0x3c000000
	s_delay_alu instid0(VALU_DEP_2) | instskip(NEXT) | instid1(VALU_DEP_1)
	v_and_b32_e32 v10, 0x700000, v10
	v_or3_b32 v10, v10, v11, v34
.LBB2_5738:                             ;   in Loop: Header=BB2_5162 Depth=2
	s_or_b32 exec_lo, exec_lo, s28
.LBB2_5739:                             ;   in Loop: Header=BB2_5162 Depth=2
	s_delay_alu instid0(SALU_CYCLE_1)
	s_or_b32 exec_lo, exec_lo, s27
.LBB2_5740:                             ;   in Loop: Header=BB2_5162 Depth=2
	s_delay_alu instid0(SALU_CYCLE_1) | instskip(NEXT) | instid1(VALU_DEP_1)
	s_or_b32 exec_lo, exec_lo, s10
	v_mul_f32_e32 v10, s26, v10
                                        ; implicit-def: $vgpr60
	s_mov_b32 s10, exec_lo
	s_delay_alu instid0(VALU_DEP_1) | instskip(SKIP_1) | instid1(VALU_DEP_2)
	v_and_b32_e32 v34, 0x7f800000, v10
	v_lshrrev_b32_e32 v11, 24, v10
	v_cmpx_ne_u64_e32 0x7f800000, v[34:35]
	s_xor_b32 s27, exec_lo, s10
	s_cbranch_execz .LBB2_5754
; %bb.5741:                             ;   in Loop: Header=BB2_5162 Depth=2
	v_and_b32_e32 v34, 0x7fffffff, v10
	v_and_b32_e32 v61, 0x80, v11
                                        ; implicit-def: $vgpr60
	s_mov_b32 s10, exec_lo
	s_delay_alu instid0(VALU_DEP_2)
	v_cmpx_gt_u64_e32 0x43e00001, v[34:35]
	s_xor_b32 s28, exec_lo, s10
	s_cbranch_execz .LBB2_5751
; %bb.5742:                             ;   in Loop: Header=BB2_5162 Depth=2
	v_mov_b32_e32 v60, 0
	s_mov_b32 s29, exec_lo
	v_cmpx_ne_u32_e32 0, v10
	s_cbranch_execz .LBB2_5750
; %bb.5743:                             ;   in Loop: Header=BB2_5162 Depth=2
	v_bfe_u32 v60, v10, 23, 8
	v_and_b32_e32 v34, 0x7fffff, v10
	s_delay_alu instid0(VALU_DEP_2) | instskip(NEXT) | instid1(VALU_DEP_2)
	v_cmp_gt_u32_e32 vcc_lo, 0x7a, v60
	v_or_b32_e32 v86, 0x800000, v34
	v_sub_nc_u32_e32 v11, 0x79, v60
	s_delay_alu instid0(VALU_DEP_1) | instskip(SKIP_1) | instid1(VALU_DEP_2)
	v_cndmask_b32_e32 v11, 0, v11, vcc_lo
	v_cmp_eq_u32_e32 vcc_lo, 0, v60
	v_cndmask_b32_e64 v62, v11, 0x78, vcc_lo
	v_cndmask_b32_e32 v34, v86, v34, vcc_lo
	s_delay_alu instid0(VALU_DEP_2) | instskip(NEXT) | instid1(VALU_DEP_1)
	v_dual_add_nc_u32 v10, 20, v62 :: v_dual_add_nc_u32 v87, 19, v62
	v_lshlrev_b64_e64 v[10:11], v10, -1
	s_delay_alu instid0(VALU_DEP_2) | instskip(NEXT) | instid1(VALU_DEP_2)
	v_lshlrev_b64_e64 v[86:87], v87, 1
	v_bfi_b32 v73, v11, 0, 0
	s_delay_alu instid0(VALU_DEP_3) | instskip(SKIP_1) | instid1(VALU_DEP_2)
	v_bfi_b32 v72, v10, 0, v34
	v_lshrrev_b64 v[10:11], v62, v[34:35]
	v_cmp_eq_u64_e64 s10, v[72:73], v[86:87]
	s_delay_alu instid0(VALU_DEP_2)
	v_mov_b64_e32 v[86:87], v[10:11]
	s_and_saveexec_b32 s40, s10
; %bb.5744:                             ;   in Loop: Header=BB2_5162 Depth=2
	v_bfe_u32 v34, v10, 20, 1
	s_delay_alu instid0(VALU_DEP_1) | instskip(NEXT) | instid1(VALU_DEP_1)
	v_add_nc_u64_e32 v[86:87], v[10:11], v[34:35]
	v_add_nc_u64_e32 v[86:87], -1, v[86:87]
; %bb.5745:                             ;   in Loop: Header=BB2_5162 Depth=2
	s_or_b32 exec_lo, exec_lo, s40
	v_add_nc_u32_e32 v11, 0xffffff81, v60
	v_lshrrev_b32_e32 v34, 23, v10
	s_mov_b32 s10, exec_lo
	s_delay_alu instid0(VALU_DEP_2) | instskip(NEXT) | instid1(VALU_DEP_1)
	v_cndmask_b32_e64 v11, v11, 0xffffff82, vcc_lo
	v_add3_u32 v87, v62, v11, v34
	v_and_b32_e32 v11, 0xfffff, v86
                                        ; implicit-def: $vgpr86
	s_delay_alu instid0(VALU_DEP_1) | instskip(NEXT) | instid1(VALU_DEP_1)
	v_dual_add_nc_u32 v60, 6, v87 :: v_dual_add_nc_u32 v34, v11, v10
                                        ; implicit-def: $vgpr10_vgpr11
	v_cmpx_ne_u32_e32 0, v60
	s_xor_b32 s10, exec_lo, s10
; %bb.5746:                             ;   in Loop: Header=BB2_5162 Depth=2
	s_delay_alu instid0(VALU_DEP_2) | instskip(SKIP_1) | instid1(VALU_DEP_1)
	v_cmp_lt_u64_e32 vcc_lo, 0xffffff, v[34:35]
	v_add_nc_u32_e32 v10, 7, v87
	v_cndmask_b32_e32 v86, v60, v10, vcc_lo
	v_cndmask_b32_e64 v10, 0, 1, vcc_lo
	s_delay_alu instid0(VALU_DEP_1)
	v_lshrrev_b64 v[10:11], v10, v[34:35]
; %bb.5747:                             ;   in Loop: Header=BB2_5162 Depth=2
	s_and_not1_saveexec_b32 s10, s10
; %bb.5748:                             ;   in Loop: Header=BB2_5162 Depth=2
	v_mov_b64_e32 v[10:11], v[34:35]
	v_bfe_u32 v86, v34, 23, 1
; %bb.5749:                             ;   in Loop: Header=BB2_5162 Depth=2
	s_or_b32 exec_lo, exec_lo, s10
	s_delay_alu instid0(VALU_DEP_2) | instskip(NEXT) | instid1(VALU_DEP_2)
	v_lshrrev_b64 v[10:11], 20, v[10:11]
	v_cmp_gt_i32_e32 vcc_lo, 16, v86
	v_min_i32_e32 v34, 15, v86
	v_cmp_eq_u32_e64 s10, 0, v86
	s_delay_alu instid0(VALU_DEP_2) | instskip(SKIP_1) | instid1(VALU_DEP_2)
	v_dual_cndmask_b32 v11, 0, v11 :: v_dual_lshlrev_b32 v34, 3, v34
	v_cndmask_b32_e32 v10, 7, v10, vcc_lo
	v_and_b32_e32 v34, 0xf8, v34
	s_delay_alu instid0(VALU_DEP_2) | instskip(NEXT) | instid1(VALU_DEP_2)
	v_cmp_eq_u64_e32 vcc_lo, 0, v[10:11]
	v_and_or_b32 v10, v10, 7, v34
	s_and_b32 s10, s10, vcc_lo
	s_delay_alu instid0(VALU_DEP_1) | instid1(SALU_CYCLE_1)
	v_cndmask_b32_e64 v10, v10, 0, s10
	s_delay_alu instid0(VALU_DEP_1)
	v_or_b32_e32 v60, v10, v61
.LBB2_5750:                             ;   in Loop: Header=BB2_5162 Depth=2
	s_or_b32 exec_lo, exec_lo, s29
                                        ; implicit-def: $vgpr61
.LBB2_5751:                             ;   in Loop: Header=BB2_5162 Depth=2
	s_and_not1_saveexec_b32 s10, s28
; %bb.5752:                             ;   in Loop: Header=BB2_5162 Depth=2
	v_or_b32_e32 v60, 0x7e, v61
; %bb.5753:                             ;   in Loop: Header=BB2_5162 Depth=2
	s_or_b32 exec_lo, exec_lo, s10
                                        ; implicit-def: $vgpr11
.LBB2_5754:                             ;   in Loop: Header=BB2_5162 Depth=2
	s_and_not1_saveexec_b32 s10, s27
; %bb.5755:                             ;   in Loop: Header=BB2_5162 Depth=2
	v_or_b32_e32 v60, 0x7f, v11
; %bb.5756:                             ;   in Loop: Header=BB2_5162 Depth=2
	s_or_b32 exec_lo, exec_lo, s10
	v_lshrrev_b16 v11, 8, v12
	v_mov_b32_e32 v10, 0
	s_mov_b32 s10, exec_lo
	s_delay_alu instid0(VALU_DEP_2)
	v_cmpx_ne_u16_e32 0, v11
	s_cbranch_execz .LBB2_5764
; %bb.5757:                             ;   in Loop: Header=BB2_5162 Depth=2
	v_bfrev_b32_e32 v10, 1
	s_mov_b32 s27, exec_lo
	v_cmpx_ne_u16_e32 0x80, v11
	s_cbranch_execz .LBB2_5763
; %bb.5758:                             ;   in Loop: Header=BB2_5162 Depth=2
	v_and_b32_e32 v34, 0xffff, v11
	v_mov_b32_e32 v10, 0x7f800001
	s_mov_b32 s28, exec_lo
	s_delay_alu instid0(VALU_DEP_2) | instskip(NEXT) | instid1(VALU_DEP_1)
	v_and_b32_e32 v11, 0x7f, v34
	v_cmpx_ne_u32_e32 0x7f, v11
	s_cbranch_execz .LBB2_5762
; %bb.5759:                             ;   in Loop: Header=BB2_5162 Depth=2
	v_dual_lshrrev_b32 v10, 3, v11 :: v_dual_bitop2_b32 v34, 7, v34 bitop3:0x40
	s_mov_b32 s29, exec_lo
	v_cmpx_gt_u32_e32 8, v11
; %bb.5760:                             ;   in Loop: Header=BB2_5162 Depth=2
	s_delay_alu instid0(VALU_DEP_2) | instskip(NEXT) | instid1(VALU_DEP_1)
	v_clz_i32_u32_e32 v10, v34
	v_min_u32_e32 v10, 32, v10
	s_delay_alu instid0(VALU_DEP_1) | instskip(SKIP_1) | instid1(VALU_DEP_2)
	v_subrev_nc_u32_e32 v11, 28, v10
	v_sub_nc_u32_e32 v10, 29, v10
	v_lshlrev_b64_e32 v[86:87], v11, v[34:35]
	s_delay_alu instid0(VALU_DEP_1)
	v_and_b32_e32 v34, 7, v86
; %bb.5761:                             ;   in Loop: Header=BB2_5162 Depth=2
	s_or_b32 exec_lo, exec_lo, s29
	s_delay_alu instid0(VALU_DEP_1) | instskip(SKIP_1) | instid1(VALU_DEP_2)
	v_dual_lshlrev_b32 v11, 16, v12 :: v_dual_lshlrev_b32 v34, 20, v34
	v_lshl_add_u32 v10, v10, 23, 0x3c000000
	v_and_b32_e32 v11, 0x80000000, v11
	s_delay_alu instid0(VALU_DEP_1)
	v_or3_b32 v10, v34, v11, v10
.LBB2_5762:                             ;   in Loop: Header=BB2_5162 Depth=2
	s_or_b32 exec_lo, exec_lo, s28
.LBB2_5763:                             ;   in Loop: Header=BB2_5162 Depth=2
	s_delay_alu instid0(SALU_CYCLE_1)
	s_or_b32 exec_lo, exec_lo, s27
.LBB2_5764:                             ;   in Loop: Header=BB2_5162 Depth=2
	s_delay_alu instid0(SALU_CYCLE_1) | instskip(NEXT) | instid1(VALU_DEP_1)
	s_or_b32 exec_lo, exec_lo, s10
	v_mul_f32_e32 v10, s26, v10
                                        ; implicit-def: $vgpr61
	s_mov_b32 s10, exec_lo
	s_delay_alu instid0(VALU_DEP_1) | instskip(SKIP_1) | instid1(VALU_DEP_2)
	v_and_b32_e32 v34, 0x7f800000, v10
	v_lshrrev_b32_e32 v11, 24, v10
	v_cmpx_ne_u64_e32 0x7f800000, v[34:35]
	s_xor_b32 s27, exec_lo, s10
	s_cbranch_execz .LBB2_5778
; %bb.5765:                             ;   in Loop: Header=BB2_5162 Depth=2
	v_and_b32_e32 v34, 0x7fffffff, v10
	v_and_b32_e32 v62, 0x80, v11
                                        ; implicit-def: $vgpr61
	s_mov_b32 s10, exec_lo
	s_delay_alu instid0(VALU_DEP_2)
	v_cmpx_gt_u64_e32 0x43e00001, v[34:35]
	s_xor_b32 s28, exec_lo, s10
	s_cbranch_execz .LBB2_5775
; %bb.5766:                             ;   in Loop: Header=BB2_5162 Depth=2
	v_mov_b32_e32 v61, 0
	s_mov_b32 s29, exec_lo
	v_cmpx_ne_u32_e32 0, v10
	s_cbranch_execz .LBB2_5774
; %bb.5767:                             ;   in Loop: Header=BB2_5162 Depth=2
	v_bfe_u32 v61, v10, 23, 8
	v_and_b32_e32 v34, 0x7fffff, v10
	s_delay_alu instid0(VALU_DEP_2) | instskip(NEXT) | instid1(VALU_DEP_2)
	v_cmp_gt_u32_e32 vcc_lo, 0x7a, v61
	v_or_b32_e32 v86, 0x800000, v34
	v_sub_nc_u32_e32 v11, 0x79, v61
	s_delay_alu instid0(VALU_DEP_1) | instskip(SKIP_1) | instid1(VALU_DEP_2)
	v_cndmask_b32_e32 v11, 0, v11, vcc_lo
	v_cmp_eq_u32_e32 vcc_lo, 0, v61
	v_cndmask_b32_e64 v63, v11, 0x78, vcc_lo
	s_delay_alu instid0(VALU_DEP_1) | instskip(SKIP_1) | instid1(VALU_DEP_2)
	v_dual_cndmask_b32 v34, v86, v34, vcc_lo :: v_dual_add_nc_u32 v10, 20, v63
	v_add_nc_u32_e32 v87, 19, v63
	v_lshlrev_b64_e64 v[10:11], v10, -1
	s_delay_alu instid0(VALU_DEP_2) | instskip(NEXT) | instid1(VALU_DEP_2)
	v_lshlrev_b64_e64 v[86:87], v87, 1
	v_bfi_b32 v73, v11, 0, 0
	s_delay_alu instid0(VALU_DEP_3) | instskip(SKIP_1) | instid1(VALU_DEP_2)
	v_bfi_b32 v72, v10, 0, v34
	v_lshrrev_b64 v[10:11], v63, v[34:35]
	v_cmp_eq_u64_e64 s10, v[72:73], v[86:87]
	s_delay_alu instid0(VALU_DEP_2)
	v_mov_b64_e32 v[86:87], v[10:11]
	s_and_saveexec_b32 s40, s10
; %bb.5768:                             ;   in Loop: Header=BB2_5162 Depth=2
	v_bfe_u32 v34, v10, 20, 1
	s_delay_alu instid0(VALU_DEP_1) | instskip(NEXT) | instid1(VALU_DEP_1)
	v_add_nc_u64_e32 v[86:87], v[10:11], v[34:35]
	v_add_nc_u64_e32 v[86:87], -1, v[86:87]
; %bb.5769:                             ;   in Loop: Header=BB2_5162 Depth=2
	s_or_b32 exec_lo, exec_lo, s40
	v_add_nc_u32_e32 v11, 0xffffff81, v61
	v_lshrrev_b32_e32 v34, 23, v10
	s_mov_b32 s10, exec_lo
	s_delay_alu instid0(VALU_DEP_2) | instskip(NEXT) | instid1(VALU_DEP_1)
	v_cndmask_b32_e64 v11, v11, 0xffffff82, vcc_lo
	v_add3_u32 v87, v63, v11, v34
	v_and_b32_e32 v11, 0xfffff, v86
                                        ; implicit-def: $vgpr86
	s_delay_alu instid0(VALU_DEP_1) | instskip(NEXT) | instid1(VALU_DEP_1)
	v_dual_add_nc_u32 v61, 6, v87 :: v_dual_add_nc_u32 v34, v11, v10
                                        ; implicit-def: $vgpr10_vgpr11
	v_cmpx_ne_u32_e32 0, v61
	s_xor_b32 s10, exec_lo, s10
; %bb.5770:                             ;   in Loop: Header=BB2_5162 Depth=2
	s_delay_alu instid0(VALU_DEP_2) | instskip(SKIP_1) | instid1(VALU_DEP_1)
	v_cmp_lt_u64_e32 vcc_lo, 0xffffff, v[34:35]
	v_add_nc_u32_e32 v10, 7, v87
	v_cndmask_b32_e32 v86, v61, v10, vcc_lo
	v_cndmask_b32_e64 v10, 0, 1, vcc_lo
	s_delay_alu instid0(VALU_DEP_1)
	v_lshrrev_b64 v[10:11], v10, v[34:35]
; %bb.5771:                             ;   in Loop: Header=BB2_5162 Depth=2
	s_and_not1_saveexec_b32 s10, s10
; %bb.5772:                             ;   in Loop: Header=BB2_5162 Depth=2
	v_mov_b64_e32 v[10:11], v[34:35]
	v_bfe_u32 v86, v34, 23, 1
; %bb.5773:                             ;   in Loop: Header=BB2_5162 Depth=2
	s_or_b32 exec_lo, exec_lo, s10
	s_delay_alu instid0(VALU_DEP_2) | instskip(NEXT) | instid1(VALU_DEP_2)
	v_lshrrev_b64 v[10:11], 20, v[10:11]
	v_cmp_gt_i32_e32 vcc_lo, 16, v86
	v_min_i32_e32 v34, 15, v86
	v_cmp_eq_u32_e64 s10, 0, v86
	s_delay_alu instid0(VALU_DEP_2) | instskip(SKIP_1) | instid1(VALU_DEP_2)
	v_dual_cndmask_b32 v11, 0, v11 :: v_dual_lshlrev_b32 v34, 3, v34
	v_cndmask_b32_e32 v10, 7, v10, vcc_lo
	v_and_b32_e32 v34, 0xf8, v34
	s_delay_alu instid0(VALU_DEP_2) | instskip(NEXT) | instid1(VALU_DEP_2)
	v_cmp_eq_u64_e32 vcc_lo, 0, v[10:11]
	v_and_or_b32 v10, v10, 7, v34
	s_and_b32 s10, s10, vcc_lo
	s_delay_alu instid0(VALU_DEP_1) | instid1(SALU_CYCLE_1)
	v_cndmask_b32_e64 v10, v10, 0, s10
	s_delay_alu instid0(VALU_DEP_1)
	v_or_b32_e32 v61, v10, v62
.LBB2_5774:                             ;   in Loop: Header=BB2_5162 Depth=2
	s_or_b32 exec_lo, exec_lo, s29
                                        ; implicit-def: $vgpr62
.LBB2_5775:                             ;   in Loop: Header=BB2_5162 Depth=2
	s_and_not1_saveexec_b32 s10, s28
; %bb.5776:                             ;   in Loop: Header=BB2_5162 Depth=2
	v_or_b32_e32 v61, 0x7e, v62
; %bb.5777:                             ;   in Loop: Header=BB2_5162 Depth=2
	s_or_b32 exec_lo, exec_lo, s10
                                        ; implicit-def: $vgpr11
.LBB2_5778:                             ;   in Loop: Header=BB2_5162 Depth=2
	s_and_not1_saveexec_b32 s10, s27
; %bb.5779:                             ;   in Loop: Header=BB2_5162 Depth=2
	v_or_b32_e32 v61, 0x7f, v11
; %bb.5780:                             ;   in Loop: Header=BB2_5162 Depth=2
	s_or_b32 exec_lo, exec_lo, s10
	v_dual_mov_b32 v11, 0 :: v_dual_lshrrev_b32 v10, 16, v12
	s_mov_b32 s10, exec_lo
	s_delay_alu instid0(VALU_DEP_1) | instskip(NEXT) | instid1(VALU_DEP_1)
	v_and_b32_e32 v34, 0xff, v10
	v_cmpx_ne_u16_e32 0, v34
	s_cbranch_execz .LBB2_5788
; %bb.5781:                             ;   in Loop: Header=BB2_5162 Depth=2
	v_bfrev_b32_e32 v11, 1
	s_mov_b32 s27, exec_lo
	v_cmpx_ne_u16_e32 0x80, v34
	s_cbranch_execz .LBB2_5787
; %bb.5782:                             ;   in Loop: Header=BB2_5162 Depth=2
	v_bfe_u32 v86, v12, 16, 7
	v_mov_b32_e32 v11, 0x7f800001
	s_mov_b32 s28, exec_lo
	s_delay_alu instid0(VALU_DEP_2)
	v_cmpx_ne_u32_e32 0x7f, v86
	s_cbranch_execz .LBB2_5786
; %bb.5783:                             ;   in Loop: Header=BB2_5162 Depth=2
	v_and_b32_e32 v34, 7, v10
	v_lshrrev_b32_e32 v11, 3, v86
	s_mov_b32 s29, exec_lo
	v_cmpx_gt_u32_e32 8, v86
; %bb.5784:                             ;   in Loop: Header=BB2_5162 Depth=2
	s_delay_alu instid0(VALU_DEP_3) | instskip(NEXT) | instid1(VALU_DEP_1)
	v_clz_i32_u32_e32 v11, v34
	v_min_u32_e32 v11, 32, v11
	s_delay_alu instid0(VALU_DEP_1) | instskip(NEXT) | instid1(VALU_DEP_1)
	v_subrev_nc_u32_e32 v86, 28, v11
	v_lshlrev_b64_e32 v[86:87], v86, v[34:35]
	s_delay_alu instid0(VALU_DEP_1)
	v_dual_sub_nc_u32 v11, 29, v11 :: v_dual_bitop2_b32 v34, 7, v86 bitop3:0x40
; %bb.5785:                             ;   in Loop: Header=BB2_5162 Depth=2
	s_or_b32 exec_lo, exec_lo, s29
	v_lshlrev_b32_e32 v10, 24, v10
	s_delay_alu instid0(VALU_DEP_2) | instskip(NEXT) | instid1(VALU_DEP_3)
	v_lshlrev_b32_e32 v34, 20, v34
	v_lshl_add_u32 v11, v11, 23, 0x3c000000
	s_delay_alu instid0(VALU_DEP_3) | instskip(NEXT) | instid1(VALU_DEP_1)
	v_and_b32_e32 v10, 0x80000000, v10
	v_or3_b32 v11, v34, v10, v11
.LBB2_5786:                             ;   in Loop: Header=BB2_5162 Depth=2
	s_or_b32 exec_lo, exec_lo, s28
.LBB2_5787:                             ;   in Loop: Header=BB2_5162 Depth=2
	s_delay_alu instid0(SALU_CYCLE_1)
	s_or_b32 exec_lo, exec_lo, s27
.LBB2_5788:                             ;   in Loop: Header=BB2_5162 Depth=2
	s_delay_alu instid0(SALU_CYCLE_1) | instskip(NEXT) | instid1(VALU_DEP_1)
	s_or_b32 exec_lo, exec_lo, s10
	v_mul_f32_e32 v10, s26, v11
                                        ; implicit-def: $vgpr62
	s_mov_b32 s10, exec_lo
	s_delay_alu instid0(VALU_DEP_1) | instskip(SKIP_1) | instid1(VALU_DEP_2)
	v_and_b32_e32 v34, 0x7f800000, v10
	v_lshrrev_b32_e32 v11, 24, v10
	v_cmpx_ne_u64_e32 0x7f800000, v[34:35]
	s_xor_b32 s27, exec_lo, s10
	s_cbranch_execz .LBB2_5802
; %bb.5789:                             ;   in Loop: Header=BB2_5162 Depth=2
	v_and_b32_e32 v34, 0x7fffffff, v10
	v_and_b32_e32 v63, 0x80, v11
                                        ; implicit-def: $vgpr62
	s_mov_b32 s10, exec_lo
	s_delay_alu instid0(VALU_DEP_2)
	v_cmpx_gt_u64_e32 0x43e00001, v[34:35]
	s_xor_b32 s28, exec_lo, s10
	s_cbranch_execz .LBB2_5799
; %bb.5790:                             ;   in Loop: Header=BB2_5162 Depth=2
	v_mov_b32_e32 v62, 0
	s_mov_b32 s29, exec_lo
	v_cmpx_ne_u32_e32 0, v10
	s_cbranch_execz .LBB2_5798
; %bb.5791:                             ;   in Loop: Header=BB2_5162 Depth=2
	v_bfe_u32 v62, v10, 23, 8
	v_and_b32_e32 v34, 0x7fffff, v10
	s_delay_alu instid0(VALU_DEP_2) | instskip(SKIP_1) | instid1(VALU_DEP_3)
	v_sub_nc_u32_e32 v11, 0x79, v62
	v_cmp_gt_u32_e32 vcc_lo, 0x7a, v62
	v_or_b32_e32 v86, 0x800000, v34
	s_delay_alu instid0(VALU_DEP_3) | instskip(SKIP_1) | instid1(VALU_DEP_2)
	v_cndmask_b32_e32 v11, 0, v11, vcc_lo
	v_cmp_eq_u32_e32 vcc_lo, 0, v62
	v_cndmask_b32_e64 v72, v11, 0x78, vcc_lo
	s_delay_alu instid0(VALU_DEP_1) | instskip(SKIP_1) | instid1(VALU_DEP_2)
	v_dual_cndmask_b32 v34, v86, v34 :: v_dual_add_nc_u32 v87, 19, v72
	v_add_nc_u32_e32 v10, 20, v72
	v_lshlrev_b64_e64 v[86:87], v87, 1
	s_delay_alu instid0(VALU_DEP_2) | instskip(NEXT) | instid1(VALU_DEP_1)
	v_lshlrev_b64_e64 v[10:11], v10, -1
	v_bfi_b32 v75, v11, 0, 0
	s_delay_alu instid0(VALU_DEP_2) | instskip(SKIP_1) | instid1(VALU_DEP_2)
	v_bfi_b32 v74, v10, 0, v34
	v_lshrrev_b64 v[10:11], v72, v[34:35]
	v_cmp_eq_u64_e64 s10, v[74:75], v[86:87]
	s_delay_alu instid0(VALU_DEP_2)
	v_mov_b64_e32 v[86:87], v[10:11]
	s_and_saveexec_b32 s40, s10
; %bb.5792:                             ;   in Loop: Header=BB2_5162 Depth=2
	v_bfe_u32 v34, v10, 20, 1
	s_delay_alu instid0(VALU_DEP_1) | instskip(NEXT) | instid1(VALU_DEP_1)
	v_add_nc_u64_e32 v[86:87], v[10:11], v[34:35]
	v_add_nc_u64_e32 v[86:87], -1, v[86:87]
; %bb.5793:                             ;   in Loop: Header=BB2_5162 Depth=2
	s_or_b32 exec_lo, exec_lo, s40
	v_add_nc_u32_e32 v11, 0xffffff81, v62
	v_lshrrev_b32_e32 v34, 23, v10
	s_mov_b32 s10, exec_lo
	s_delay_alu instid0(VALU_DEP_2) | instskip(NEXT) | instid1(VALU_DEP_1)
	v_cndmask_b32_e64 v11, v11, 0xffffff82, vcc_lo
	v_add3_u32 v87, v72, v11, v34
	v_and_b32_e32 v11, 0xfffff, v86
                                        ; implicit-def: $vgpr86
	s_delay_alu instid0(VALU_DEP_1) | instskip(NEXT) | instid1(VALU_DEP_1)
	v_dual_add_nc_u32 v62, 6, v87 :: v_dual_add_nc_u32 v34, v11, v10
                                        ; implicit-def: $vgpr10_vgpr11
	v_cmpx_ne_u32_e32 0, v62
	s_xor_b32 s10, exec_lo, s10
; %bb.5794:                             ;   in Loop: Header=BB2_5162 Depth=2
	s_delay_alu instid0(VALU_DEP_2) | instskip(SKIP_1) | instid1(VALU_DEP_1)
	v_cmp_lt_u64_e32 vcc_lo, 0xffffff, v[34:35]
	v_add_nc_u32_e32 v10, 7, v87
	v_cndmask_b32_e32 v86, v62, v10, vcc_lo
	v_cndmask_b32_e64 v10, 0, 1, vcc_lo
	s_delay_alu instid0(VALU_DEP_1)
	v_lshrrev_b64 v[10:11], v10, v[34:35]
; %bb.5795:                             ;   in Loop: Header=BB2_5162 Depth=2
	s_and_not1_saveexec_b32 s10, s10
; %bb.5796:                             ;   in Loop: Header=BB2_5162 Depth=2
	v_mov_b64_e32 v[10:11], v[34:35]
	v_bfe_u32 v86, v34, 23, 1
; %bb.5797:                             ;   in Loop: Header=BB2_5162 Depth=2
	s_or_b32 exec_lo, exec_lo, s10
	s_delay_alu instid0(VALU_DEP_2) | instskip(NEXT) | instid1(VALU_DEP_2)
	v_lshrrev_b64 v[10:11], 20, v[10:11]
	v_cmp_gt_i32_e32 vcc_lo, 16, v86
	v_min_i32_e32 v34, 15, v86
	v_cmp_eq_u32_e64 s10, 0, v86
	s_delay_alu instid0(VALU_DEP_2) | instskip(SKIP_1) | instid1(VALU_DEP_2)
	v_dual_cndmask_b32 v11, 0, v11 :: v_dual_lshlrev_b32 v34, 3, v34
	v_cndmask_b32_e32 v10, 7, v10, vcc_lo
	v_and_b32_e32 v34, 0xf8, v34
	s_delay_alu instid0(VALU_DEP_2) | instskip(NEXT) | instid1(VALU_DEP_2)
	v_cmp_eq_u64_e32 vcc_lo, 0, v[10:11]
	v_and_or_b32 v10, v10, 7, v34
	s_and_b32 s10, s10, vcc_lo
	s_delay_alu instid0(VALU_DEP_1) | instid1(SALU_CYCLE_1)
	v_cndmask_b32_e64 v10, v10, 0, s10
	s_delay_alu instid0(VALU_DEP_1)
	v_or_b32_e32 v62, v10, v63
.LBB2_5798:                             ;   in Loop: Header=BB2_5162 Depth=2
	s_or_b32 exec_lo, exec_lo, s29
                                        ; implicit-def: $vgpr63
.LBB2_5799:                             ;   in Loop: Header=BB2_5162 Depth=2
	s_and_not1_saveexec_b32 s10, s28
; %bb.5800:                             ;   in Loop: Header=BB2_5162 Depth=2
	v_or_b32_e32 v62, 0x7e, v63
; %bb.5801:                             ;   in Loop: Header=BB2_5162 Depth=2
	s_or_b32 exec_lo, exec_lo, s10
                                        ; implicit-def: $vgpr11
.LBB2_5802:                             ;   in Loop: Header=BB2_5162 Depth=2
	s_and_not1_saveexec_b32 s10, s27
; %bb.5803:                             ;   in Loop: Header=BB2_5162 Depth=2
	v_or_b32_e32 v62, 0x7f, v11
; %bb.5804:                             ;   in Loop: Header=BB2_5162 Depth=2
	s_or_b32 exec_lo, exec_lo, s10
	v_mov_b32_e32 v11, 0
	s_mov_b32 s10, exec_lo
	v_cmpx_lt_u32_e32 0xffffff, v12
	s_cbranch_execz .LBB2_5812
; %bb.5805:                             ;   in Loop: Header=BB2_5162 Depth=2
	v_lshrrev_b32_e32 v10, 24, v12
	v_bfrev_b32_e32 v11, 1
	s_mov_b32 s27, exec_lo
	s_delay_alu instid0(VALU_DEP_2)
	v_cmpx_ne_u32_e32 0x80, v10
	s_cbranch_execz .LBB2_5811
; %bb.5806:                             ;   in Loop: Header=BB2_5162 Depth=2
	v_bfe_u32 v86, v12, 24, 7
	v_mov_b32_e32 v11, 0x7f800001
	s_mov_b32 s28, exec_lo
	s_delay_alu instid0(VALU_DEP_2)
	v_cmpx_ne_u32_e32 0x7f, v86
	s_cbranch_execz .LBB2_5810
; %bb.5807:                             ;   in Loop: Header=BB2_5162 Depth=2
	v_and_b32_e32 v34, 7, v10
	v_lshrrev_b32_e32 v11, 3, v86
	s_mov_b32 s29, exec_lo
	v_cmpx_gt_u32_e32 8, v86
; %bb.5808:                             ;   in Loop: Header=BB2_5162 Depth=2
	s_delay_alu instid0(VALU_DEP_3) | instskip(NEXT) | instid1(VALU_DEP_1)
	v_clz_i32_u32_e32 v11, v34
	v_min_u32_e32 v11, 32, v11
	s_delay_alu instid0(VALU_DEP_1) | instskip(NEXT) | instid1(VALU_DEP_1)
	v_subrev_nc_u32_e32 v86, 28, v11
	v_lshlrev_b64_e32 v[86:87], v86, v[34:35]
	s_delay_alu instid0(VALU_DEP_1)
	v_dual_sub_nc_u32 v11, 29, v11 :: v_dual_bitop2_b32 v34, 7, v86 bitop3:0x40
; %bb.5809:                             ;   in Loop: Header=BB2_5162 Depth=2
	s_or_b32 exec_lo, exec_lo, s29
	v_lshlrev_b32_e32 v10, 24, v10
	s_delay_alu instid0(VALU_DEP_2) | instskip(NEXT) | instid1(VALU_DEP_3)
	v_lshlrev_b32_e32 v34, 20, v34
	v_lshl_add_u32 v11, v11, 23, 0x3c000000
	s_delay_alu instid0(VALU_DEP_3) | instskip(NEXT) | instid1(VALU_DEP_1)
	v_and_b32_e32 v10, 0x80000000, v10
	v_or3_b32 v11, v34, v10, v11
.LBB2_5810:                             ;   in Loop: Header=BB2_5162 Depth=2
	s_or_b32 exec_lo, exec_lo, s28
.LBB2_5811:                             ;   in Loop: Header=BB2_5162 Depth=2
	s_delay_alu instid0(SALU_CYCLE_1)
	s_or_b32 exec_lo, exec_lo, s27
.LBB2_5812:                             ;   in Loop: Header=BB2_5162 Depth=2
	s_delay_alu instid0(SALU_CYCLE_1) | instskip(NEXT) | instid1(VALU_DEP_1)
	s_or_b32 exec_lo, exec_lo, s10
	v_mul_f32_e32 v10, s26, v11
                                        ; implicit-def: $vgpr63
	s_mov_b32 s10, exec_lo
	s_delay_alu instid0(VALU_DEP_1) | instskip(SKIP_1) | instid1(VALU_DEP_2)
	v_and_b32_e32 v34, 0x7f800000, v10
	v_lshrrev_b32_e32 v11, 24, v10
	v_cmpx_ne_u64_e32 0x7f800000, v[34:35]
	s_xor_b32 s27, exec_lo, s10
	s_cbranch_execz .LBB2_5826
; %bb.5813:                             ;   in Loop: Header=BB2_5162 Depth=2
	v_and_b32_e32 v34, 0x7fffffff, v10
	v_and_b32_e32 v72, 0x80, v11
                                        ; implicit-def: $vgpr63
	s_mov_b32 s10, exec_lo
	s_delay_alu instid0(VALU_DEP_2)
	v_cmpx_gt_u64_e32 0x43e00001, v[34:35]
	s_xor_b32 s28, exec_lo, s10
	s_cbranch_execz .LBB2_5823
; %bb.5814:                             ;   in Loop: Header=BB2_5162 Depth=2
	v_mov_b32_e32 v63, 0
	s_mov_b32 s29, exec_lo
	v_cmpx_ne_u32_e32 0, v10
	s_cbranch_execz .LBB2_5822
; %bb.5815:                             ;   in Loop: Header=BB2_5162 Depth=2
	v_bfe_u32 v63, v10, 23, 8
	v_and_b32_e32 v34, 0x7fffff, v10
	s_delay_alu instid0(VALU_DEP_2) | instskip(NEXT) | instid1(VALU_DEP_2)
	v_cmp_gt_u32_e32 vcc_lo, 0x7a, v63
	v_or_b32_e32 v86, 0x800000, v34
	v_sub_nc_u32_e32 v11, 0x79, v63
	s_delay_alu instid0(VALU_DEP_1) | instskip(SKIP_1) | instid1(VALU_DEP_2)
	v_cndmask_b32_e32 v11, 0, v11, vcc_lo
	v_cmp_eq_u32_e32 vcc_lo, 0, v63
	v_cndmask_b32_e64 v73, v11, 0x78, vcc_lo
	s_delay_alu instid0(VALU_DEP_1) | instskip(SKIP_1) | instid1(VALU_DEP_2)
	v_dual_cndmask_b32 v34, v86, v34, vcc_lo :: v_dual_add_nc_u32 v10, 20, v73
	v_add_nc_u32_e32 v87, 19, v73
	v_lshlrev_b64_e64 v[10:11], v10, -1
	s_delay_alu instid0(VALU_DEP_2) | instskip(NEXT) | instid1(VALU_DEP_2)
	v_lshlrev_b64_e64 v[86:87], v87, 1
	v_bfi_b32 v75, v11, 0, 0
	s_delay_alu instid0(VALU_DEP_3) | instskip(SKIP_1) | instid1(VALU_DEP_2)
	v_bfi_b32 v74, v10, 0, v34
	v_lshrrev_b64 v[10:11], v73, v[34:35]
	v_cmp_eq_u64_e64 s10, v[74:75], v[86:87]
	s_delay_alu instid0(VALU_DEP_2)
	v_mov_b64_e32 v[86:87], v[10:11]
	s_and_saveexec_b32 s40, s10
; %bb.5816:                             ;   in Loop: Header=BB2_5162 Depth=2
	v_bfe_u32 v34, v10, 20, 1
	s_delay_alu instid0(VALU_DEP_1) | instskip(NEXT) | instid1(VALU_DEP_1)
	v_add_nc_u64_e32 v[86:87], v[10:11], v[34:35]
	v_add_nc_u64_e32 v[86:87], -1, v[86:87]
; %bb.5817:                             ;   in Loop: Header=BB2_5162 Depth=2
	s_or_b32 exec_lo, exec_lo, s40
	v_add_nc_u32_e32 v11, 0xffffff81, v63
	v_lshrrev_b32_e32 v34, 23, v10
	s_mov_b32 s10, exec_lo
	s_delay_alu instid0(VALU_DEP_2) | instskip(NEXT) | instid1(VALU_DEP_1)
	v_cndmask_b32_e64 v11, v11, 0xffffff82, vcc_lo
	v_add3_u32 v87, v73, v11, v34
	v_and_b32_e32 v11, 0xfffff, v86
                                        ; implicit-def: $vgpr86
	s_delay_alu instid0(VALU_DEP_1) | instskip(NEXT) | instid1(VALU_DEP_1)
	v_dual_add_nc_u32 v63, 6, v87 :: v_dual_add_nc_u32 v34, v11, v10
                                        ; implicit-def: $vgpr10_vgpr11
	v_cmpx_ne_u32_e32 0, v63
	s_xor_b32 s10, exec_lo, s10
; %bb.5818:                             ;   in Loop: Header=BB2_5162 Depth=2
	s_delay_alu instid0(VALU_DEP_2) | instskip(SKIP_1) | instid1(VALU_DEP_1)
	v_cmp_lt_u64_e32 vcc_lo, 0xffffff, v[34:35]
	v_add_nc_u32_e32 v10, 7, v87
	v_cndmask_b32_e32 v86, v63, v10, vcc_lo
	v_cndmask_b32_e64 v10, 0, 1, vcc_lo
	s_delay_alu instid0(VALU_DEP_1)
	v_lshrrev_b64 v[10:11], v10, v[34:35]
; %bb.5819:                             ;   in Loop: Header=BB2_5162 Depth=2
	s_and_not1_saveexec_b32 s10, s10
; %bb.5820:                             ;   in Loop: Header=BB2_5162 Depth=2
	v_mov_b64_e32 v[10:11], v[34:35]
	v_bfe_u32 v86, v34, 23, 1
; %bb.5821:                             ;   in Loop: Header=BB2_5162 Depth=2
	s_or_b32 exec_lo, exec_lo, s10
	s_delay_alu instid0(VALU_DEP_2) | instskip(NEXT) | instid1(VALU_DEP_2)
	v_lshrrev_b64 v[10:11], 20, v[10:11]
	v_cmp_gt_i32_e32 vcc_lo, 16, v86
	v_min_i32_e32 v34, 15, v86
	v_cmp_eq_u32_e64 s10, 0, v86
	s_delay_alu instid0(VALU_DEP_2) | instskip(SKIP_1) | instid1(VALU_DEP_2)
	v_dual_cndmask_b32 v11, 0, v11 :: v_dual_lshlrev_b32 v34, 3, v34
	v_cndmask_b32_e32 v10, 7, v10, vcc_lo
	v_and_b32_e32 v34, 0xf8, v34
	s_delay_alu instid0(VALU_DEP_2) | instskip(NEXT) | instid1(VALU_DEP_2)
	v_cmp_eq_u64_e32 vcc_lo, 0, v[10:11]
	v_and_or_b32 v10, v10, 7, v34
	s_and_b32 s10, s10, vcc_lo
	s_delay_alu instid0(VALU_DEP_1) | instid1(SALU_CYCLE_1)
	v_cndmask_b32_e64 v10, v10, 0, s10
	s_delay_alu instid0(VALU_DEP_1)
	v_or_b32_e32 v63, v10, v72
.LBB2_5822:                             ;   in Loop: Header=BB2_5162 Depth=2
	s_or_b32 exec_lo, exec_lo, s29
                                        ; implicit-def: $vgpr72
.LBB2_5823:                             ;   in Loop: Header=BB2_5162 Depth=2
	s_and_not1_saveexec_b32 s10, s28
; %bb.5824:                             ;   in Loop: Header=BB2_5162 Depth=2
	v_or_b32_e32 v63, 0x7e, v72
; %bb.5825:                             ;   in Loop: Header=BB2_5162 Depth=2
	s_or_b32 exec_lo, exec_lo, s10
                                        ; implicit-def: $vgpr11
.LBB2_5826:                             ;   in Loop: Header=BB2_5162 Depth=2
	s_and_not1_saveexec_b32 s10, s27
; %bb.5827:                             ;   in Loop: Header=BB2_5162 Depth=2
	v_or_b32_e32 v63, 0x7f, v11
; %bb.5828:                             ;   in Loop: Header=BB2_5162 Depth=2
	s_or_b32 exec_lo, exec_lo, s10
	v_and_b32_e32 v11, 0xff, v13
	v_dual_mov_b32 v34, v13 :: v_dual_mov_b32 v10, 0
	s_mov_b32 s10, exec_lo
	s_delay_alu instid0(VALU_DEP_2)
	v_cmpx_ne_u16_e32 0, v11
	s_cbranch_execz .LBB2_5834
; %bb.5829:                             ;   in Loop: Header=BB2_5162 Depth=2
	v_bfrev_b32_e32 v10, 1
	s_mov_b32 s27, exec_lo
	v_cmpx_ne_u16_e32 0x80, v11
	s_cbranch_execz .LBB2_5833
; %bb.5830:                             ;   in Loop: Header=BB2_5162 Depth=2
	v_and_b32_e32 v11, 0x7f, v13
	v_mov_b32_e32 v10, 0x7f800001
	s_mov_b32 s28, exec_lo
	s_delay_alu instid0(VALU_DEP_2)
	v_cmpx_ne_u32_e32 0x7f, v11
	s_cbranch_execz .LBB2_5832
; %bb.5831:                             ;   in Loop: Header=BB2_5162 Depth=2
	v_dual_lshrrev_b32 v86, 3, v11 :: v_dual_bitop2_b32 v10, 7, v13 bitop3:0x40
	v_cmp_gt_u32_e32 vcc_lo, 8, v11
	s_delay_alu instid0(VALU_DEP_2) | instskip(NEXT) | instid1(VALU_DEP_1)
	v_clz_i32_u32_e32 v10, v10
	v_min_u32_e32 v10, 32, v10
	s_delay_alu instid0(VALU_DEP_1) | instskip(SKIP_1) | instid1(VALU_DEP_1)
	v_subrev_nc_u32_e32 v87, 28, v10
	v_sub_nc_u32_e32 v10, 29, v10
	v_dual_cndmask_b32 v86, v86, v10, vcc_lo :: v_dual_cndmask_b32 v10, 0, v87, vcc_lo
	s_delay_alu instid0(VALU_DEP_1) | instskip(NEXT) | instid1(VALU_DEP_2)
	v_lshl_add_u32 v86, v86, 23, 0x3c000000
	v_lshlrev_b64_e32 v[10:11], v10, v[34:35]
	v_lshlrev_b32_e32 v11, 24, v34
	s_delay_alu instid0(VALU_DEP_1) | instskip(NEXT) | instid1(VALU_DEP_3)
	v_and_b32_e32 v11, 0x80000000, v11
	v_lshlrev_b32_e32 v10, 20, v10
	s_delay_alu instid0(VALU_DEP_1) | instskip(NEXT) | instid1(VALU_DEP_1)
	v_and_b32_e32 v10, 0x700000, v10
	v_or3_b32 v10, v10, v11, v86
.LBB2_5832:                             ;   in Loop: Header=BB2_5162 Depth=2
	s_or_b32 exec_lo, exec_lo, s28
.LBB2_5833:                             ;   in Loop: Header=BB2_5162 Depth=2
	s_delay_alu instid0(SALU_CYCLE_1)
	s_or_b32 exec_lo, exec_lo, s27
.LBB2_5834:                             ;   in Loop: Header=BB2_5162 Depth=2
	s_delay_alu instid0(SALU_CYCLE_1) | instskip(NEXT) | instid1(VALU_DEP_1)
	s_or_b32 exec_lo, exec_lo, s10
	v_dual_mul_f32 v10, s26, v10 :: v_dual_mov_b32 v87, v35
                                        ; implicit-def: $vgpr72
	s_mov_b32 s10, exec_lo
	s_delay_alu instid0(VALU_DEP_1) | instskip(SKIP_1) | instid1(VALU_DEP_2)
	v_and_b32_e32 v86, 0x7f800000, v10
	v_lshrrev_b32_e32 v11, 24, v10
	v_cmpx_ne_u64_e32 0x7f800000, v[86:87]
	s_xor_b32 s27, exec_lo, s10
	s_cbranch_execz .LBB2_5848
; %bb.5835:                             ;   in Loop: Header=BB2_5162 Depth=2
	v_and_b32_e32 v86, 0x7fffffff, v10
	v_mov_b32_e32 v87, v35
	v_and_b32_e32 v73, 0x80, v11
                                        ; implicit-def: $vgpr72
	s_mov_b32 s10, exec_lo
	s_delay_alu instid0(VALU_DEP_2)
	v_cmpx_gt_u64_e32 0x43e00001, v[86:87]
	s_xor_b32 s28, exec_lo, s10
	s_cbranch_execz .LBB2_5845
; %bb.5836:                             ;   in Loop: Header=BB2_5162 Depth=2
	v_mov_b32_e32 v72, 0
	s_mov_b32 s29, exec_lo
	v_cmpx_ne_u32_e32 0, v10
	s_cbranch_execz .LBB2_5844
; %bb.5837:                             ;   in Loop: Header=BB2_5162 Depth=2
	v_bfe_u32 v72, v10, 23, 8
	v_and_b32_e32 v86, 0x7fffff, v10
	s_mov_b32 s40, exec_lo
	s_delay_alu instid0(VALU_DEP_2) | instskip(NEXT) | instid1(VALU_DEP_2)
	v_cmp_gt_u32_e32 vcc_lo, 0x7a, v72
	v_or_b32_e32 v87, 0x800000, v86
	v_sub_nc_u32_e32 v11, 0x79, v72
	s_delay_alu instid0(VALU_DEP_1) | instskip(SKIP_1) | instid1(VALU_DEP_2)
	v_cndmask_b32_e32 v11, 0, v11, vcc_lo
	v_cmp_eq_u32_e32 vcc_lo, 0, v72
	v_cndmask_b32_e64 v74, v11, 0x78, vcc_lo
	v_cndmask_b32_e32 v86, v87, v86, vcc_lo
	s_delay_alu instid0(VALU_DEP_2) | instskip(SKIP_1) | instid1(VALU_DEP_2)
	v_dual_mov_b32 v87, v35 :: v_dual_add_nc_u32 v75, 19, v74
	v_add_nc_u32_e32 v10, 20, v74
	v_lshlrev_b64_e64 v[76:77], v75, 1
	s_delay_alu instid0(VALU_DEP_2) | instskip(NEXT) | instid1(VALU_DEP_1)
	v_lshlrev_b64_e64 v[10:11], v10, -1
	v_bfi_b32 v79, v11, 0, 0
	s_delay_alu instid0(VALU_DEP_2) | instskip(SKIP_1) | instid1(VALU_DEP_1)
	v_bfi_b32 v78, v10, 0, v86
	v_lshrrev_b64 v[10:11], v74, v[86:87]
	v_mov_b64_e32 v[86:87], v[10:11]
	s_delay_alu instid0(VALU_DEP_3)
	v_cmpx_eq_u64_e64 v[78:79], v[76:77]
; %bb.5838:                             ;   in Loop: Header=BB2_5162 Depth=2
	v_bfe_u32 v86, v10, 20, 1
	v_mov_b32_e32 v87, v35
	s_delay_alu instid0(VALU_DEP_1) | instskip(NEXT) | instid1(VALU_DEP_1)
	v_add_nc_u64_e32 v[86:87], v[10:11], v[86:87]
	v_add_nc_u64_e32 v[86:87], -1, v[86:87]
; %bb.5839:                             ;   in Loop: Header=BB2_5162 Depth=2
	s_or_b32 exec_lo, exec_lo, s40
	v_add_nc_u32_e32 v11, 0xffffff81, v72
	v_lshrrev_b32_e32 v87, 23, v10
	s_mov_b32 s10, exec_lo
	s_delay_alu instid0(VALU_DEP_2) | instskip(NEXT) | instid1(VALU_DEP_1)
	v_cndmask_b32_e64 v11, v11, 0xffffff82, vcc_lo
	v_add3_u32 v87, v74, v11, v87
	v_and_b32_e32 v11, 0xfffff, v86
                                        ; implicit-def: $vgpr86
	s_delay_alu instid0(VALU_DEP_1) | instskip(SKIP_1) | instid1(VALU_DEP_2)
	v_dual_add_nc_u32 v72, 6, v87 :: v_dual_add_nc_u32 v10, v11, v10
	v_mov_b32_e32 v11, v35
	v_cmpx_ne_u32_e32 0, v72
	s_xor_b32 s10, exec_lo, s10
; %bb.5840:                             ;   in Loop: Header=BB2_5162 Depth=2
	s_delay_alu instid0(VALU_DEP_2) | instskip(SKIP_2) | instid1(VALU_DEP_2)
	v_cmp_lt_u64_e32 vcc_lo, 0xffffff, v[10:11]
	v_add_nc_u32_e32 v86, 7, v87
	v_cndmask_b32_e64 v87, 0, 1, vcc_lo
	v_cndmask_b32_e32 v86, v72, v86, vcc_lo
	s_delay_alu instid0(VALU_DEP_2)
	v_lshrrev_b64 v[10:11], v87, v[10:11]
; %bb.5841:                             ;   in Loop: Header=BB2_5162 Depth=2
	s_and_not1_saveexec_b32 s10, s10
; %bb.5842:                             ;   in Loop: Header=BB2_5162 Depth=2
	s_delay_alu instid0(VALU_DEP_1)
	v_bfe_u32 v86, v10, 23, 1
; %bb.5843:                             ;   in Loop: Header=BB2_5162 Depth=2
	s_or_b32 exec_lo, exec_lo, s10
	s_delay_alu instid0(VALU_DEP_2) | instskip(NEXT) | instid1(VALU_DEP_2)
	v_lshrrev_b64 v[10:11], 20, v[10:11]
	v_cmp_gt_i32_e32 vcc_lo, 16, v86
	v_min_i32_e32 v87, 15, v86
	v_cmp_eq_u32_e64 s10, 0, v86
	s_delay_alu instid0(VALU_DEP_4) | instskip(NEXT) | instid1(VALU_DEP_3)
	v_cndmask_b32_e32 v11, 0, v11, vcc_lo
	v_dual_cndmask_b32 v10, 7, v10 :: v_dual_lshlrev_b32 v87, 3, v87
	s_delay_alu instid0(VALU_DEP_1) | instskip(NEXT) | instid1(VALU_DEP_2)
	v_and_b32_e32 v87, 0xf8, v87
	v_cmp_eq_u64_e32 vcc_lo, 0, v[10:11]
	s_delay_alu instid0(VALU_DEP_2)
	v_and_or_b32 v10, v10, 7, v87
	s_and_b32 s10, s10, vcc_lo
	s_delay_alu instid0(VALU_DEP_1) | instid1(SALU_CYCLE_1)
	v_cndmask_b32_e64 v10, v10, 0, s10
	s_delay_alu instid0(VALU_DEP_1)
	v_or_b32_e32 v72, v10, v73
.LBB2_5844:                             ;   in Loop: Header=BB2_5162 Depth=2
	s_or_b32 exec_lo, exec_lo, s29
                                        ; implicit-def: $vgpr73
.LBB2_5845:                             ;   in Loop: Header=BB2_5162 Depth=2
	s_and_not1_saveexec_b32 s10, s28
; %bb.5846:                             ;   in Loop: Header=BB2_5162 Depth=2
	v_or_b32_e32 v72, 0x7e, v73
; %bb.5847:                             ;   in Loop: Header=BB2_5162 Depth=2
	s_or_b32 exec_lo, exec_lo, s10
                                        ; implicit-def: $vgpr11
.LBB2_5848:                             ;   in Loop: Header=BB2_5162 Depth=2
	s_and_not1_saveexec_b32 s10, s27
; %bb.5849:                             ;   in Loop: Header=BB2_5162 Depth=2
	v_or_b32_e32 v72, 0x7f, v11
; %bb.5850:                             ;   in Loop: Header=BB2_5162 Depth=2
	s_or_b32 exec_lo, exec_lo, s10
	v_lshrrev_b16 v11, 8, v34
	v_mov_b32_e32 v10, 0
	s_mov_b32 s10, exec_lo
	s_delay_alu instid0(VALU_DEP_2)
	v_cmpx_ne_u16_e32 0, v11
	s_cbranch_execz .LBB2_5858
; %bb.5851:                             ;   in Loop: Header=BB2_5162 Depth=2
	v_bfrev_b32_e32 v10, 1
	s_mov_b32 s27, exec_lo
	v_cmpx_ne_u16_e32 0x80, v11
	s_cbranch_execz .LBB2_5857
; %bb.5852:                             ;   in Loop: Header=BB2_5162 Depth=2
	v_and_b32_e32 v11, 0xffff, v11
	v_mov_b32_e32 v10, 0x7f800001
	s_mov_b32 s28, exec_lo
	s_delay_alu instid0(VALU_DEP_2) | instskip(NEXT) | instid1(VALU_DEP_1)
	v_and_b32_e32 v87, 0x7f, v11
	v_cmpx_ne_u32_e32 0x7f, v87
	s_cbranch_execz .LBB2_5856
; %bb.5853:                             ;   in Loop: Header=BB2_5162 Depth=2
	v_dual_mov_b32 v11, v35 :: v_dual_bitop2_b32 v10, 7, v11 bitop3:0x40
	v_lshrrev_b32_e32 v86, 3, v87
	s_mov_b32 s29, exec_lo
	v_cmpx_gt_u32_e32 8, v87
; %bb.5854:                             ;   in Loop: Header=BB2_5162 Depth=2
	s_delay_alu instid0(VALU_DEP_3) | instskip(NEXT) | instid1(VALU_DEP_1)
	v_clz_i32_u32_e32 v86, v10
	v_min_u32_e32 v86, 32, v86
	s_delay_alu instid0(VALU_DEP_1) | instskip(SKIP_1) | instid1(VALU_DEP_2)
	v_subrev_nc_u32_e32 v87, 28, v86
	v_sub_nc_u32_e32 v86, 29, v86
	v_lshlrev_b64_e32 v[10:11], v87, v[10:11]
	s_delay_alu instid0(VALU_DEP_1)
	v_and_b32_e32 v10, 7, v10
; %bb.5855:                             ;   in Loop: Header=BB2_5162 Depth=2
	s_or_b32 exec_lo, exec_lo, s29
	v_lshlrev_b32_e32 v11, 16, v34
	s_delay_alu instid0(VALU_DEP_2) | instskip(SKIP_1) | instid1(VALU_DEP_3)
	v_lshlrev_b32_e32 v10, 20, v10
	v_lshl_add_u32 v34, v86, 23, 0x3c000000
	v_and_b32_e32 v11, 0x80000000, v11
	s_delay_alu instid0(VALU_DEP_1)
	v_or3_b32 v10, v10, v11, v34
.LBB2_5856:                             ;   in Loop: Header=BB2_5162 Depth=2
	s_or_b32 exec_lo, exec_lo, s28
.LBB2_5857:                             ;   in Loop: Header=BB2_5162 Depth=2
	s_delay_alu instid0(SALU_CYCLE_1)
	s_or_b32 exec_lo, exec_lo, s27
.LBB2_5858:                             ;   in Loop: Header=BB2_5162 Depth=2
	s_delay_alu instid0(SALU_CYCLE_1) | instskip(NEXT) | instid1(VALU_DEP_1)
	s_or_b32 exec_lo, exec_lo, s10
	v_mul_f32_e32 v10, s26, v10
                                        ; implicit-def: $vgpr73
	s_mov_b32 s10, exec_lo
	s_delay_alu instid0(VALU_DEP_1) | instskip(SKIP_1) | instid1(VALU_DEP_2)
	v_and_b32_e32 v34, 0x7f800000, v10
	v_lshrrev_b32_e32 v11, 24, v10
	v_cmpx_ne_u64_e32 0x7f800000, v[34:35]
	s_xor_b32 s27, exec_lo, s10
	s_cbranch_execz .LBB2_5872
; %bb.5859:                             ;   in Loop: Header=BB2_5162 Depth=2
	v_and_b32_e32 v34, 0x7fffffff, v10
	v_and_b32_e32 v74, 0x80, v11
                                        ; implicit-def: $vgpr73
	s_mov_b32 s10, exec_lo
	s_delay_alu instid0(VALU_DEP_2)
	v_cmpx_gt_u64_e32 0x43e00001, v[34:35]
	s_xor_b32 s28, exec_lo, s10
	s_cbranch_execz .LBB2_5869
; %bb.5860:                             ;   in Loop: Header=BB2_5162 Depth=2
	v_mov_b32_e32 v73, 0
	s_mov_b32 s29, exec_lo
	v_cmpx_ne_u32_e32 0, v10
	s_cbranch_execz .LBB2_5868
; %bb.5861:                             ;   in Loop: Header=BB2_5162 Depth=2
	v_bfe_u32 v73, v10, 23, 8
	v_and_b32_e32 v34, 0x7fffff, v10
	s_delay_alu instid0(VALU_DEP_2) | instskip(NEXT) | instid1(VALU_DEP_2)
	v_cmp_gt_u32_e32 vcc_lo, 0x7a, v73
	v_or_b32_e32 v86, 0x800000, v34
	v_sub_nc_u32_e32 v11, 0x79, v73
	s_delay_alu instid0(VALU_DEP_1) | instskip(SKIP_1) | instid1(VALU_DEP_2)
	v_cndmask_b32_e32 v11, 0, v11, vcc_lo
	v_cmp_eq_u32_e32 vcc_lo, 0, v73
	v_cndmask_b32_e64 v75, v11, 0x78, vcc_lo
	s_delay_alu instid0(VALU_DEP_1) | instskip(SKIP_1) | instid1(VALU_DEP_2)
	v_dual_cndmask_b32 v34, v86, v34, vcc_lo :: v_dual_add_nc_u32 v10, 20, v75
	v_add_nc_u32_e32 v87, 19, v75
	v_lshlrev_b64_e64 v[10:11], v10, -1
	s_delay_alu instid0(VALU_DEP_2) | instskip(NEXT) | instid1(VALU_DEP_2)
	v_lshlrev_b64_e64 v[86:87], v87, 1
	v_bfi_b32 v77, v11, 0, 0
	s_delay_alu instid0(VALU_DEP_3) | instskip(SKIP_1) | instid1(VALU_DEP_2)
	v_bfi_b32 v76, v10, 0, v34
	v_lshrrev_b64 v[10:11], v75, v[34:35]
	v_cmp_eq_u64_e64 s10, v[76:77], v[86:87]
	s_delay_alu instid0(VALU_DEP_2)
	v_mov_b64_e32 v[86:87], v[10:11]
	s_and_saveexec_b32 s40, s10
; %bb.5862:                             ;   in Loop: Header=BB2_5162 Depth=2
	v_bfe_u32 v34, v10, 20, 1
	s_delay_alu instid0(VALU_DEP_1) | instskip(NEXT) | instid1(VALU_DEP_1)
	v_add_nc_u64_e32 v[86:87], v[10:11], v[34:35]
	v_add_nc_u64_e32 v[86:87], -1, v[86:87]
; %bb.5863:                             ;   in Loop: Header=BB2_5162 Depth=2
	s_or_b32 exec_lo, exec_lo, s40
	v_add_nc_u32_e32 v11, 0xffffff81, v73
	v_lshrrev_b32_e32 v34, 23, v10
	s_mov_b32 s10, exec_lo
	s_delay_alu instid0(VALU_DEP_2) | instskip(NEXT) | instid1(VALU_DEP_1)
	v_cndmask_b32_e64 v11, v11, 0xffffff82, vcc_lo
	v_add3_u32 v87, v75, v11, v34
	v_and_b32_e32 v11, 0xfffff, v86
                                        ; implicit-def: $vgpr86
	s_delay_alu instid0(VALU_DEP_1) | instskip(NEXT) | instid1(VALU_DEP_1)
	v_dual_add_nc_u32 v73, 6, v87 :: v_dual_add_nc_u32 v34, v11, v10
                                        ; implicit-def: $vgpr10_vgpr11
	v_cmpx_ne_u32_e32 0, v73
	s_xor_b32 s10, exec_lo, s10
; %bb.5864:                             ;   in Loop: Header=BB2_5162 Depth=2
	s_delay_alu instid0(VALU_DEP_2) | instskip(SKIP_1) | instid1(VALU_DEP_1)
	v_cmp_lt_u64_e32 vcc_lo, 0xffffff, v[34:35]
	v_add_nc_u32_e32 v10, 7, v87
	v_cndmask_b32_e32 v86, v73, v10, vcc_lo
	v_cndmask_b32_e64 v10, 0, 1, vcc_lo
	s_delay_alu instid0(VALU_DEP_1)
	v_lshrrev_b64 v[10:11], v10, v[34:35]
; %bb.5865:                             ;   in Loop: Header=BB2_5162 Depth=2
	s_and_not1_saveexec_b32 s10, s10
; %bb.5866:                             ;   in Loop: Header=BB2_5162 Depth=2
	v_mov_b64_e32 v[10:11], v[34:35]
	v_bfe_u32 v86, v34, 23, 1
; %bb.5867:                             ;   in Loop: Header=BB2_5162 Depth=2
	s_or_b32 exec_lo, exec_lo, s10
	s_delay_alu instid0(VALU_DEP_2) | instskip(NEXT) | instid1(VALU_DEP_2)
	v_lshrrev_b64 v[10:11], 20, v[10:11]
	v_cmp_gt_i32_e32 vcc_lo, 16, v86
	v_min_i32_e32 v34, 15, v86
	v_cmp_eq_u32_e64 s10, 0, v86
	s_delay_alu instid0(VALU_DEP_2) | instskip(SKIP_1) | instid1(VALU_DEP_2)
	v_dual_cndmask_b32 v11, 0, v11 :: v_dual_lshlrev_b32 v34, 3, v34
	v_cndmask_b32_e32 v10, 7, v10, vcc_lo
	v_and_b32_e32 v34, 0xf8, v34
	s_delay_alu instid0(VALU_DEP_2) | instskip(NEXT) | instid1(VALU_DEP_2)
	v_cmp_eq_u64_e32 vcc_lo, 0, v[10:11]
	v_and_or_b32 v10, v10, 7, v34
	s_and_b32 s10, s10, vcc_lo
	s_delay_alu instid0(VALU_DEP_1) | instid1(SALU_CYCLE_1)
	v_cndmask_b32_e64 v10, v10, 0, s10
	s_delay_alu instid0(VALU_DEP_1)
	v_or_b32_e32 v73, v10, v74
.LBB2_5868:                             ;   in Loop: Header=BB2_5162 Depth=2
	s_or_b32 exec_lo, exec_lo, s29
                                        ; implicit-def: $vgpr74
.LBB2_5869:                             ;   in Loop: Header=BB2_5162 Depth=2
	s_and_not1_saveexec_b32 s10, s28
; %bb.5870:                             ;   in Loop: Header=BB2_5162 Depth=2
	v_or_b32_e32 v73, 0x7e, v74
; %bb.5871:                             ;   in Loop: Header=BB2_5162 Depth=2
	s_or_b32 exec_lo, exec_lo, s10
                                        ; implicit-def: $vgpr11
.LBB2_5872:                             ;   in Loop: Header=BB2_5162 Depth=2
	s_and_not1_saveexec_b32 s10, s27
; %bb.5873:                             ;   in Loop: Header=BB2_5162 Depth=2
	v_or_b32_e32 v73, 0x7f, v11
; %bb.5874:                             ;   in Loop: Header=BB2_5162 Depth=2
	s_or_b32 exec_lo, exec_lo, s10
	v_dual_mov_b32 v11, 0 :: v_dual_lshrrev_b32 v10, 16, v13
	s_mov_b32 s10, exec_lo
	s_delay_alu instid0(VALU_DEP_1) | instskip(NEXT) | instid1(VALU_DEP_1)
	v_and_b32_e32 v34, 0xff, v10
	v_cmpx_ne_u16_e32 0, v34
	s_cbranch_execz .LBB2_5882
; %bb.5875:                             ;   in Loop: Header=BB2_5162 Depth=2
	v_bfrev_b32_e32 v11, 1
	s_mov_b32 s27, exec_lo
	v_cmpx_ne_u16_e32 0x80, v34
	s_cbranch_execz .LBB2_5881
; %bb.5876:                             ;   in Loop: Header=BB2_5162 Depth=2
	v_bfe_u32 v86, v13, 16, 7
	v_mov_b32_e32 v11, 0x7f800001
	s_mov_b32 s28, exec_lo
	s_delay_alu instid0(VALU_DEP_2)
	v_cmpx_ne_u32_e32 0x7f, v86
	s_cbranch_execz .LBB2_5880
; %bb.5877:                             ;   in Loop: Header=BB2_5162 Depth=2
	v_and_b32_e32 v34, 7, v10
	v_lshrrev_b32_e32 v11, 3, v86
	s_mov_b32 s29, exec_lo
	v_cmpx_gt_u32_e32 8, v86
; %bb.5878:                             ;   in Loop: Header=BB2_5162 Depth=2
	s_delay_alu instid0(VALU_DEP_3) | instskip(NEXT) | instid1(VALU_DEP_1)
	v_clz_i32_u32_e32 v11, v34
	v_min_u32_e32 v11, 32, v11
	s_delay_alu instid0(VALU_DEP_1) | instskip(NEXT) | instid1(VALU_DEP_1)
	v_subrev_nc_u32_e32 v86, 28, v11
	v_lshlrev_b64_e32 v[86:87], v86, v[34:35]
	s_delay_alu instid0(VALU_DEP_1)
	v_dual_sub_nc_u32 v11, 29, v11 :: v_dual_bitop2_b32 v34, 7, v86 bitop3:0x40
; %bb.5879:                             ;   in Loop: Header=BB2_5162 Depth=2
	s_or_b32 exec_lo, exec_lo, s29
	v_lshlrev_b32_e32 v10, 24, v10
	s_delay_alu instid0(VALU_DEP_2) | instskip(NEXT) | instid1(VALU_DEP_3)
	v_lshlrev_b32_e32 v34, 20, v34
	v_lshl_add_u32 v11, v11, 23, 0x3c000000
	s_delay_alu instid0(VALU_DEP_3) | instskip(NEXT) | instid1(VALU_DEP_1)
	v_and_b32_e32 v10, 0x80000000, v10
	v_or3_b32 v11, v34, v10, v11
.LBB2_5880:                             ;   in Loop: Header=BB2_5162 Depth=2
	s_or_b32 exec_lo, exec_lo, s28
.LBB2_5881:                             ;   in Loop: Header=BB2_5162 Depth=2
	s_delay_alu instid0(SALU_CYCLE_1)
	s_or_b32 exec_lo, exec_lo, s27
.LBB2_5882:                             ;   in Loop: Header=BB2_5162 Depth=2
	s_delay_alu instid0(SALU_CYCLE_1) | instskip(NEXT) | instid1(VALU_DEP_1)
	s_or_b32 exec_lo, exec_lo, s10
	v_mul_f32_e32 v10, s26, v11
                                        ; implicit-def: $vgpr86
	s_mov_b32 s10, exec_lo
	s_delay_alu instid0(VALU_DEP_1) | instskip(SKIP_1) | instid1(VALU_DEP_2)
	v_and_b32_e32 v34, 0x7f800000, v10
	v_lshrrev_b32_e32 v11, 24, v10
	v_cmpx_ne_u64_e32 0x7f800000, v[34:35]
	s_xor_b32 s27, exec_lo, s10
	s_cbranch_execz .LBB2_5896
; %bb.5883:                             ;   in Loop: Header=BB2_5162 Depth=2
	v_and_b32_e32 v34, 0x7fffffff, v10
	v_and_b32_e32 v74, 0x80, v11
                                        ; implicit-def: $vgpr86
	s_mov_b32 s10, exec_lo
	s_delay_alu instid0(VALU_DEP_2)
	v_cmpx_gt_u64_e32 0x43e00001, v[34:35]
	s_xor_b32 s28, exec_lo, s10
	s_cbranch_execz .LBB2_5893
; %bb.5884:                             ;   in Loop: Header=BB2_5162 Depth=2
	v_mov_b32_e32 v86, 0
	s_mov_b32 s29, exec_lo
	v_cmpx_ne_u32_e32 0, v10
	s_cbranch_execz .LBB2_5892
; %bb.5885:                             ;   in Loop: Header=BB2_5162 Depth=2
	v_bfe_u32 v75, v10, 23, 8
	v_and_b32_e32 v34, 0x7fffff, v10
	s_delay_alu instid0(VALU_DEP_2) | instskip(NEXT) | instid1(VALU_DEP_2)
	v_cmp_gt_u32_e32 vcc_lo, 0x7a, v75
	v_or_b32_e32 v86, 0x800000, v34
	v_sub_nc_u32_e32 v11, 0x79, v75
	s_delay_alu instid0(VALU_DEP_1) | instskip(SKIP_1) | instid1(VALU_DEP_2)
	v_cndmask_b32_e32 v11, 0, v11, vcc_lo
	v_cmp_eq_u32_e32 vcc_lo, 0, v75
	v_cndmask_b32_e64 v76, v11, 0x78, vcc_lo
	s_delay_alu instid0(VALU_DEP_1) | instskip(SKIP_1) | instid1(VALU_DEP_2)
	v_dual_cndmask_b32 v34, v86, v34, vcc_lo :: v_dual_add_nc_u32 v10, 20, v76
	v_add_nc_u32_e32 v87, 19, v76
	v_lshlrev_b64_e64 v[10:11], v10, -1
	s_delay_alu instid0(VALU_DEP_2) | instskip(NEXT) | instid1(VALU_DEP_2)
	v_lshlrev_b64_e64 v[86:87], v87, 1
	v_bfi_b32 v79, v11, 0, 0
	s_delay_alu instid0(VALU_DEP_3) | instskip(SKIP_1) | instid1(VALU_DEP_2)
	v_bfi_b32 v78, v10, 0, v34
	v_lshrrev_b64 v[10:11], v76, v[34:35]
	v_cmp_eq_u64_e64 s10, v[78:79], v[86:87]
	s_delay_alu instid0(VALU_DEP_2)
	v_mov_b64_e32 v[86:87], v[10:11]
	s_and_saveexec_b32 s40, s10
; %bb.5886:                             ;   in Loop: Header=BB2_5162 Depth=2
	v_bfe_u32 v34, v10, 20, 1
	s_delay_alu instid0(VALU_DEP_1) | instskip(NEXT) | instid1(VALU_DEP_1)
	v_add_nc_u64_e32 v[86:87], v[10:11], v[34:35]
	v_add_nc_u64_e32 v[86:87], -1, v[86:87]
; %bb.5887:                             ;   in Loop: Header=BB2_5162 Depth=2
	s_or_b32 exec_lo, exec_lo, s40
	v_add_nc_u32_e32 v11, 0xffffff81, v75
	v_lshrrev_b32_e32 v34, 23, v10
	s_mov_b32 s10, exec_lo
	s_delay_alu instid0(VALU_DEP_2) | instskip(NEXT) | instid1(VALU_DEP_1)
	v_cndmask_b32_e64 v11, v11, 0xffffff82, vcc_lo
	v_add3_u32 v87, v76, v11, v34
	v_and_b32_e32 v11, 0xfffff, v86
                                        ; implicit-def: $vgpr86
	s_delay_alu instid0(VALU_DEP_1) | instskip(NEXT) | instid1(VALU_DEP_1)
	v_dual_add_nc_u32 v75, 6, v87 :: v_dual_add_nc_u32 v34, v11, v10
                                        ; implicit-def: $vgpr10_vgpr11
	v_cmpx_ne_u32_e32 0, v75
	s_xor_b32 s10, exec_lo, s10
; %bb.5888:                             ;   in Loop: Header=BB2_5162 Depth=2
	s_delay_alu instid0(VALU_DEP_2) | instskip(SKIP_1) | instid1(VALU_DEP_1)
	v_cmp_lt_u64_e32 vcc_lo, 0xffffff, v[34:35]
	v_add_nc_u32_e32 v10, 7, v87
	v_cndmask_b32_e32 v86, v75, v10, vcc_lo
	v_cndmask_b32_e64 v10, 0, 1, vcc_lo
	s_delay_alu instid0(VALU_DEP_1)
	v_lshrrev_b64 v[10:11], v10, v[34:35]
; %bb.5889:                             ;   in Loop: Header=BB2_5162 Depth=2
	s_and_not1_saveexec_b32 s10, s10
; %bb.5890:                             ;   in Loop: Header=BB2_5162 Depth=2
	v_mov_b64_e32 v[10:11], v[34:35]
	v_bfe_u32 v86, v34, 23, 1
; %bb.5891:                             ;   in Loop: Header=BB2_5162 Depth=2
	s_or_b32 exec_lo, exec_lo, s10
	s_delay_alu instid0(VALU_DEP_2) | instskip(NEXT) | instid1(VALU_DEP_2)
	v_lshrrev_b64 v[10:11], 20, v[10:11]
	v_cmp_gt_i32_e32 vcc_lo, 16, v86
	v_min_i32_e32 v34, 15, v86
	v_cmp_eq_u32_e64 s10, 0, v86
	s_delay_alu instid0(VALU_DEP_2) | instskip(SKIP_1) | instid1(VALU_DEP_2)
	v_dual_cndmask_b32 v11, 0, v11 :: v_dual_lshlrev_b32 v34, 3, v34
	v_cndmask_b32_e32 v10, 7, v10, vcc_lo
	v_and_b32_e32 v34, 0xf8, v34
	s_delay_alu instid0(VALU_DEP_2) | instskip(NEXT) | instid1(VALU_DEP_2)
	v_cmp_eq_u64_e32 vcc_lo, 0, v[10:11]
	v_and_or_b32 v10, v10, 7, v34
	s_and_b32 s10, s10, vcc_lo
	s_delay_alu instid0(VALU_DEP_1) | instid1(SALU_CYCLE_1)
	v_cndmask_b32_e64 v10, v10, 0, s10
	s_delay_alu instid0(VALU_DEP_1)
	v_or_b32_e32 v86, v10, v74
.LBB2_5892:                             ;   in Loop: Header=BB2_5162 Depth=2
	s_or_b32 exec_lo, exec_lo, s29
                                        ; implicit-def: $vgpr74
.LBB2_5893:                             ;   in Loop: Header=BB2_5162 Depth=2
	s_and_not1_saveexec_b32 s10, s28
; %bb.5894:                             ;   in Loop: Header=BB2_5162 Depth=2
	v_or_b32_e32 v86, 0x7e, v74
; %bb.5895:                             ;   in Loop: Header=BB2_5162 Depth=2
	s_or_b32 exec_lo, exec_lo, s10
                                        ; implicit-def: $vgpr11
.LBB2_5896:                             ;   in Loop: Header=BB2_5162 Depth=2
	s_and_not1_saveexec_b32 s10, s27
; %bb.5897:                             ;   in Loop: Header=BB2_5162 Depth=2
	v_or_b32_e32 v86, 0x7f, v11
; %bb.5898:                             ;   in Loop: Header=BB2_5162 Depth=2
	s_or_b32 exec_lo, exec_lo, s10
	v_mov_b32_e32 v11, 0
	s_mov_b32 s10, exec_lo
	v_cmpx_lt_u64_e64 s[12:13], v[12:13]
	s_cbranch_execz .LBB2_5906
; %bb.5899:                             ;   in Loop: Header=BB2_5162 Depth=2
	v_lshrrev_b32_e32 v10, 24, v13
	v_bfrev_b32_e32 v11, 1
	s_mov_b32 s27, exec_lo
	s_delay_alu instid0(VALU_DEP_2)
	v_cmpx_ne_u32_e32 0x80, v10
	s_cbranch_execz .LBB2_5905
; %bb.5900:                             ;   in Loop: Header=BB2_5162 Depth=2
	v_bfe_u32 v12, v13, 24, 7
	v_mov_b32_e32 v11, 0x7f800001
	s_mov_b32 s28, exec_lo
	s_delay_alu instid0(VALU_DEP_2)
	v_cmpx_ne_u32_e32 0x7f, v12
	s_cbranch_execz .LBB2_5904
; %bb.5901:                             ;   in Loop: Header=BB2_5162 Depth=2
	v_dual_lshrrev_b32 v11, 3, v12 :: v_dual_bitop2_b32 v34, 7, v10 bitop3:0x40
	s_mov_b32 s29, exec_lo
	v_cmpx_gt_u32_e32 8, v12
; %bb.5902:                             ;   in Loop: Header=BB2_5162 Depth=2
	s_delay_alu instid0(VALU_DEP_2) | instskip(NEXT) | instid1(VALU_DEP_1)
	v_clz_i32_u32_e32 v11, v34
	v_min_u32_e32 v11, 32, v11
	s_delay_alu instid0(VALU_DEP_1) | instskip(NEXT) | instid1(VALU_DEP_1)
	v_subrev_nc_u32_e32 v12, 28, v11
	v_lshlrev_b64_e32 v[12:13], v12, v[34:35]
	s_delay_alu instid0(VALU_DEP_1)
	v_dual_sub_nc_u32 v11, 29, v11 :: v_dual_bitop2_b32 v34, 7, v12 bitop3:0x40
; %bb.5903:                             ;   in Loop: Header=BB2_5162 Depth=2
	s_or_b32 exec_lo, exec_lo, s29
	v_lshlrev_b32_e32 v10, 24, v10
	s_delay_alu instid0(VALU_DEP_2) | instskip(NEXT) | instid1(VALU_DEP_3)
	v_lshlrev_b32_e32 v12, 20, v34
	v_lshl_add_u32 v11, v11, 23, 0x3c000000
	s_delay_alu instid0(VALU_DEP_3) | instskip(NEXT) | instid1(VALU_DEP_1)
	v_and_b32_e32 v10, 0x80000000, v10
	v_or3_b32 v11, v12, v10, v11
.LBB2_5904:                             ;   in Loop: Header=BB2_5162 Depth=2
	s_or_b32 exec_lo, exec_lo, s28
.LBB2_5905:                             ;   in Loop: Header=BB2_5162 Depth=2
	s_delay_alu instid0(SALU_CYCLE_1)
	s_or_b32 exec_lo, exec_lo, s27
.LBB2_5906:                             ;   in Loop: Header=BB2_5162 Depth=2
	s_delay_alu instid0(SALU_CYCLE_1) | instskip(NEXT) | instid1(VALU_DEP_1)
	s_or_b32 exec_lo, exec_lo, s10
	v_mul_f32_e32 v11, s26, v11
                                        ; implicit-def: $vgpr10
	s_mov_b32 s10, exec_lo
	s_delay_alu instid0(VALU_DEP_1) | instskip(SKIP_1) | instid1(VALU_DEP_2)
	v_and_b32_e32 v34, 0x7f800000, v11
	v_lshrrev_b32_e32 v12, 24, v11
	v_cmpx_ne_u64_e32 0x7f800000, v[34:35]
	s_xor_b32 s26, exec_lo, s10
	s_cbranch_execz .LBB2_5920
; %bb.5907:                             ;   in Loop: Header=BB2_5162 Depth=2
	v_and_b32_e32 v34, 0x7fffffff, v11
	v_and_b32_e32 v87, 0x80, v12
                                        ; implicit-def: $vgpr10
	s_mov_b32 s10, exec_lo
	s_delay_alu instid0(VALU_DEP_2)
	v_cmpx_gt_u64_e32 0x43e00001, v[34:35]
	s_xor_b32 s27, exec_lo, s10
	s_cbranch_execz .LBB2_5917
; %bb.5908:                             ;   in Loop: Header=BB2_5162 Depth=2
	v_mov_b32_e32 v10, 0
	s_mov_b32 s28, exec_lo
	v_cmpx_ne_u32_e32 0, v11
	s_cbranch_execz .LBB2_5916
; %bb.5909:                             ;   in Loop: Header=BB2_5162 Depth=2
	v_bfe_u32 v74, v11, 23, 8
	v_and_b32_e32 v12, 0x7fffff, v11
	s_delay_alu instid0(VALU_DEP_2) | instskip(SKIP_1) | instid1(VALU_DEP_3)
	v_sub_nc_u32_e32 v10, 0x79, v74
	v_cmp_gt_u32_e32 vcc_lo, 0x7a, v74
	v_or_b32_e32 v13, 0x800000, v12
	s_delay_alu instid0(VALU_DEP_3) | instskip(SKIP_1) | instid1(VALU_DEP_2)
	v_cndmask_b32_e32 v10, 0, v10, vcc_lo
	v_cmp_eq_u32_e32 vcc_lo, 0, v74
	v_cndmask_b32_e64 v75, v10, 0x78, vcc_lo
	s_delay_alu instid0(VALU_DEP_1) | instskip(SKIP_1) | instid1(VALU_DEP_2)
	v_dual_cndmask_b32 v34, v13, v12, vcc_lo :: v_dual_add_nc_u32 v10, 20, v75
	v_add_nc_u32_e32 v76, 19, v75
	v_lshlrev_b64_e64 v[10:11], v10, -1
	s_delay_alu instid0(VALU_DEP_2) | instskip(NEXT) | instid1(VALU_DEP_2)
	v_lshlrev_b64_e64 v[12:13], v76, 1
	v_bfi_b32 v77, v11, 0, 0
	s_delay_alu instid0(VALU_DEP_3) | instskip(SKIP_1) | instid1(VALU_DEP_2)
	v_bfi_b32 v76, v10, 0, v34
	v_lshrrev_b64 v[10:11], v75, v[34:35]
	v_cmp_eq_u64_e64 s10, v[76:77], v[12:13]
	s_delay_alu instid0(VALU_DEP_2)
	v_mov_b64_e32 v[12:13], v[10:11]
	s_and_saveexec_b32 s29, s10
; %bb.5910:                             ;   in Loop: Header=BB2_5162 Depth=2
	v_bfe_u32 v34, v10, 20, 1
	s_delay_alu instid0(VALU_DEP_1) | instskip(NEXT) | instid1(VALU_DEP_1)
	v_add_nc_u64_e32 v[12:13], v[10:11], v[34:35]
	v_add_nc_u64_e32 v[12:13], -1, v[12:13]
; %bb.5911:                             ;   in Loop: Header=BB2_5162 Depth=2
	s_or_b32 exec_lo, exec_lo, s29
	v_add_nc_u32_e32 v11, 0xffffff81, v74
	v_lshrrev_b32_e32 v13, 23, v10
	s_mov_b32 s10, exec_lo
	s_delay_alu instid0(VALU_DEP_2) | instskip(NEXT) | instid1(VALU_DEP_1)
	v_cndmask_b32_e64 v11, v11, 0xffffff82, vcc_lo
	v_add3_u32 v13, v75, v11, v13
	v_and_b32_e32 v11, 0xfffff, v12
                                        ; implicit-def: $vgpr12
	s_delay_alu instid0(VALU_DEP_1) | instskip(NEXT) | instid1(VALU_DEP_1)
	v_dual_add_nc_u32 v74, 6, v13 :: v_dual_add_nc_u32 v34, v11, v10
                                        ; implicit-def: $vgpr10_vgpr11
	v_cmpx_ne_u32_e32 0, v74
	s_xor_b32 s10, exec_lo, s10
; %bb.5912:                             ;   in Loop: Header=BB2_5162 Depth=2
	s_delay_alu instid0(VALU_DEP_2) | instskip(SKIP_1) | instid1(VALU_DEP_1)
	v_cmp_lt_u64_e32 vcc_lo, 0xffffff, v[34:35]
	v_add_nc_u32_e32 v10, 7, v13
	v_cndmask_b32_e32 v12, v74, v10, vcc_lo
	v_cndmask_b32_e64 v10, 0, 1, vcc_lo
	s_delay_alu instid0(VALU_DEP_1)
	v_lshrrev_b64 v[10:11], v10, v[34:35]
; %bb.5913:                             ;   in Loop: Header=BB2_5162 Depth=2
	s_and_not1_saveexec_b32 s10, s10
; %bb.5914:                             ;   in Loop: Header=BB2_5162 Depth=2
	v_mov_b64_e32 v[10:11], v[34:35]
	v_bfe_u32 v12, v34, 23, 1
; %bb.5915:                             ;   in Loop: Header=BB2_5162 Depth=2
	s_or_b32 exec_lo, exec_lo, s10
	s_delay_alu instid0(VALU_DEP_2) | instskip(NEXT) | instid1(VALU_DEP_2)
	v_lshrrev_b64 v[10:11], 20, v[10:11]
	v_cmp_gt_i32_e32 vcc_lo, 16, v12
	v_min_i32_e32 v13, 15, v12
	v_cmp_eq_u32_e64 s10, 0, v12
	s_delay_alu instid0(VALU_DEP_2) | instskip(SKIP_1) | instid1(VALU_DEP_2)
	v_dual_cndmask_b32 v11, 0, v11, vcc_lo :: v_dual_lshlrev_b32 v13, 3, v13
	v_cndmask_b32_e32 v10, 7, v10, vcc_lo
	v_and_b32_e32 v13, 0xf8, v13
	s_delay_alu instid0(VALU_DEP_2) | instskip(NEXT) | instid1(VALU_DEP_2)
	v_cmp_eq_u64_e32 vcc_lo, 0, v[10:11]
	v_and_or_b32 v10, v10, 7, v13
	s_and_b32 s10, s10, vcc_lo
	s_delay_alu instid0(VALU_DEP_1) | instid1(SALU_CYCLE_1)
	v_cndmask_b32_e64 v10, v10, 0, s10
	s_delay_alu instid0(VALU_DEP_1)
	v_or_b32_e32 v10, v10, v87
.LBB2_5916:                             ;   in Loop: Header=BB2_5162 Depth=2
	s_or_b32 exec_lo, exec_lo, s28
                                        ; implicit-def: $vgpr87
.LBB2_5917:                             ;   in Loop: Header=BB2_5162 Depth=2
	s_and_not1_saveexec_b32 s10, s27
; %bb.5918:                             ;   in Loop: Header=BB2_5162 Depth=2
	v_or_b32_e32 v10, 0x7e, v87
; %bb.5919:                             ;   in Loop: Header=BB2_5162 Depth=2
	s_or_b32 exec_lo, exec_lo, s10
                                        ; implicit-def: $vgpr12
.LBB2_5920:                             ;   in Loop: Header=BB2_5162 Depth=2
	s_and_not1_saveexec_b32 s10, s26
	s_cbranch_execz .LBB2_5161
; %bb.5921:                             ;   in Loop: Header=BB2_5162 Depth=2
	v_or_b32_e32 v10, 0x7f, v12
	s_branch .LBB2_5161
.LBB2_5922:                             ;   in Loop: Header=BB2_5087 Depth=1
	s_or_b32 exec_lo, exec_lo, s23
.LBB2_5923:                             ;   in Loop: Header=BB2_5087 Depth=1
	s_delay_alu instid0(SALU_CYCLE_1) | instskip(SKIP_4) | instid1(VALU_DEP_2)
	s_or_b32 exec_lo, exec_lo, s11
	v_and_b32_e32 v10, 0x3ffffc00, v69
	v_mov_b32_e32 v96, 0
	s_mov_b32 s10, 0
	s_mov_b32 s22, exec_lo
                                        ; implicit-def: $vgpr97
                                        ; implicit-def: $vgpr98
	v_cmpx_ne_u32_e64 v69, v10
	s_cbranch_execz .LBB2_6313
; %bb.5924:                             ;   in Loop: Header=BB2_5087 Depth=1
	v_lshlrev_b32_e32 v11, 5, v71
	v_and_b32_e32 v98, 0x1ff, v69
	v_bfe_u32 v34, v69, 9, 1
	s_mov_b32 s23, exec_lo
	s_delay_alu instid0(VALU_DEP_3) | instskip(NEXT) | instid1(VALU_DEP_3)
	v_sub_nc_u32_e32 v11, v30, v11
	v_cmp_lt_u32_e64 s10, 15, v98
	s_delay_alu instid0(VALU_DEP_2) | instskip(NEXT) | instid1(VALU_DEP_2)
	v_ashrrev_i32_e32 v12, 31, v11
	v_add_co_ci_u32_e64 v34, null, 0, v34, s10
	s_delay_alu instid0(VALU_DEP_2) | instskip(NEXT) | instid1(VALU_DEP_1)
	v_lshrrev_b32_e32 v12, 27, v12
	v_add_nc_u32_e32 v12, v11, v12
	s_delay_alu instid0(VALU_DEP_1) | instskip(NEXT) | instid1(VALU_DEP_1)
	v_and_b32_e32 v13, 0xffffffe0, v12
	v_dual_ashrrev_i32 v12, 5, v12 :: v_dual_sub_nc_u32 v71, v11, v13
	v_and_b32_e32 v13, 0x3ff, v69
	s_delay_alu instid0(VALU_DEP_2) | instskip(NEXT) | instid1(VALU_DEP_1)
	v_dual_sub_nc_u32 v99, v34, v12 :: v_dual_lshlrev_b32 v11, 4, v71
	v_lshl_add_u32 v11, v12, 9, v11
	s_delay_alu instid0(VALU_DEP_1) | instskip(NEXT) | instid1(VALU_DEP_1)
	v_sub_nc_u32_e32 v112, v13, v11
	v_cmpx_lt_i32_e32 15, v112
	s_cbranch_execz .LBB2_6312
; %bb.5925:                             ;   in Loop: Header=BB2_5087 Depth=1
	s_trap 2
	ds_load_b64 v[12:13], v0
	v_add_nc_u32_e32 v84, v11, v10
	s_delay_alu instid0(VALU_DEP_1)
	v_ashrrev_i32_e32 v85, 31, v84
	s_wait_dscnt 0x0
	v_readfirstlane_b32 s26, v12
	v_readfirstlane_b32 s27, v13
	s_and_b32 s11, s26, 7
	s_and_b32 s28, s26, 0x7f
	s_clz_i32_u32 s11, s11
	s_bfe_u32 s24, s26, 0x40003
	s_min_u32 s11, s11, 32
	s_delay_alu instid0(SALU_CYCLE_1)
	s_sub_co_i32 s25, s11, 28
	s_sub_co_i32 s11, 29, s11
	s_cmp_lt_u32 s28, 8
	s_cselect_b32 s11, s11, s24
	s_cselect_b32 s24, s25, 0
	s_lshl_b32 s29, s26, 24
	s_lshl_b64 s[24:25], s[26:27], s24
	s_and_b32 s25, s29, 0x80000000
	s_lshl_b32 s24, s24, 20
	s_lshl_b32 s11, s11, 23
	s_and_b32 s24, s24, 0x700000
	s_add_co_i32 s11, s11, 0x3c000000
	s_or_b32 s24, s24, s25
	s_delay_alu instid0(SALU_CYCLE_1)
	s_or_b32 s11, s11, s24
	s_cmp_lg_u32 s28, 0x7f
	s_mov_b32 s24, 0
	s_cselect_b32 s25, s11, 0x7f800001
	s_and_b32 s26, s26, 0xff
	s_branch .LBB2_5927
.LBB2_5926:                             ;   in Loop: Header=BB2_5927 Depth=2
	s_or_b32 exec_lo, exec_lo, s11
	v_lshl_or_b32 v11, v118, 8, v117
	v_dual_lshlrev_b32 v12, 16, v96 :: v_dual_lshlrev_b32 v13, 24, v97
	v_lshl_or_b32 v34, v114, 8, v113
	v_lshl_or_b32 v87, v40, 8, v119
	v_dual_sub_nc_u32 v112, v112, v48 :: v_dual_lshlrev_b32 v113, 16, v41
	v_lshlrev_b32_e32 v114, 24, v42
	v_or3_b32 v11, v11, v12, v13
	v_dual_lshlrev_b32 v12, 16, v115 :: v_dual_lshlrev_b32 v13, 24, v116
	v_lshlrev_b32_e32 v115, 24, v10
	v_dual_lshlrev_b32 v86, 16, v86 :: v_dual_sub_nc_u32 v99, v99, v36
	v_lshl_or_b32 v116, v44, 8, v43
	v_add_nc_u64_e32 v[96:97], v[82:83], v[84:85]
	v_cmp_gt_i32_e32 vcc_lo, 16, v112
	v_add_nc_u64_e32 v[84:85], v[84:85], v[48:49]
	v_or3_b32 v10, v34, v12, v13
	v_or3_b32 v12, v87, v113, v114
	;; [unrolled: 1-line block ×3, first 2 shown]
	s_or_b32 s24, vcc_lo, s24
	global_store_b128 v[96:97], v[10:13], off th:TH_STORE_NT
	s_wait_xcnt 0x0
	s_and_not1_b32 exec_lo, exec_lo, s24
	s_cbranch_execz .LBB2_6311
.LBB2_5927:                             ;   Parent Loop BB2_5087 Depth=1
                                        ; =>  This Inner Loop Header: Depth=2
	s_cmp_lt_i32 s26, 0x80
	s_cbranch_scc1 .LBB2_5931
; %bb.5928:                             ;   in Loop: Header=BB2_5927 Depth=2
	s_and_b32 s11, 0xffff, s26
	s_delay_alu instid0(SALU_CYCLE_1)
	s_cmp_eq_u32 s11, 0x80
	s_mov_b32 s11, -1
	s_cbranch_scc0 .LBB2_5930
; %bb.5929:                             ;   in Loop: Header=BB2_5927 Depth=2
	s_mov_b32 s11, 0
.LBB2_5930:                             ;   in Loop: Header=BB2_5927 Depth=2
	s_brev_b32 s27, 1
	s_branch .LBB2_5933
.LBB2_5931:                             ;   in Loop: Header=BB2_5927 Depth=2
	s_mov_b32 s11, 0
	s_brev_b32 s27, 1
	s_cbranch_execz .LBB2_5933
; %bb.5932:                             ;   in Loop: Header=BB2_5927 Depth=2
	s_and_b32 s11, 0xffff, s26
	s_mov_b32 s27, 0
	s_cmp_lg_u32 s11, 0
	s_cselect_b32 s11, -1, 0
.LBB2_5933:                             ;   in Loop: Header=BB2_5927 Depth=2
	s_delay_alu instid0(SALU_CYCLE_1)
	s_and_not1_b32 vcc_lo, exec_lo, s11
	s_cbranch_vccnz .LBB2_5935
; %bb.5934:                             ;   in Loop: Header=BB2_5927 Depth=2
	s_mov_b32 s27, s25
.LBB2_5935:                             ;   in Loop: Header=BB2_5927 Depth=2
	v_add_nc_u64_e32 v[10:11], v[80:81], v[84:85]
	v_mov_b32_e32 v34, 0
	s_mov_b32 s11, exec_lo
	global_load_b128 v[10:13], v[10:11], off th:TH_LOAD_NT
	s_wait_loadcnt 0x0
	v_and_b32_e32 v86, 0xff, v10
	s_wait_xcnt 0x0
	s_delay_alu instid0(VALU_DEP_1)
	v_cmpx_ne_u16_e32 0, v86
	s_cbranch_execz .LBB2_5941
; %bb.5936:                             ;   in Loop: Header=BB2_5927 Depth=2
	v_bfrev_b32_e32 v34, 1
	s_mov_b32 s28, exec_lo
	v_cmpx_ne_u16_e32 0x80, v86
	s_cbranch_execz .LBB2_5940
; %bb.5937:                             ;   in Loop: Header=BB2_5927 Depth=2
	v_and_b32_e32 v86, 0x7f, v10
	v_mov_b32_e32 v34, 0x7f800001
	s_mov_b32 s29, exec_lo
	s_delay_alu instid0(VALU_DEP_2)
	v_cmpx_ne_u32_e32 0x7f, v86
	s_cbranch_execz .LBB2_5939
; %bb.5938:                             ;   in Loop: Header=BB2_5927 Depth=2
	v_cmp_gt_u32_e32 vcc_lo, 8, v86
	v_and_b32_e32 v34, 7, v10
	v_lshrrev_b32_e32 v87, 3, v86
	s_delay_alu instid0(VALU_DEP_2) | instskip(NEXT) | instid1(VALU_DEP_1)
	v_clz_i32_u32_e32 v34, v34
	v_min_u32_e32 v34, 32, v34
	s_delay_alu instid0(VALU_DEP_1) | instskip(NEXT) | instid1(VALU_DEP_1)
	v_subrev_nc_u32_e32 v96, 28, v34
	v_dual_sub_nc_u32 v34, 29, v34 :: v_dual_cndmask_b32 v86, 0, v96, vcc_lo
	s_delay_alu instid0(VALU_DEP_1) | instskip(NEXT) | instid1(VALU_DEP_2)
	v_cndmask_b32_e32 v34, v87, v34, vcc_lo
	v_lshlrev_b64_e32 v[86:87], v86, v[10:11]
	v_lshlrev_b32_e32 v87, 24, v10
	s_delay_alu instid0(VALU_DEP_3) | instskip(NEXT) | instid1(VALU_DEP_2)
	v_lshl_add_u32 v34, v34, 23, 0x3c000000
	v_and_b32_e32 v87, 0x80000000, v87
	s_delay_alu instid0(VALU_DEP_4) | instskip(NEXT) | instid1(VALU_DEP_1)
	v_lshlrev_b32_e32 v86, 20, v86
	v_and_b32_e32 v86, 0x700000, v86
	s_delay_alu instid0(VALU_DEP_1)
	v_or3_b32 v34, v86, v87, v34
.LBB2_5939:                             ;   in Loop: Header=BB2_5927 Depth=2
	s_or_b32 exec_lo, exec_lo, s29
.LBB2_5940:                             ;   in Loop: Header=BB2_5927 Depth=2
	s_delay_alu instid0(SALU_CYCLE_1)
	s_or_b32 exec_lo, exec_lo, s28
.LBB2_5941:                             ;   in Loop: Header=BB2_5927 Depth=2
	s_delay_alu instid0(SALU_CYCLE_1) | instskip(NEXT) | instid1(VALU_DEP_1)
	s_or_b32 exec_lo, exec_lo, s11
	v_mul_f32_e32 v86, s27, v34
                                        ; implicit-def: $vgpr113
	s_mov_b32 s11, exec_lo
	s_delay_alu instid0(VALU_DEP_1) | instskip(SKIP_1) | instid1(VALU_DEP_2)
	v_and_b32_e32 v34, 0x7f800000, v86
	v_lshrrev_b32_e32 v87, 24, v86
	v_cmpx_ne_u64_e32 0x7f800000, v[34:35]
	s_xor_b32 s28, exec_lo, s11
	s_cbranch_execz .LBB2_5955
; %bb.5942:                             ;   in Loop: Header=BB2_5927 Depth=2
	v_and_b32_e32 v34, 0x7fffffff, v86
	v_and_b32_e32 v114, 0x80, v87
                                        ; implicit-def: $vgpr113
	s_mov_b32 s11, exec_lo
	s_delay_alu instid0(VALU_DEP_2)
	v_cmpx_gt_u64_e32 0x43e00001, v[34:35]
	s_xor_b32 s29, exec_lo, s11
	s_cbranch_execz .LBB2_5952
; %bb.5943:                             ;   in Loop: Header=BB2_5927 Depth=2
	v_mov_b32_e32 v113, 0
	s_mov_b32 s40, exec_lo
	v_cmpx_ne_u32_e32 0, v86
	s_cbranch_execz .LBB2_5951
; %bb.5944:                             ;   in Loop: Header=BB2_5927 Depth=2
	v_bfe_u32 v113, v86, 23, 8
	s_delay_alu instid0(VALU_DEP_1) | instskip(SKIP_1) | instid1(VALU_DEP_2)
	v_sub_nc_u32_e32 v34, 0x79, v113
	v_cmp_gt_u32_e32 vcc_lo, 0x7a, v113
	v_cndmask_b32_e32 v34, 0, v34, vcc_lo
	v_cmp_eq_u32_e32 vcc_lo, 0, v113
	s_delay_alu instid0(VALU_DEP_2) | instskip(SKIP_1) | instid1(VALU_DEP_2)
	v_cndmask_b32_e64 v115, v34, 0x78, vcc_lo
	v_and_b32_e32 v34, 0x7fffff, v86
	v_add_nc_u32_e32 v86, 20, v115
	s_delay_alu instid0(VALU_DEP_2) | instskip(SKIP_1) | instid1(VALU_DEP_3)
	v_or_b32_e32 v96, 0x800000, v34
	v_add_nc_u32_e32 v97, 19, v115
	v_lshlrev_b64_e64 v[86:87], v86, -1
	s_delay_alu instid0(VALU_DEP_3) | instskip(NEXT) | instid1(VALU_DEP_3)
	v_cndmask_b32_e32 v34, v96, v34, vcc_lo
	v_lshlrev_b64_e64 v[96:97], v97, 1
	s_delay_alu instid0(VALU_DEP_3) | instskip(NEXT) | instid1(VALU_DEP_3)
	v_bfi_b32 v117, v87, 0, 0
	v_bfi_b32 v116, v86, 0, v34
	v_lshrrev_b64 v[86:87], v115, v[34:35]
	s_delay_alu instid0(VALU_DEP_2) | instskip(NEXT) | instid1(VALU_DEP_2)
	v_cmp_eq_u64_e64 s11, v[116:117], v[96:97]
	v_mov_b64_e32 v[96:97], v[86:87]
	s_and_saveexec_b32 s41, s11
; %bb.5945:                             ;   in Loop: Header=BB2_5927 Depth=2
	v_bfe_u32 v34, v86, 20, 1
	s_delay_alu instid0(VALU_DEP_1) | instskip(NEXT) | instid1(VALU_DEP_1)
	v_add_nc_u64_e32 v[96:97], v[86:87], v[34:35]
	v_add_nc_u64_e32 v[96:97], -1, v[96:97]
; %bb.5946:                             ;   in Loop: Header=BB2_5927 Depth=2
	s_or_b32 exec_lo, exec_lo, s41
	v_add_nc_u32_e32 v34, 0xffffff81, v113
	v_lshrrev_b32_e32 v87, 23, v86
	s_mov_b32 s11, exec_lo
	s_delay_alu instid0(VALU_DEP_2) | instskip(NEXT) | instid1(VALU_DEP_1)
	v_cndmask_b32_e64 v34, v34, 0xffffff82, vcc_lo
	v_add3_u32 v97, v115, v34, v87
	v_and_b32_e32 v34, 0xfffff, v96
                                        ; implicit-def: $vgpr96
	s_delay_alu instid0(VALU_DEP_1) | instskip(NEXT) | instid1(VALU_DEP_1)
	v_dual_add_nc_u32 v113, 6, v97 :: v_dual_add_nc_u32 v34, v34, v86
                                        ; implicit-def: $vgpr86_vgpr87
	v_cmpx_ne_u32_e32 0, v113
	s_xor_b32 s11, exec_lo, s11
; %bb.5947:                             ;   in Loop: Header=BB2_5927 Depth=2
	s_delay_alu instid0(VALU_DEP_2) | instskip(SKIP_1) | instid1(VALU_DEP_1)
	v_cmp_lt_u64_e32 vcc_lo, 0xffffff, v[34:35]
	v_add_nc_u32_e32 v86, 7, v97
	v_cndmask_b32_e32 v96, v113, v86, vcc_lo
	v_cndmask_b32_e64 v86, 0, 1, vcc_lo
	s_delay_alu instid0(VALU_DEP_1)
	v_lshrrev_b64 v[86:87], v86, v[34:35]
; %bb.5948:                             ;   in Loop: Header=BB2_5927 Depth=2
	s_and_not1_saveexec_b32 s11, s11
; %bb.5949:                             ;   in Loop: Header=BB2_5927 Depth=2
	v_mov_b64_e32 v[86:87], v[34:35]
	v_bfe_u32 v96, v34, 23, 1
; %bb.5950:                             ;   in Loop: Header=BB2_5927 Depth=2
	s_or_b32 exec_lo, exec_lo, s11
	s_delay_alu instid0(VALU_DEP_2) | instskip(NEXT) | instid1(VALU_DEP_2)
	v_lshrrev_b64 v[86:87], 20, v[86:87]
	v_cmp_gt_i32_e32 vcc_lo, 16, v96
	v_min_i32_e32 v34, 15, v96
	v_cmp_eq_u32_e64 s11, 0, v96
	s_delay_alu instid0(VALU_DEP_2) | instskip(SKIP_1) | instid1(VALU_DEP_2)
	v_dual_cndmask_b32 v87, 0, v87 :: v_dual_lshlrev_b32 v34, 3, v34
	v_cndmask_b32_e32 v86, 7, v86, vcc_lo
	v_and_b32_e32 v34, 0xf8, v34
	s_delay_alu instid0(VALU_DEP_2) | instskip(NEXT) | instid1(VALU_DEP_2)
	v_cmp_eq_u64_e32 vcc_lo, 0, v[86:87]
	v_and_or_b32 v34, v86, 7, v34
	s_and_b32 s11, s11, vcc_lo
	s_delay_alu instid0(VALU_DEP_1) | instid1(SALU_CYCLE_1)
	v_cndmask_b32_e64 v34, v34, 0, s11
	s_delay_alu instid0(VALU_DEP_1)
	v_or_b32_e32 v113, v34, v114
.LBB2_5951:                             ;   in Loop: Header=BB2_5927 Depth=2
	s_or_b32 exec_lo, exec_lo, s40
                                        ; implicit-def: $vgpr114
.LBB2_5952:                             ;   in Loop: Header=BB2_5927 Depth=2
	s_and_not1_saveexec_b32 s11, s29
; %bb.5953:                             ;   in Loop: Header=BB2_5927 Depth=2
	v_or_b32_e32 v113, 0x7e, v114
; %bb.5954:                             ;   in Loop: Header=BB2_5927 Depth=2
	s_or_b32 exec_lo, exec_lo, s11
                                        ; implicit-def: $vgpr87
.LBB2_5955:                             ;   in Loop: Header=BB2_5927 Depth=2
	s_and_not1_saveexec_b32 s11, s28
; %bb.5956:                             ;   in Loop: Header=BB2_5927 Depth=2
	v_or_b32_e32 v113, 0x7f, v87
; %bb.5957:                             ;   in Loop: Header=BB2_5927 Depth=2
	s_or_b32 exec_lo, exec_lo, s11
	v_lshrrev_b16 v86, 8, v10
	v_mov_b32_e32 v34, 0
	s_mov_b32 s11, exec_lo
	s_delay_alu instid0(VALU_DEP_2)
	v_cmpx_ne_u16_e32 0, v86
	s_cbranch_execz .LBB2_5965
; %bb.5958:                             ;   in Loop: Header=BB2_5927 Depth=2
	v_bfrev_b32_e32 v34, 1
	s_mov_b32 s28, exec_lo
	v_cmpx_ne_u16_e32 0x80, v86
	s_cbranch_execz .LBB2_5964
; %bb.5959:                             ;   in Loop: Header=BB2_5927 Depth=2
	v_and_b32_e32 v86, 0xffff, v86
	v_mov_b32_e32 v34, 0x7f800001
	s_mov_b32 s29, exec_lo
	s_delay_alu instid0(VALU_DEP_2) | instskip(NEXT) | instid1(VALU_DEP_1)
	v_and_b32_e32 v87, 0x7f, v86
	v_cmpx_ne_u32_e32 0x7f, v87
	s_cbranch_execz .LBB2_5963
; %bb.5960:                             ;   in Loop: Header=BB2_5927 Depth=2
	v_dual_lshrrev_b32 v86, 3, v87 :: v_dual_bitop2_b32 v34, 7, v86 bitop3:0x40
	s_mov_b32 s40, exec_lo
	v_cmpx_gt_u32_e32 8, v87
; %bb.5961:                             ;   in Loop: Header=BB2_5927 Depth=2
	s_delay_alu instid0(VALU_DEP_2) | instskip(NEXT) | instid1(VALU_DEP_1)
	v_clz_i32_u32_e32 v86, v34
	v_min_u32_e32 v86, 32, v86
	s_delay_alu instid0(VALU_DEP_1) | instskip(NEXT) | instid1(VALU_DEP_1)
	v_subrev_nc_u32_e32 v87, 28, v86
	v_lshlrev_b64_e32 v[96:97], v87, v[34:35]
	s_delay_alu instid0(VALU_DEP_1)
	v_dual_sub_nc_u32 v86, 29, v86 :: v_dual_bitop2_b32 v34, 7, v96 bitop3:0x40
; %bb.5962:                             ;   in Loop: Header=BB2_5927 Depth=2
	s_or_b32 exec_lo, exec_lo, s40
	v_lshlrev_b32_e32 v87, 16, v10
	s_delay_alu instid0(VALU_DEP_2) | instskip(NEXT) | instid1(VALU_DEP_3)
	v_lshlrev_b32_e32 v34, 20, v34
	v_lshl_add_u32 v86, v86, 23, 0x3c000000
	s_delay_alu instid0(VALU_DEP_3) | instskip(NEXT) | instid1(VALU_DEP_1)
	v_and_b32_e32 v87, 0x80000000, v87
	v_or3_b32 v34, v34, v87, v86
.LBB2_5963:                             ;   in Loop: Header=BB2_5927 Depth=2
	s_or_b32 exec_lo, exec_lo, s29
.LBB2_5964:                             ;   in Loop: Header=BB2_5927 Depth=2
	s_delay_alu instid0(SALU_CYCLE_1)
	s_or_b32 exec_lo, exec_lo, s28
.LBB2_5965:                             ;   in Loop: Header=BB2_5927 Depth=2
	s_delay_alu instid0(SALU_CYCLE_1) | instskip(NEXT) | instid1(VALU_DEP_1)
	s_or_b32 exec_lo, exec_lo, s11
	v_mul_f32_e32 v86, s27, v34
                                        ; implicit-def: $vgpr114
	s_mov_b32 s11, exec_lo
	s_delay_alu instid0(VALU_DEP_1) | instskip(SKIP_1) | instid1(VALU_DEP_2)
	v_and_b32_e32 v34, 0x7f800000, v86
	v_lshrrev_b32_e32 v87, 24, v86
	v_cmpx_ne_u64_e32 0x7f800000, v[34:35]
	s_xor_b32 s28, exec_lo, s11
	s_cbranch_execz .LBB2_5979
; %bb.5966:                             ;   in Loop: Header=BB2_5927 Depth=2
	v_and_b32_e32 v34, 0x7fffffff, v86
	v_and_b32_e32 v115, 0x80, v87
                                        ; implicit-def: $vgpr114
	s_mov_b32 s11, exec_lo
	s_delay_alu instid0(VALU_DEP_2)
	v_cmpx_gt_u64_e32 0x43e00001, v[34:35]
	s_xor_b32 s29, exec_lo, s11
	s_cbranch_execz .LBB2_5976
; %bb.5967:                             ;   in Loop: Header=BB2_5927 Depth=2
	v_mov_b32_e32 v114, 0
	s_mov_b32 s40, exec_lo
	v_cmpx_ne_u32_e32 0, v86
	s_cbranch_execz .LBB2_5975
; %bb.5968:                             ;   in Loop: Header=BB2_5927 Depth=2
	v_bfe_u32 v114, v86, 23, 8
	s_delay_alu instid0(VALU_DEP_1) | instskip(SKIP_1) | instid1(VALU_DEP_2)
	v_sub_nc_u32_e32 v34, 0x79, v114
	v_cmp_gt_u32_e32 vcc_lo, 0x7a, v114
	v_cndmask_b32_e32 v34, 0, v34, vcc_lo
	v_cmp_eq_u32_e32 vcc_lo, 0, v114
	s_delay_alu instid0(VALU_DEP_2) | instskip(SKIP_1) | instid1(VALU_DEP_2)
	v_cndmask_b32_e64 v116, v34, 0x78, vcc_lo
	v_and_b32_e32 v34, 0x7fffff, v86
	v_add_nc_u32_e32 v86, 20, v116
	s_delay_alu instid0(VALU_DEP_2) | instskip(SKIP_1) | instid1(VALU_DEP_3)
	v_or_b32_e32 v96, 0x800000, v34
	v_add_nc_u32_e32 v97, 19, v116
	v_lshlrev_b64_e64 v[86:87], v86, -1
	s_delay_alu instid0(VALU_DEP_3) | instskip(NEXT) | instid1(VALU_DEP_3)
	v_cndmask_b32_e32 v34, v96, v34, vcc_lo
	v_lshlrev_b64_e64 v[96:97], v97, 1
	s_delay_alu instid0(VALU_DEP_3) | instskip(NEXT) | instid1(VALU_DEP_3)
	v_bfi_b32 v119, v87, 0, 0
	v_bfi_b32 v118, v86, 0, v34
	v_lshrrev_b64 v[86:87], v116, v[34:35]
	s_delay_alu instid0(VALU_DEP_2) | instskip(NEXT) | instid1(VALU_DEP_2)
	v_cmp_eq_u64_e64 s11, v[118:119], v[96:97]
	v_mov_b64_e32 v[96:97], v[86:87]
	s_and_saveexec_b32 s41, s11
; %bb.5969:                             ;   in Loop: Header=BB2_5927 Depth=2
	v_bfe_u32 v34, v86, 20, 1
	s_delay_alu instid0(VALU_DEP_1) | instskip(NEXT) | instid1(VALU_DEP_1)
	v_add_nc_u64_e32 v[96:97], v[86:87], v[34:35]
	v_add_nc_u64_e32 v[96:97], -1, v[96:97]
; %bb.5970:                             ;   in Loop: Header=BB2_5927 Depth=2
	s_or_b32 exec_lo, exec_lo, s41
	v_add_nc_u32_e32 v34, 0xffffff81, v114
	v_lshrrev_b32_e32 v87, 23, v86
	s_mov_b32 s11, exec_lo
	s_delay_alu instid0(VALU_DEP_2) | instskip(NEXT) | instid1(VALU_DEP_1)
	v_cndmask_b32_e64 v34, v34, 0xffffff82, vcc_lo
	v_add3_u32 v97, v116, v34, v87
	v_and_b32_e32 v34, 0xfffff, v96
                                        ; implicit-def: $vgpr96
	s_delay_alu instid0(VALU_DEP_1) | instskip(NEXT) | instid1(VALU_DEP_1)
	v_dual_add_nc_u32 v114, 6, v97 :: v_dual_add_nc_u32 v34, v34, v86
                                        ; implicit-def: $vgpr86_vgpr87
	v_cmpx_ne_u32_e32 0, v114
	s_xor_b32 s11, exec_lo, s11
; %bb.5971:                             ;   in Loop: Header=BB2_5927 Depth=2
	s_delay_alu instid0(VALU_DEP_2) | instskip(SKIP_1) | instid1(VALU_DEP_1)
	v_cmp_lt_u64_e32 vcc_lo, 0xffffff, v[34:35]
	v_add_nc_u32_e32 v86, 7, v97
	v_cndmask_b32_e32 v96, v114, v86, vcc_lo
	v_cndmask_b32_e64 v86, 0, 1, vcc_lo
	s_delay_alu instid0(VALU_DEP_1)
	v_lshrrev_b64 v[86:87], v86, v[34:35]
; %bb.5972:                             ;   in Loop: Header=BB2_5927 Depth=2
	s_and_not1_saveexec_b32 s11, s11
; %bb.5973:                             ;   in Loop: Header=BB2_5927 Depth=2
	v_mov_b64_e32 v[86:87], v[34:35]
	v_bfe_u32 v96, v34, 23, 1
; %bb.5974:                             ;   in Loop: Header=BB2_5927 Depth=2
	s_or_b32 exec_lo, exec_lo, s11
	s_delay_alu instid0(VALU_DEP_2) | instskip(NEXT) | instid1(VALU_DEP_2)
	v_lshrrev_b64 v[86:87], 20, v[86:87]
	v_cmp_gt_i32_e32 vcc_lo, 16, v96
	v_min_i32_e32 v34, 15, v96
	v_cmp_eq_u32_e64 s11, 0, v96
	s_delay_alu instid0(VALU_DEP_2) | instskip(SKIP_1) | instid1(VALU_DEP_2)
	v_dual_cndmask_b32 v87, 0, v87 :: v_dual_lshlrev_b32 v34, 3, v34
	v_cndmask_b32_e32 v86, 7, v86, vcc_lo
	v_and_b32_e32 v34, 0xf8, v34
	s_delay_alu instid0(VALU_DEP_2) | instskip(NEXT) | instid1(VALU_DEP_2)
	v_cmp_eq_u64_e32 vcc_lo, 0, v[86:87]
	v_and_or_b32 v34, v86, 7, v34
	s_and_b32 s11, s11, vcc_lo
	s_delay_alu instid0(VALU_DEP_1) | instid1(SALU_CYCLE_1)
	v_cndmask_b32_e64 v34, v34, 0, s11
	s_delay_alu instid0(VALU_DEP_1)
	v_or_b32_e32 v114, v34, v115
.LBB2_5975:                             ;   in Loop: Header=BB2_5927 Depth=2
	s_or_b32 exec_lo, exec_lo, s40
                                        ; implicit-def: $vgpr115
.LBB2_5976:                             ;   in Loop: Header=BB2_5927 Depth=2
	s_and_not1_saveexec_b32 s11, s29
; %bb.5977:                             ;   in Loop: Header=BB2_5927 Depth=2
	v_or_b32_e32 v114, 0x7e, v115
; %bb.5978:                             ;   in Loop: Header=BB2_5927 Depth=2
	s_or_b32 exec_lo, exec_lo, s11
                                        ; implicit-def: $vgpr87
.LBB2_5979:                             ;   in Loop: Header=BB2_5927 Depth=2
	s_and_not1_saveexec_b32 s11, s28
; %bb.5980:                             ;   in Loop: Header=BB2_5927 Depth=2
	v_or_b32_e32 v114, 0x7f, v87
; %bb.5981:                             ;   in Loop: Header=BB2_5927 Depth=2
	s_or_b32 exec_lo, exec_lo, s11
	v_dual_lshrrev_b32 v86, 16, v10 :: v_dual_mov_b32 v34, 0
	s_mov_b32 s11, exec_lo
	s_delay_alu instid0(VALU_DEP_1) | instskip(NEXT) | instid1(VALU_DEP_1)
	v_and_b32_e32 v87, 0xff, v86
	v_cmpx_ne_u16_e32 0, v87
	s_cbranch_execz .LBB2_5989
; %bb.5982:                             ;   in Loop: Header=BB2_5927 Depth=2
	v_bfrev_b32_e32 v34, 1
	s_mov_b32 s28, exec_lo
	v_cmpx_ne_u16_e32 0x80, v87
	s_cbranch_execz .LBB2_5988
; %bb.5983:                             ;   in Loop: Header=BB2_5927 Depth=2
	v_bfe_u32 v96, v10, 16, 7
	v_mov_b32_e32 v34, 0x7f800001
	s_mov_b32 s29, exec_lo
	s_delay_alu instid0(VALU_DEP_2)
	v_cmpx_ne_u32_e32 0x7f, v96
	s_cbranch_execz .LBB2_5987
; %bb.5984:                             ;   in Loop: Header=BB2_5927 Depth=2
	v_dual_lshrrev_b32 v87, 3, v96 :: v_dual_bitop2_b32 v34, 7, v86 bitop3:0x40
	s_mov_b32 s40, exec_lo
	v_cmpx_gt_u32_e32 8, v96
; %bb.5985:                             ;   in Loop: Header=BB2_5927 Depth=2
	s_delay_alu instid0(VALU_DEP_2) | instskip(NEXT) | instid1(VALU_DEP_1)
	v_clz_i32_u32_e32 v87, v34
	v_min_u32_e32 v87, 32, v87
	s_delay_alu instid0(VALU_DEP_1) | instskip(NEXT) | instid1(VALU_DEP_1)
	v_subrev_nc_u32_e32 v96, 28, v87
	v_lshlrev_b64_e32 v[96:97], v96, v[34:35]
	s_delay_alu instid0(VALU_DEP_1)
	v_dual_sub_nc_u32 v87, 29, v87 :: v_dual_bitop2_b32 v34, 7, v96 bitop3:0x40
; %bb.5986:                             ;   in Loop: Header=BB2_5927 Depth=2
	s_or_b32 exec_lo, exec_lo, s40
	v_lshlrev_b32_e32 v86, 24, v86
	s_delay_alu instid0(VALU_DEP_2) | instskip(NEXT) | instid1(VALU_DEP_3)
	v_lshlrev_b32_e32 v34, 20, v34
	v_lshl_add_u32 v87, v87, 23, 0x3c000000
	s_delay_alu instid0(VALU_DEP_3) | instskip(NEXT) | instid1(VALU_DEP_1)
	v_and_b32_e32 v86, 0x80000000, v86
	v_or3_b32 v34, v34, v86, v87
.LBB2_5987:                             ;   in Loop: Header=BB2_5927 Depth=2
	s_or_b32 exec_lo, exec_lo, s29
.LBB2_5988:                             ;   in Loop: Header=BB2_5927 Depth=2
	s_delay_alu instid0(SALU_CYCLE_1)
	s_or_b32 exec_lo, exec_lo, s28
.LBB2_5989:                             ;   in Loop: Header=BB2_5927 Depth=2
	s_delay_alu instid0(SALU_CYCLE_1) | instskip(NEXT) | instid1(VALU_DEP_1)
	s_or_b32 exec_lo, exec_lo, s11
	v_mul_f32_e32 v86, s27, v34
                                        ; implicit-def: $vgpr115
	s_mov_b32 s11, exec_lo
	s_delay_alu instid0(VALU_DEP_1) | instskip(SKIP_1) | instid1(VALU_DEP_2)
	v_and_b32_e32 v34, 0x7f800000, v86
	v_lshrrev_b32_e32 v87, 24, v86
	v_cmpx_ne_u64_e32 0x7f800000, v[34:35]
	s_xor_b32 s28, exec_lo, s11
	s_cbranch_execz .LBB2_6003
; %bb.5990:                             ;   in Loop: Header=BB2_5927 Depth=2
	v_and_b32_e32 v34, 0x7fffffff, v86
	v_and_b32_e32 v116, 0x80, v87
                                        ; implicit-def: $vgpr115
	s_mov_b32 s11, exec_lo
	s_delay_alu instid0(VALU_DEP_2)
	v_cmpx_gt_u64_e32 0x43e00001, v[34:35]
	s_xor_b32 s29, exec_lo, s11
	s_cbranch_execz .LBB2_6000
; %bb.5991:                             ;   in Loop: Header=BB2_5927 Depth=2
	v_mov_b32_e32 v115, 0
	s_mov_b32 s40, exec_lo
	v_cmpx_ne_u32_e32 0, v86
	s_cbranch_execz .LBB2_5999
; %bb.5992:                             ;   in Loop: Header=BB2_5927 Depth=2
	v_bfe_u32 v115, v86, 23, 8
	s_delay_alu instid0(VALU_DEP_1) | instskip(SKIP_1) | instid1(VALU_DEP_2)
	v_sub_nc_u32_e32 v34, 0x79, v115
	v_cmp_gt_u32_e32 vcc_lo, 0x7a, v115
	v_cndmask_b32_e32 v34, 0, v34, vcc_lo
	v_cmp_eq_u32_e32 vcc_lo, 0, v115
	s_delay_alu instid0(VALU_DEP_2) | instskip(SKIP_1) | instid1(VALU_DEP_2)
	v_cndmask_b32_e64 v117, v34, 0x78, vcc_lo
	v_and_b32_e32 v34, 0x7fffff, v86
	v_add_nc_u32_e32 v86, 20, v117
	s_delay_alu instid0(VALU_DEP_2) | instskip(SKIP_1) | instid1(VALU_DEP_3)
	v_or_b32_e32 v96, 0x800000, v34
	v_add_nc_u32_e32 v97, 19, v117
	v_lshlrev_b64_e64 v[86:87], v86, -1
	s_delay_alu instid0(VALU_DEP_3) | instskip(NEXT) | instid1(VALU_DEP_3)
	v_cndmask_b32_e32 v34, v96, v34, vcc_lo
	v_lshlrev_b64_e64 v[96:97], v97, 1
	s_delay_alu instid0(VALU_DEP_3) | instskip(NEXT) | instid1(VALU_DEP_3)
	v_bfi_b32 v119, v87, 0, 0
	v_bfi_b32 v118, v86, 0, v34
	v_lshrrev_b64 v[86:87], v117, v[34:35]
	s_delay_alu instid0(VALU_DEP_2) | instskip(NEXT) | instid1(VALU_DEP_2)
	v_cmp_eq_u64_e64 s11, v[118:119], v[96:97]
	v_mov_b64_e32 v[96:97], v[86:87]
	s_and_saveexec_b32 s41, s11
; %bb.5993:                             ;   in Loop: Header=BB2_5927 Depth=2
	v_bfe_u32 v34, v86, 20, 1
	s_delay_alu instid0(VALU_DEP_1) | instskip(NEXT) | instid1(VALU_DEP_1)
	v_add_nc_u64_e32 v[96:97], v[86:87], v[34:35]
	v_add_nc_u64_e32 v[96:97], -1, v[96:97]
; %bb.5994:                             ;   in Loop: Header=BB2_5927 Depth=2
	s_or_b32 exec_lo, exec_lo, s41
	v_add_nc_u32_e32 v34, 0xffffff81, v115
	v_lshrrev_b32_e32 v87, 23, v86
	s_mov_b32 s11, exec_lo
	s_delay_alu instid0(VALU_DEP_2) | instskip(NEXT) | instid1(VALU_DEP_1)
	v_cndmask_b32_e64 v34, v34, 0xffffff82, vcc_lo
	v_add3_u32 v97, v117, v34, v87
	v_and_b32_e32 v34, 0xfffff, v96
                                        ; implicit-def: $vgpr96
	s_delay_alu instid0(VALU_DEP_1) | instskip(NEXT) | instid1(VALU_DEP_1)
	v_dual_add_nc_u32 v115, 6, v97 :: v_dual_add_nc_u32 v34, v34, v86
                                        ; implicit-def: $vgpr86_vgpr87
	v_cmpx_ne_u32_e32 0, v115
	s_xor_b32 s11, exec_lo, s11
; %bb.5995:                             ;   in Loop: Header=BB2_5927 Depth=2
	s_delay_alu instid0(VALU_DEP_2) | instskip(SKIP_1) | instid1(VALU_DEP_1)
	v_cmp_lt_u64_e32 vcc_lo, 0xffffff, v[34:35]
	v_add_nc_u32_e32 v86, 7, v97
	v_cndmask_b32_e32 v96, v115, v86, vcc_lo
	v_cndmask_b32_e64 v86, 0, 1, vcc_lo
	s_delay_alu instid0(VALU_DEP_1)
	v_lshrrev_b64 v[86:87], v86, v[34:35]
; %bb.5996:                             ;   in Loop: Header=BB2_5927 Depth=2
	s_and_not1_saveexec_b32 s11, s11
; %bb.5997:                             ;   in Loop: Header=BB2_5927 Depth=2
	v_mov_b64_e32 v[86:87], v[34:35]
	v_bfe_u32 v96, v34, 23, 1
; %bb.5998:                             ;   in Loop: Header=BB2_5927 Depth=2
	s_or_b32 exec_lo, exec_lo, s11
	s_delay_alu instid0(VALU_DEP_2) | instskip(NEXT) | instid1(VALU_DEP_2)
	v_lshrrev_b64 v[86:87], 20, v[86:87]
	v_cmp_gt_i32_e32 vcc_lo, 16, v96
	v_min_i32_e32 v34, 15, v96
	v_cmp_eq_u32_e64 s11, 0, v96
	s_delay_alu instid0(VALU_DEP_2) | instskip(SKIP_1) | instid1(VALU_DEP_2)
	v_dual_cndmask_b32 v87, 0, v87 :: v_dual_lshlrev_b32 v34, 3, v34
	v_cndmask_b32_e32 v86, 7, v86, vcc_lo
	v_and_b32_e32 v34, 0xf8, v34
	s_delay_alu instid0(VALU_DEP_2) | instskip(NEXT) | instid1(VALU_DEP_2)
	v_cmp_eq_u64_e32 vcc_lo, 0, v[86:87]
	v_and_or_b32 v34, v86, 7, v34
	s_and_b32 s11, s11, vcc_lo
	s_delay_alu instid0(VALU_DEP_1) | instid1(SALU_CYCLE_1)
	v_cndmask_b32_e64 v34, v34, 0, s11
	s_delay_alu instid0(VALU_DEP_1)
	v_or_b32_e32 v115, v34, v116
.LBB2_5999:                             ;   in Loop: Header=BB2_5927 Depth=2
	s_or_b32 exec_lo, exec_lo, s40
                                        ; implicit-def: $vgpr116
.LBB2_6000:                             ;   in Loop: Header=BB2_5927 Depth=2
	s_and_not1_saveexec_b32 s11, s29
; %bb.6001:                             ;   in Loop: Header=BB2_5927 Depth=2
	v_or_b32_e32 v115, 0x7e, v116
; %bb.6002:                             ;   in Loop: Header=BB2_5927 Depth=2
	s_or_b32 exec_lo, exec_lo, s11
                                        ; implicit-def: $vgpr87
.LBB2_6003:                             ;   in Loop: Header=BB2_5927 Depth=2
	s_and_not1_saveexec_b32 s11, s28
; %bb.6004:                             ;   in Loop: Header=BB2_5927 Depth=2
	v_or_b32_e32 v115, 0x7f, v87
; %bb.6005:                             ;   in Loop: Header=BB2_5927 Depth=2
	s_or_b32 exec_lo, exec_lo, s11
	v_mov_b32_e32 v34, 0
	s_mov_b32 s11, exec_lo
	v_cmpx_lt_u32_e32 0xffffff, v10
	s_cbranch_execz .LBB2_6013
; %bb.6006:                             ;   in Loop: Header=BB2_5927 Depth=2
	v_lshrrev_b32_e32 v86, 24, v10
	v_bfrev_b32_e32 v34, 1
	s_mov_b32 s28, exec_lo
	s_delay_alu instid0(VALU_DEP_2)
	v_cmpx_ne_u32_e32 0x80, v86
	s_cbranch_execz .LBB2_6012
; %bb.6007:                             ;   in Loop: Header=BB2_5927 Depth=2
	v_bfe_u32 v96, v10, 24, 7
	v_mov_b32_e32 v34, 0x7f800001
	s_mov_b32 s29, exec_lo
	s_delay_alu instid0(VALU_DEP_2)
	v_cmpx_ne_u32_e32 0x7f, v96
	s_cbranch_execz .LBB2_6011
; %bb.6008:                             ;   in Loop: Header=BB2_5927 Depth=2
	v_dual_lshrrev_b32 v87, 3, v96 :: v_dual_bitop2_b32 v34, 7, v86 bitop3:0x40
	s_mov_b32 s40, exec_lo
	v_cmpx_gt_u32_e32 8, v96
; %bb.6009:                             ;   in Loop: Header=BB2_5927 Depth=2
	s_delay_alu instid0(VALU_DEP_2) | instskip(NEXT) | instid1(VALU_DEP_1)
	v_clz_i32_u32_e32 v87, v34
	v_min_u32_e32 v87, 32, v87
	s_delay_alu instid0(VALU_DEP_1) | instskip(NEXT) | instid1(VALU_DEP_1)
	v_subrev_nc_u32_e32 v96, 28, v87
	v_lshlrev_b64_e32 v[96:97], v96, v[34:35]
	s_delay_alu instid0(VALU_DEP_1)
	v_dual_sub_nc_u32 v87, 29, v87 :: v_dual_bitop2_b32 v34, 7, v96 bitop3:0x40
; %bb.6010:                             ;   in Loop: Header=BB2_5927 Depth=2
	s_or_b32 exec_lo, exec_lo, s40
	v_lshlrev_b32_e32 v86, 24, v86
	s_delay_alu instid0(VALU_DEP_2) | instskip(NEXT) | instid1(VALU_DEP_3)
	v_lshlrev_b32_e32 v34, 20, v34
	v_lshl_add_u32 v87, v87, 23, 0x3c000000
	s_delay_alu instid0(VALU_DEP_3) | instskip(NEXT) | instid1(VALU_DEP_1)
	v_and_b32_e32 v86, 0x80000000, v86
	v_or3_b32 v34, v34, v86, v87
.LBB2_6011:                             ;   in Loop: Header=BB2_5927 Depth=2
	s_or_b32 exec_lo, exec_lo, s29
.LBB2_6012:                             ;   in Loop: Header=BB2_5927 Depth=2
	s_delay_alu instid0(SALU_CYCLE_1)
	s_or_b32 exec_lo, exec_lo, s28
.LBB2_6013:                             ;   in Loop: Header=BB2_5927 Depth=2
	s_delay_alu instid0(SALU_CYCLE_1) | instskip(NEXT) | instid1(VALU_DEP_1)
	s_or_b32 exec_lo, exec_lo, s11
	v_mul_f32_e32 v86, s27, v34
                                        ; implicit-def: $vgpr116
	s_mov_b32 s11, exec_lo
	s_delay_alu instid0(VALU_DEP_1) | instskip(SKIP_1) | instid1(VALU_DEP_2)
	v_and_b32_e32 v34, 0x7f800000, v86
	v_lshrrev_b32_e32 v87, 24, v86
	v_cmpx_ne_u64_e32 0x7f800000, v[34:35]
	s_xor_b32 s28, exec_lo, s11
	s_cbranch_execz .LBB2_6027
; %bb.6014:                             ;   in Loop: Header=BB2_5927 Depth=2
	v_and_b32_e32 v34, 0x7fffffff, v86
	v_and_b32_e32 v117, 0x80, v87
                                        ; implicit-def: $vgpr116
	s_mov_b32 s11, exec_lo
	s_delay_alu instid0(VALU_DEP_2)
	v_cmpx_gt_u64_e32 0x43e00001, v[34:35]
	s_xor_b32 s29, exec_lo, s11
	s_cbranch_execz .LBB2_6024
; %bb.6015:                             ;   in Loop: Header=BB2_5927 Depth=2
	v_mov_b32_e32 v116, 0
	s_mov_b32 s40, exec_lo
	v_cmpx_ne_u32_e32 0, v86
	s_cbranch_execz .LBB2_6023
; %bb.6016:                             ;   in Loop: Header=BB2_5927 Depth=2
	v_bfe_u32 v116, v86, 23, 8
	s_delay_alu instid0(VALU_DEP_1) | instskip(SKIP_1) | instid1(VALU_DEP_2)
	v_sub_nc_u32_e32 v34, 0x79, v116
	v_cmp_gt_u32_e32 vcc_lo, 0x7a, v116
	v_cndmask_b32_e32 v34, 0, v34, vcc_lo
	v_cmp_eq_u32_e32 vcc_lo, 0, v116
	s_delay_alu instid0(VALU_DEP_2) | instskip(SKIP_1) | instid1(VALU_DEP_2)
	v_cndmask_b32_e64 v118, v34, 0x78, vcc_lo
	v_and_b32_e32 v34, 0x7fffff, v86
	v_dual_add_nc_u32 v86, 20, v118 :: v_dual_add_nc_u32 v97, 19, v118
	s_delay_alu instid0(VALU_DEP_2) | instskip(NEXT) | instid1(VALU_DEP_2)
	v_or_b32_e32 v96, 0x800000, v34
	v_lshlrev_b64_e64 v[86:87], v86, -1
	s_delay_alu instid0(VALU_DEP_2) | instskip(NEXT) | instid1(VALU_DEP_4)
	v_cndmask_b32_e32 v34, v96, v34, vcc_lo
	v_lshlrev_b64_e64 v[96:97], v97, 1
	s_delay_alu instid0(VALU_DEP_3) | instskip(NEXT) | instid1(VALU_DEP_3)
	v_bfi_b32 v41, v87, 0, 0
	v_bfi_b32 v40, v86, 0, v34
	v_lshrrev_b64 v[86:87], v118, v[34:35]
	s_delay_alu instid0(VALU_DEP_2) | instskip(NEXT) | instid1(VALU_DEP_2)
	v_cmp_eq_u64_e64 s11, v[40:41], v[96:97]
	v_mov_b64_e32 v[96:97], v[86:87]
	s_and_saveexec_b32 s41, s11
; %bb.6017:                             ;   in Loop: Header=BB2_5927 Depth=2
	v_bfe_u32 v34, v86, 20, 1
	s_delay_alu instid0(VALU_DEP_1) | instskip(NEXT) | instid1(VALU_DEP_1)
	v_add_nc_u64_e32 v[96:97], v[86:87], v[34:35]
	v_add_nc_u64_e32 v[96:97], -1, v[96:97]
; %bb.6018:                             ;   in Loop: Header=BB2_5927 Depth=2
	s_or_b32 exec_lo, exec_lo, s41
	v_add_nc_u32_e32 v34, 0xffffff81, v116
	v_lshrrev_b32_e32 v87, 23, v86
	s_mov_b32 s11, exec_lo
	s_delay_alu instid0(VALU_DEP_2) | instskip(NEXT) | instid1(VALU_DEP_1)
	v_cndmask_b32_e64 v34, v34, 0xffffff82, vcc_lo
	v_add3_u32 v97, v118, v34, v87
	v_and_b32_e32 v34, 0xfffff, v96
                                        ; implicit-def: $vgpr96
	s_delay_alu instid0(VALU_DEP_1) | instskip(NEXT) | instid1(VALU_DEP_1)
	v_dual_add_nc_u32 v116, 6, v97 :: v_dual_add_nc_u32 v34, v34, v86
                                        ; implicit-def: $vgpr86_vgpr87
	v_cmpx_ne_u32_e32 0, v116
	s_xor_b32 s11, exec_lo, s11
; %bb.6019:                             ;   in Loop: Header=BB2_5927 Depth=2
	s_delay_alu instid0(VALU_DEP_2) | instskip(SKIP_1) | instid1(VALU_DEP_1)
	v_cmp_lt_u64_e32 vcc_lo, 0xffffff, v[34:35]
	v_add_nc_u32_e32 v86, 7, v97
	v_cndmask_b32_e32 v96, v116, v86, vcc_lo
	v_cndmask_b32_e64 v86, 0, 1, vcc_lo
	s_delay_alu instid0(VALU_DEP_1)
	v_lshrrev_b64 v[86:87], v86, v[34:35]
; %bb.6020:                             ;   in Loop: Header=BB2_5927 Depth=2
	s_and_not1_saveexec_b32 s11, s11
; %bb.6021:                             ;   in Loop: Header=BB2_5927 Depth=2
	v_mov_b64_e32 v[86:87], v[34:35]
	v_bfe_u32 v96, v34, 23, 1
; %bb.6022:                             ;   in Loop: Header=BB2_5927 Depth=2
	s_or_b32 exec_lo, exec_lo, s11
	s_delay_alu instid0(VALU_DEP_2) | instskip(NEXT) | instid1(VALU_DEP_2)
	v_lshrrev_b64 v[86:87], 20, v[86:87]
	v_cmp_gt_i32_e32 vcc_lo, 16, v96
	v_min_i32_e32 v34, 15, v96
	v_cmp_eq_u32_e64 s11, 0, v96
	s_delay_alu instid0(VALU_DEP_2) | instskip(SKIP_1) | instid1(VALU_DEP_2)
	v_dual_cndmask_b32 v87, 0, v87 :: v_dual_lshlrev_b32 v34, 3, v34
	v_cndmask_b32_e32 v86, 7, v86, vcc_lo
	v_and_b32_e32 v34, 0xf8, v34
	s_delay_alu instid0(VALU_DEP_2) | instskip(NEXT) | instid1(VALU_DEP_2)
	v_cmp_eq_u64_e32 vcc_lo, 0, v[86:87]
	v_and_or_b32 v34, v86, 7, v34
	s_and_b32 s11, s11, vcc_lo
	s_delay_alu instid0(VALU_DEP_1) | instid1(SALU_CYCLE_1)
	v_cndmask_b32_e64 v34, v34, 0, s11
	s_delay_alu instid0(VALU_DEP_1)
	v_or_b32_e32 v116, v34, v117
.LBB2_6023:                             ;   in Loop: Header=BB2_5927 Depth=2
	s_or_b32 exec_lo, exec_lo, s40
                                        ; implicit-def: $vgpr117
.LBB2_6024:                             ;   in Loop: Header=BB2_5927 Depth=2
	s_and_not1_saveexec_b32 s11, s29
; %bb.6025:                             ;   in Loop: Header=BB2_5927 Depth=2
	v_or_b32_e32 v116, 0x7e, v117
; %bb.6026:                             ;   in Loop: Header=BB2_5927 Depth=2
	s_or_b32 exec_lo, exec_lo, s11
                                        ; implicit-def: $vgpr87
.LBB2_6027:                             ;   in Loop: Header=BB2_5927 Depth=2
	s_and_not1_saveexec_b32 s11, s28
; %bb.6028:                             ;   in Loop: Header=BB2_5927 Depth=2
	v_or_b32_e32 v116, 0x7f, v87
; %bb.6029:                             ;   in Loop: Header=BB2_5927 Depth=2
	s_or_b32 exec_lo, exec_lo, s11
	v_and_b32_e32 v87, 0xff, v11
	v_dual_mov_b32 v34, v11 :: v_dual_mov_b32 v86, 0
	s_mov_b32 s11, exec_lo
	s_delay_alu instid0(VALU_DEP_2)
	v_cmpx_ne_u16_e32 0, v87
	s_cbranch_execz .LBB2_6035
; %bb.6030:                             ;   in Loop: Header=BB2_5927 Depth=2
	v_bfrev_b32_e32 v86, 1
	s_mov_b32 s28, exec_lo
	v_cmpx_ne_u16_e32 0x80, v87
	s_cbranch_execz .LBB2_6034
; %bb.6031:                             ;   in Loop: Header=BB2_5927 Depth=2
	v_and_b32_e32 v87, 0x7f, v11
	v_mov_b32_e32 v86, 0x7f800001
	s_mov_b32 s29, exec_lo
	s_delay_alu instid0(VALU_DEP_2)
	v_cmpx_ne_u32_e32 0x7f, v87
	s_cbranch_execz .LBB2_6033
; %bb.6032:                             ;   in Loop: Header=BB2_5927 Depth=2
	v_and_b32_e32 v86, 7, v11
	v_cmp_gt_u32_e32 vcc_lo, 8, v87
	s_delay_alu instid0(VALU_DEP_2) | instskip(NEXT) | instid1(VALU_DEP_1)
	v_clz_i32_u32_e32 v86, v86
	v_min_u32_e32 v86, 32, v86
	v_lshrrev_b32_e32 v96, 3, v87
	s_delay_alu instid0(VALU_DEP_2) | instskip(SKIP_1) | instid1(VALU_DEP_1)
	v_subrev_nc_u32_e32 v97, 28, v86
	v_sub_nc_u32_e32 v86, 29, v86
	v_dual_cndmask_b32 v96, v96, v86, vcc_lo :: v_dual_cndmask_b32 v86, 0, v97, vcc_lo
	s_delay_alu instid0(VALU_DEP_1) | instskip(NEXT) | instid1(VALU_DEP_2)
	v_lshl_add_u32 v96, v96, 23, 0x3c000000
	v_lshlrev_b64_e32 v[86:87], v86, v[34:35]
	v_lshlrev_b32_e32 v87, 24, v34
	s_delay_alu instid0(VALU_DEP_1) | instskip(NEXT) | instid1(VALU_DEP_3)
	v_and_b32_e32 v87, 0x80000000, v87
	v_lshlrev_b32_e32 v86, 20, v86
	s_delay_alu instid0(VALU_DEP_1) | instskip(NEXT) | instid1(VALU_DEP_1)
	v_and_b32_e32 v86, 0x700000, v86
	v_or3_b32 v86, v86, v87, v96
.LBB2_6033:                             ;   in Loop: Header=BB2_5927 Depth=2
	s_or_b32 exec_lo, exec_lo, s29
.LBB2_6034:                             ;   in Loop: Header=BB2_5927 Depth=2
	s_delay_alu instid0(SALU_CYCLE_1)
	s_or_b32 exec_lo, exec_lo, s28
.LBB2_6035:                             ;   in Loop: Header=BB2_5927 Depth=2
	s_delay_alu instid0(SALU_CYCLE_1) | instskip(NEXT) | instid1(VALU_DEP_1)
	s_or_b32 exec_lo, exec_lo, s11
	v_dual_mul_f32 v86, s27, v86 :: v_dual_mov_b32 v97, v35
                                        ; implicit-def: $vgpr117
	s_mov_b32 s11, exec_lo
	s_delay_alu instid0(VALU_DEP_1) | instskip(SKIP_1) | instid1(VALU_DEP_2)
	v_and_b32_e32 v96, 0x7f800000, v86
	v_lshrrev_b32_e32 v87, 24, v86
	v_cmpx_ne_u64_e32 0x7f800000, v[96:97]
	s_xor_b32 s28, exec_lo, s11
	s_cbranch_execz .LBB2_6049
; %bb.6036:                             ;   in Loop: Header=BB2_5927 Depth=2
	v_and_b32_e32 v96, 0x7fffffff, v86
	v_mov_b32_e32 v97, v35
	v_and_b32_e32 v118, 0x80, v87
                                        ; implicit-def: $vgpr117
	s_mov_b32 s11, exec_lo
	s_delay_alu instid0(VALU_DEP_2)
	v_cmpx_gt_u64_e32 0x43e00001, v[96:97]
	s_xor_b32 s29, exec_lo, s11
	s_cbranch_execz .LBB2_6046
; %bb.6037:                             ;   in Loop: Header=BB2_5927 Depth=2
	v_mov_b32_e32 v117, 0
	s_mov_b32 s40, exec_lo
	v_cmpx_ne_u32_e32 0, v86
	s_cbranch_execz .LBB2_6045
; %bb.6038:                             ;   in Loop: Header=BB2_5927 Depth=2
	v_bfe_u32 v117, v86, 23, 8
	v_and_b32_e32 v96, 0x7fffff, v86
	s_mov_b32 s41, exec_lo
	s_delay_alu instid0(VALU_DEP_2) | instskip(NEXT) | instid1(VALU_DEP_2)
	v_cmp_gt_u32_e32 vcc_lo, 0x7a, v117
	v_or_b32_e32 v97, 0x800000, v96
	v_sub_nc_u32_e32 v87, 0x79, v117
	s_delay_alu instid0(VALU_DEP_1) | instskip(SKIP_1) | instid1(VALU_DEP_4)
	v_cndmask_b32_e32 v87, 0, v87, vcc_lo
	v_cmp_eq_u32_e32 vcc_lo, 0, v117
	v_dual_cndmask_b32 v96, v97, v96 :: v_dual_mov_b32 v97, v35
	s_delay_alu instid0(VALU_DEP_3) | instskip(NEXT) | instid1(VALU_DEP_1)
	v_cndmask_b32_e64 v119, v87, 0x78, vcc_lo
	v_dual_add_nc_u32 v86, 20, v119 :: v_dual_add_nc_u32 v40, 19, v119
	s_delay_alu instid0(VALU_DEP_1) | instskip(NEXT) | instid1(VALU_DEP_2)
	v_lshlrev_b64_e64 v[86:87], v86, -1
	v_lshlrev_b64_e64 v[40:41], v40, 1
	s_delay_alu instid0(VALU_DEP_2) | instskip(NEXT) | instid1(VALU_DEP_3)
	v_bfi_b32 v43, v87, 0, 0
	v_bfi_b32 v42, v86, 0, v96
	v_lshrrev_b64 v[86:87], v119, v[96:97]
	s_delay_alu instid0(VALU_DEP_1) | instskip(NEXT) | instid1(VALU_DEP_3)
	v_mov_b64_e32 v[96:97], v[86:87]
	v_cmpx_eq_u64_e64 v[42:43], v[40:41]
; %bb.6039:                             ;   in Loop: Header=BB2_5927 Depth=2
	v_bfe_u32 v96, v86, 20, 1
	v_mov_b32_e32 v97, v35
	s_delay_alu instid0(VALU_DEP_1) | instskip(NEXT) | instid1(VALU_DEP_1)
	v_add_nc_u64_e32 v[96:97], v[86:87], v[96:97]
	v_add_nc_u64_e32 v[96:97], -1, v[96:97]
; %bb.6040:                             ;   in Loop: Header=BB2_5927 Depth=2
	s_or_b32 exec_lo, exec_lo, s41
	v_add_nc_u32_e32 v87, 0xffffff81, v117
	v_lshrrev_b32_e32 v97, 23, v86
	s_mov_b32 s11, exec_lo
	s_delay_alu instid0(VALU_DEP_2) | instskip(NEXT) | instid1(VALU_DEP_1)
	v_cndmask_b32_e64 v87, v87, 0xffffff82, vcc_lo
	v_add3_u32 v97, v119, v87, v97
	v_and_b32_e32 v87, 0xfffff, v96
                                        ; implicit-def: $vgpr96
	s_delay_alu instid0(VALU_DEP_1) | instskip(SKIP_1) | instid1(VALU_DEP_2)
	v_dual_add_nc_u32 v117, 6, v97 :: v_dual_add_nc_u32 v86, v87, v86
	v_mov_b32_e32 v87, v35
	v_cmpx_ne_u32_e32 0, v117
	s_xor_b32 s11, exec_lo, s11
; %bb.6041:                             ;   in Loop: Header=BB2_5927 Depth=2
	s_delay_alu instid0(VALU_DEP_2) | instskip(SKIP_2) | instid1(VALU_DEP_2)
	v_cmp_lt_u64_e32 vcc_lo, 0xffffff, v[86:87]
	v_add_nc_u32_e32 v96, 7, v97
	v_cndmask_b32_e64 v97, 0, 1, vcc_lo
	v_cndmask_b32_e32 v96, v117, v96, vcc_lo
	s_delay_alu instid0(VALU_DEP_2)
	v_lshrrev_b64 v[86:87], v97, v[86:87]
; %bb.6042:                             ;   in Loop: Header=BB2_5927 Depth=2
	s_and_not1_saveexec_b32 s11, s11
; %bb.6043:                             ;   in Loop: Header=BB2_5927 Depth=2
	s_delay_alu instid0(VALU_DEP_1)
	v_bfe_u32 v96, v86, 23, 1
; %bb.6044:                             ;   in Loop: Header=BB2_5927 Depth=2
	s_or_b32 exec_lo, exec_lo, s11
	s_delay_alu instid0(VALU_DEP_2) | instskip(NEXT) | instid1(VALU_DEP_2)
	v_lshrrev_b64 v[86:87], 20, v[86:87]
	v_cmp_gt_i32_e32 vcc_lo, 16, v96
	v_min_i32_e32 v97, 15, v96
	v_cmp_eq_u32_e64 s11, 0, v96
	s_delay_alu instid0(VALU_DEP_2) | instskip(SKIP_1) | instid1(VALU_DEP_2)
	v_dual_cndmask_b32 v87, 0, v87, vcc_lo :: v_dual_lshlrev_b32 v97, 3, v97
	v_cndmask_b32_e32 v86, 7, v86, vcc_lo
	v_and_b32_e32 v97, 0xf8, v97
	s_delay_alu instid0(VALU_DEP_2) | instskip(NEXT) | instid1(VALU_DEP_2)
	v_cmp_eq_u64_e32 vcc_lo, 0, v[86:87]
	v_and_or_b32 v86, v86, 7, v97
	s_and_b32 s11, s11, vcc_lo
	s_delay_alu instid0(VALU_DEP_1) | instid1(SALU_CYCLE_1)
	v_cndmask_b32_e64 v86, v86, 0, s11
	s_delay_alu instid0(VALU_DEP_1)
	v_or_b32_e32 v117, v86, v118
.LBB2_6045:                             ;   in Loop: Header=BB2_5927 Depth=2
	s_or_b32 exec_lo, exec_lo, s40
                                        ; implicit-def: $vgpr118
.LBB2_6046:                             ;   in Loop: Header=BB2_5927 Depth=2
	s_and_not1_saveexec_b32 s11, s29
; %bb.6047:                             ;   in Loop: Header=BB2_5927 Depth=2
	v_or_b32_e32 v117, 0x7e, v118
; %bb.6048:                             ;   in Loop: Header=BB2_5927 Depth=2
	s_or_b32 exec_lo, exec_lo, s11
                                        ; implicit-def: $vgpr87
.LBB2_6049:                             ;   in Loop: Header=BB2_5927 Depth=2
	s_and_not1_saveexec_b32 s11, s28
; %bb.6050:                             ;   in Loop: Header=BB2_5927 Depth=2
	v_or_b32_e32 v117, 0x7f, v87
; %bb.6051:                             ;   in Loop: Header=BB2_5927 Depth=2
	s_or_b32 exec_lo, exec_lo, s11
	v_lshrrev_b16 v87, 8, v34
	v_mov_b32_e32 v86, 0
	s_mov_b32 s11, exec_lo
	s_delay_alu instid0(VALU_DEP_2)
	v_cmpx_ne_u16_e32 0, v87
	s_cbranch_execz .LBB2_6059
; %bb.6052:                             ;   in Loop: Header=BB2_5927 Depth=2
	v_bfrev_b32_e32 v86, 1
	s_mov_b32 s28, exec_lo
	v_cmpx_ne_u16_e32 0x80, v87
	s_cbranch_execz .LBB2_6058
; %bb.6053:                             ;   in Loop: Header=BB2_5927 Depth=2
	v_and_b32_e32 v87, 0xffff, v87
	v_mov_b32_e32 v86, 0x7f800001
	s_mov_b32 s29, exec_lo
	s_delay_alu instid0(VALU_DEP_2) | instskip(NEXT) | instid1(VALU_DEP_1)
	v_and_b32_e32 v97, 0x7f, v87
	v_cmpx_ne_u32_e32 0x7f, v97
	s_cbranch_execz .LBB2_6057
; %bb.6054:                             ;   in Loop: Header=BB2_5927 Depth=2
	v_dual_mov_b32 v87, v35 :: v_dual_bitop2_b32 v86, 7, v87 bitop3:0x40
	v_lshrrev_b32_e32 v96, 3, v97
	s_mov_b32 s40, exec_lo
	v_cmpx_gt_u32_e32 8, v97
; %bb.6055:                             ;   in Loop: Header=BB2_5927 Depth=2
	s_delay_alu instid0(VALU_DEP_3) | instskip(NEXT) | instid1(VALU_DEP_1)
	v_clz_i32_u32_e32 v96, v86
	v_min_u32_e32 v96, 32, v96
	s_delay_alu instid0(VALU_DEP_1) | instskip(NEXT) | instid1(VALU_DEP_1)
	v_subrev_nc_u32_e32 v97, 28, v96
	v_lshlrev_b64_e32 v[86:87], v97, v[86:87]
	s_delay_alu instid0(VALU_DEP_1)
	v_dual_sub_nc_u32 v96, 29, v96 :: v_dual_bitop2_b32 v86, 7, v86 bitop3:0x40
; %bb.6056:                             ;   in Loop: Header=BB2_5927 Depth=2
	s_or_b32 exec_lo, exec_lo, s40
	v_lshlrev_b32_e32 v34, 16, v34
	s_delay_alu instid0(VALU_DEP_2) | instskip(NEXT) | instid1(VALU_DEP_3)
	v_lshlrev_b32_e32 v86, 20, v86
	v_lshl_add_u32 v87, v96, 23, 0x3c000000
	s_delay_alu instid0(VALU_DEP_3) | instskip(NEXT) | instid1(VALU_DEP_1)
	v_and_b32_e32 v34, 0x80000000, v34
	v_or3_b32 v86, v86, v34, v87
.LBB2_6057:                             ;   in Loop: Header=BB2_5927 Depth=2
	s_or_b32 exec_lo, exec_lo, s29
.LBB2_6058:                             ;   in Loop: Header=BB2_5927 Depth=2
	s_delay_alu instid0(SALU_CYCLE_1)
	s_or_b32 exec_lo, exec_lo, s28
.LBB2_6059:                             ;   in Loop: Header=BB2_5927 Depth=2
	s_delay_alu instid0(SALU_CYCLE_1) | instskip(NEXT) | instid1(VALU_DEP_1)
	s_or_b32 exec_lo, exec_lo, s11
	v_mul_f32_e32 v86, s27, v86
                                        ; implicit-def: $vgpr118
	s_mov_b32 s11, exec_lo
	s_delay_alu instid0(VALU_DEP_1) | instskip(SKIP_1) | instid1(VALU_DEP_2)
	v_and_b32_e32 v34, 0x7f800000, v86
	v_lshrrev_b32_e32 v87, 24, v86
	v_cmpx_ne_u64_e32 0x7f800000, v[34:35]
	s_xor_b32 s28, exec_lo, s11
	s_cbranch_execz .LBB2_6073
; %bb.6060:                             ;   in Loop: Header=BB2_5927 Depth=2
	v_and_b32_e32 v34, 0x7fffffff, v86
	v_and_b32_e32 v119, 0x80, v87
                                        ; implicit-def: $vgpr118
	s_mov_b32 s11, exec_lo
	s_delay_alu instid0(VALU_DEP_2)
	v_cmpx_gt_u64_e32 0x43e00001, v[34:35]
	s_xor_b32 s29, exec_lo, s11
	s_cbranch_execz .LBB2_6070
; %bb.6061:                             ;   in Loop: Header=BB2_5927 Depth=2
	v_mov_b32_e32 v118, 0
	s_mov_b32 s40, exec_lo
	v_cmpx_ne_u32_e32 0, v86
	s_cbranch_execz .LBB2_6069
; %bb.6062:                             ;   in Loop: Header=BB2_5927 Depth=2
	v_bfe_u32 v118, v86, 23, 8
	s_delay_alu instid0(VALU_DEP_1) | instskip(SKIP_1) | instid1(VALU_DEP_2)
	v_sub_nc_u32_e32 v34, 0x79, v118
	v_cmp_gt_u32_e32 vcc_lo, 0x7a, v118
	v_cndmask_b32_e32 v34, 0, v34, vcc_lo
	v_cmp_eq_u32_e32 vcc_lo, 0, v118
	s_delay_alu instid0(VALU_DEP_2) | instskip(SKIP_1) | instid1(VALU_DEP_2)
	v_cndmask_b32_e64 v40, v34, 0x78, vcc_lo
	v_and_b32_e32 v34, 0x7fffff, v86
	v_add_nc_u32_e32 v86, 20, v40
	s_delay_alu instid0(VALU_DEP_2) | instskip(SKIP_1) | instid1(VALU_DEP_3)
	v_or_b32_e32 v96, 0x800000, v34
	v_add_nc_u32_e32 v97, 19, v40
	v_lshlrev_b64_e64 v[86:87], v86, -1
	s_delay_alu instid0(VALU_DEP_3) | instskip(NEXT) | instid1(VALU_DEP_3)
	v_cndmask_b32_e32 v34, v96, v34, vcc_lo
	v_lshlrev_b64_e64 v[96:97], v97, 1
	s_delay_alu instid0(VALU_DEP_3) | instskip(NEXT) | instid1(VALU_DEP_3)
	v_bfi_b32 v43, v87, 0, 0
	v_bfi_b32 v42, v86, 0, v34
	v_lshrrev_b64 v[86:87], v40, v[34:35]
	s_delay_alu instid0(VALU_DEP_2) | instskip(NEXT) | instid1(VALU_DEP_2)
	v_cmp_eq_u64_e64 s11, v[42:43], v[96:97]
	v_mov_b64_e32 v[96:97], v[86:87]
	s_and_saveexec_b32 s41, s11
; %bb.6063:                             ;   in Loop: Header=BB2_5927 Depth=2
	v_bfe_u32 v34, v86, 20, 1
	s_delay_alu instid0(VALU_DEP_1) | instskip(NEXT) | instid1(VALU_DEP_1)
	v_add_nc_u64_e32 v[96:97], v[86:87], v[34:35]
	v_add_nc_u64_e32 v[96:97], -1, v[96:97]
; %bb.6064:                             ;   in Loop: Header=BB2_5927 Depth=2
	s_or_b32 exec_lo, exec_lo, s41
	v_add_nc_u32_e32 v34, 0xffffff81, v118
	v_lshrrev_b32_e32 v87, 23, v86
	s_mov_b32 s11, exec_lo
	s_delay_alu instid0(VALU_DEP_2) | instskip(NEXT) | instid1(VALU_DEP_1)
	v_cndmask_b32_e64 v34, v34, 0xffffff82, vcc_lo
	v_add3_u32 v97, v40, v34, v87
	v_and_b32_e32 v34, 0xfffff, v96
                                        ; implicit-def: $vgpr96
	s_delay_alu instid0(VALU_DEP_1) | instskip(NEXT) | instid1(VALU_DEP_1)
	v_dual_add_nc_u32 v118, 6, v97 :: v_dual_add_nc_u32 v34, v34, v86
                                        ; implicit-def: $vgpr86_vgpr87
	v_cmpx_ne_u32_e32 0, v118
	s_xor_b32 s11, exec_lo, s11
; %bb.6065:                             ;   in Loop: Header=BB2_5927 Depth=2
	s_delay_alu instid0(VALU_DEP_2) | instskip(SKIP_1) | instid1(VALU_DEP_1)
	v_cmp_lt_u64_e32 vcc_lo, 0xffffff, v[34:35]
	v_add_nc_u32_e32 v86, 7, v97
	v_cndmask_b32_e32 v96, v118, v86, vcc_lo
	v_cndmask_b32_e64 v86, 0, 1, vcc_lo
	s_delay_alu instid0(VALU_DEP_1)
	v_lshrrev_b64 v[86:87], v86, v[34:35]
; %bb.6066:                             ;   in Loop: Header=BB2_5927 Depth=2
	s_and_not1_saveexec_b32 s11, s11
; %bb.6067:                             ;   in Loop: Header=BB2_5927 Depth=2
	v_mov_b64_e32 v[86:87], v[34:35]
	v_bfe_u32 v96, v34, 23, 1
; %bb.6068:                             ;   in Loop: Header=BB2_5927 Depth=2
	s_or_b32 exec_lo, exec_lo, s11
	s_delay_alu instid0(VALU_DEP_2) | instskip(NEXT) | instid1(VALU_DEP_2)
	v_lshrrev_b64 v[86:87], 20, v[86:87]
	v_cmp_gt_i32_e32 vcc_lo, 16, v96
	v_min_i32_e32 v34, 15, v96
	v_cmp_eq_u32_e64 s11, 0, v96
	s_delay_alu instid0(VALU_DEP_2) | instskip(SKIP_1) | instid1(VALU_DEP_2)
	v_dual_cndmask_b32 v87, 0, v87 :: v_dual_lshlrev_b32 v34, 3, v34
	v_cndmask_b32_e32 v86, 7, v86, vcc_lo
	v_and_b32_e32 v34, 0xf8, v34
	s_delay_alu instid0(VALU_DEP_2) | instskip(NEXT) | instid1(VALU_DEP_2)
	v_cmp_eq_u64_e32 vcc_lo, 0, v[86:87]
	v_and_or_b32 v34, v86, 7, v34
	s_and_b32 s11, s11, vcc_lo
	s_delay_alu instid0(VALU_DEP_1) | instid1(SALU_CYCLE_1)
	v_cndmask_b32_e64 v34, v34, 0, s11
	s_delay_alu instid0(VALU_DEP_1)
	v_or_b32_e32 v118, v34, v119
.LBB2_6069:                             ;   in Loop: Header=BB2_5927 Depth=2
	s_or_b32 exec_lo, exec_lo, s40
                                        ; implicit-def: $vgpr119
.LBB2_6070:                             ;   in Loop: Header=BB2_5927 Depth=2
	s_and_not1_saveexec_b32 s11, s29
; %bb.6071:                             ;   in Loop: Header=BB2_5927 Depth=2
	v_or_b32_e32 v118, 0x7e, v119
; %bb.6072:                             ;   in Loop: Header=BB2_5927 Depth=2
	s_or_b32 exec_lo, exec_lo, s11
                                        ; implicit-def: $vgpr87
.LBB2_6073:                             ;   in Loop: Header=BB2_5927 Depth=2
	s_and_not1_saveexec_b32 s11, s28
; %bb.6074:                             ;   in Loop: Header=BB2_5927 Depth=2
	v_or_b32_e32 v118, 0x7f, v87
; %bb.6075:                             ;   in Loop: Header=BB2_5927 Depth=2
	s_or_b32 exec_lo, exec_lo, s11
	v_dual_lshrrev_b32 v86, 16, v11 :: v_dual_mov_b32 v34, 0
	s_mov_b32 s11, exec_lo
	s_delay_alu instid0(VALU_DEP_1) | instskip(NEXT) | instid1(VALU_DEP_1)
	v_and_b32_e32 v87, 0xff, v86
	v_cmpx_ne_u16_e32 0, v87
	s_cbranch_execz .LBB2_6083
; %bb.6076:                             ;   in Loop: Header=BB2_5927 Depth=2
	v_bfrev_b32_e32 v34, 1
	s_mov_b32 s28, exec_lo
	v_cmpx_ne_u16_e32 0x80, v87
	s_cbranch_execz .LBB2_6082
; %bb.6077:                             ;   in Loop: Header=BB2_5927 Depth=2
	v_bfe_u32 v96, v11, 16, 7
	v_mov_b32_e32 v34, 0x7f800001
	s_mov_b32 s29, exec_lo
	s_delay_alu instid0(VALU_DEP_2)
	v_cmpx_ne_u32_e32 0x7f, v96
	s_cbranch_execz .LBB2_6081
; %bb.6078:                             ;   in Loop: Header=BB2_5927 Depth=2
	v_dual_lshrrev_b32 v87, 3, v96 :: v_dual_bitop2_b32 v34, 7, v86 bitop3:0x40
	s_mov_b32 s40, exec_lo
	v_cmpx_gt_u32_e32 8, v96
; %bb.6079:                             ;   in Loop: Header=BB2_5927 Depth=2
	s_delay_alu instid0(VALU_DEP_2) | instskip(NEXT) | instid1(VALU_DEP_1)
	v_clz_i32_u32_e32 v87, v34
	v_min_u32_e32 v87, 32, v87
	s_delay_alu instid0(VALU_DEP_1) | instskip(NEXT) | instid1(VALU_DEP_1)
	v_subrev_nc_u32_e32 v96, 28, v87
	v_lshlrev_b64_e32 v[96:97], v96, v[34:35]
	s_delay_alu instid0(VALU_DEP_1)
	v_dual_sub_nc_u32 v87, 29, v87 :: v_dual_bitop2_b32 v34, 7, v96 bitop3:0x40
; %bb.6080:                             ;   in Loop: Header=BB2_5927 Depth=2
	s_or_b32 exec_lo, exec_lo, s40
	v_lshlrev_b32_e32 v86, 24, v86
	s_delay_alu instid0(VALU_DEP_2) | instskip(NEXT) | instid1(VALU_DEP_3)
	v_lshlrev_b32_e32 v34, 20, v34
	v_lshl_add_u32 v87, v87, 23, 0x3c000000
	s_delay_alu instid0(VALU_DEP_3) | instskip(NEXT) | instid1(VALU_DEP_1)
	v_and_b32_e32 v86, 0x80000000, v86
	v_or3_b32 v34, v34, v86, v87
.LBB2_6081:                             ;   in Loop: Header=BB2_5927 Depth=2
	s_or_b32 exec_lo, exec_lo, s29
.LBB2_6082:                             ;   in Loop: Header=BB2_5927 Depth=2
	s_delay_alu instid0(SALU_CYCLE_1)
	s_or_b32 exec_lo, exec_lo, s28
.LBB2_6083:                             ;   in Loop: Header=BB2_5927 Depth=2
	s_delay_alu instid0(SALU_CYCLE_1) | instskip(NEXT) | instid1(VALU_DEP_1)
	s_or_b32 exec_lo, exec_lo, s11
	v_mul_f32_e32 v86, s27, v34
                                        ; implicit-def: $vgpr96
	s_mov_b32 s11, exec_lo
	s_delay_alu instid0(VALU_DEP_1) | instskip(SKIP_1) | instid1(VALU_DEP_2)
	v_and_b32_e32 v34, 0x7f800000, v86
	v_lshrrev_b32_e32 v87, 24, v86
	v_cmpx_ne_u64_e32 0x7f800000, v[34:35]
	s_xor_b32 s28, exec_lo, s11
	s_cbranch_execz .LBB2_6097
; %bb.6084:                             ;   in Loop: Header=BB2_5927 Depth=2
	v_and_b32_e32 v34, 0x7fffffff, v86
	v_and_b32_e32 v119, 0x80, v87
                                        ; implicit-def: $vgpr96
	s_mov_b32 s11, exec_lo
	s_delay_alu instid0(VALU_DEP_2)
	v_cmpx_gt_u64_e32 0x43e00001, v[34:35]
	s_xor_b32 s29, exec_lo, s11
	s_cbranch_execz .LBB2_6094
; %bb.6085:                             ;   in Loop: Header=BB2_5927 Depth=2
	v_mov_b32_e32 v96, 0
	s_mov_b32 s40, exec_lo
	v_cmpx_ne_u32_e32 0, v86
	s_cbranch_execz .LBB2_6093
; %bb.6086:                             ;   in Loop: Header=BB2_5927 Depth=2
	v_bfe_u32 v40, v86, 23, 8
	s_delay_alu instid0(VALU_DEP_1) | instskip(SKIP_1) | instid1(VALU_DEP_2)
	v_sub_nc_u32_e32 v34, 0x79, v40
	v_cmp_gt_u32_e32 vcc_lo, 0x7a, v40
	v_cndmask_b32_e32 v34, 0, v34, vcc_lo
	v_cmp_eq_u32_e32 vcc_lo, 0, v40
	s_delay_alu instid0(VALU_DEP_2) | instskip(SKIP_1) | instid1(VALU_DEP_2)
	v_cndmask_b32_e64 v41, v34, 0x78, vcc_lo
	v_and_b32_e32 v34, 0x7fffff, v86
	v_add_nc_u32_e32 v86, 20, v41
	s_delay_alu instid0(VALU_DEP_2) | instskip(SKIP_1) | instid1(VALU_DEP_3)
	v_or_b32_e32 v96, 0x800000, v34
	v_add_nc_u32_e32 v97, 19, v41
	v_lshlrev_b64_e64 v[86:87], v86, -1
	s_delay_alu instid0(VALU_DEP_3) | instskip(NEXT) | instid1(VALU_DEP_3)
	v_cndmask_b32_e32 v34, v96, v34, vcc_lo
	v_lshlrev_b64_e64 v[96:97], v97, 1
	s_delay_alu instid0(VALU_DEP_3) | instskip(NEXT) | instid1(VALU_DEP_3)
	v_bfi_b32 v43, v87, 0, 0
	v_bfi_b32 v42, v86, 0, v34
	v_lshrrev_b64 v[86:87], v41, v[34:35]
	s_delay_alu instid0(VALU_DEP_2) | instskip(NEXT) | instid1(VALU_DEP_2)
	v_cmp_eq_u64_e64 s11, v[42:43], v[96:97]
	v_mov_b64_e32 v[96:97], v[86:87]
	s_and_saveexec_b32 s41, s11
; %bb.6087:                             ;   in Loop: Header=BB2_5927 Depth=2
	v_bfe_u32 v34, v86, 20, 1
	s_delay_alu instid0(VALU_DEP_1) | instskip(NEXT) | instid1(VALU_DEP_1)
	v_add_nc_u64_e32 v[96:97], v[86:87], v[34:35]
	v_add_nc_u64_e32 v[96:97], -1, v[96:97]
; %bb.6088:                             ;   in Loop: Header=BB2_5927 Depth=2
	s_or_b32 exec_lo, exec_lo, s41
	v_add_nc_u32_e32 v34, 0xffffff81, v40
	v_lshrrev_b32_e32 v87, 23, v86
	s_mov_b32 s11, exec_lo
	s_delay_alu instid0(VALU_DEP_2) | instskip(NEXT) | instid1(VALU_DEP_1)
	v_cndmask_b32_e64 v34, v34, 0xffffff82, vcc_lo
	v_add3_u32 v97, v41, v34, v87
	v_and_b32_e32 v34, 0xfffff, v96
                                        ; implicit-def: $vgpr96
	s_delay_alu instid0(VALU_DEP_1) | instskip(NEXT) | instid1(VALU_DEP_1)
	v_dual_add_nc_u32 v40, 6, v97 :: v_dual_add_nc_u32 v34, v34, v86
                                        ; implicit-def: $vgpr86_vgpr87
	v_cmpx_ne_u32_e32 0, v40
	s_xor_b32 s11, exec_lo, s11
; %bb.6089:                             ;   in Loop: Header=BB2_5927 Depth=2
	s_delay_alu instid0(VALU_DEP_2) | instskip(SKIP_1) | instid1(VALU_DEP_1)
	v_cmp_lt_u64_e32 vcc_lo, 0xffffff, v[34:35]
	v_add_nc_u32_e32 v86, 7, v97
	v_cndmask_b32_e32 v96, v40, v86, vcc_lo
	v_cndmask_b32_e64 v86, 0, 1, vcc_lo
	s_delay_alu instid0(VALU_DEP_1)
	v_lshrrev_b64 v[86:87], v86, v[34:35]
; %bb.6090:                             ;   in Loop: Header=BB2_5927 Depth=2
	s_and_not1_saveexec_b32 s11, s11
; %bb.6091:                             ;   in Loop: Header=BB2_5927 Depth=2
	v_mov_b64_e32 v[86:87], v[34:35]
	v_bfe_u32 v96, v34, 23, 1
; %bb.6092:                             ;   in Loop: Header=BB2_5927 Depth=2
	s_or_b32 exec_lo, exec_lo, s11
	s_delay_alu instid0(VALU_DEP_2) | instskip(NEXT) | instid1(VALU_DEP_2)
	v_lshrrev_b64 v[86:87], 20, v[86:87]
	v_cmp_gt_i32_e32 vcc_lo, 16, v96
	v_min_i32_e32 v34, 15, v96
	v_cmp_eq_u32_e64 s11, 0, v96
	s_delay_alu instid0(VALU_DEP_2) | instskip(SKIP_1) | instid1(VALU_DEP_2)
	v_dual_cndmask_b32 v87, 0, v87 :: v_dual_lshlrev_b32 v34, 3, v34
	v_cndmask_b32_e32 v86, 7, v86, vcc_lo
	v_and_b32_e32 v34, 0xf8, v34
	s_delay_alu instid0(VALU_DEP_2) | instskip(NEXT) | instid1(VALU_DEP_2)
	v_cmp_eq_u64_e32 vcc_lo, 0, v[86:87]
	v_and_or_b32 v34, v86, 7, v34
	s_and_b32 s11, s11, vcc_lo
	s_delay_alu instid0(VALU_DEP_1) | instid1(SALU_CYCLE_1)
	v_cndmask_b32_e64 v34, v34, 0, s11
	s_delay_alu instid0(VALU_DEP_1)
	v_or_b32_e32 v96, v34, v119
.LBB2_6093:                             ;   in Loop: Header=BB2_5927 Depth=2
	s_or_b32 exec_lo, exec_lo, s40
                                        ; implicit-def: $vgpr119
.LBB2_6094:                             ;   in Loop: Header=BB2_5927 Depth=2
	s_and_not1_saveexec_b32 s11, s29
; %bb.6095:                             ;   in Loop: Header=BB2_5927 Depth=2
	v_or_b32_e32 v96, 0x7e, v119
; %bb.6096:                             ;   in Loop: Header=BB2_5927 Depth=2
	s_or_b32 exec_lo, exec_lo, s11
                                        ; implicit-def: $vgpr87
.LBB2_6097:                             ;   in Loop: Header=BB2_5927 Depth=2
	s_and_not1_saveexec_b32 s11, s28
; %bb.6098:                             ;   in Loop: Header=BB2_5927 Depth=2
	v_or_b32_e32 v96, 0x7f, v87
; %bb.6099:                             ;   in Loop: Header=BB2_5927 Depth=2
	s_or_b32 exec_lo, exec_lo, s11
	v_mov_b32_e32 v34, 0
	s_mov_b32 s11, exec_lo
	v_cmpx_lt_u64_e64 s[12:13], v[10:11]
	s_cbranch_execz .LBB2_6107
; %bb.6100:                             ;   in Loop: Header=BB2_5927 Depth=2
	v_lshrrev_b32_e32 v10, 24, v11
	v_bfrev_b32_e32 v34, 1
	s_mov_b32 s28, exec_lo
	s_delay_alu instid0(VALU_DEP_2)
	v_cmpx_ne_u32_e32 0x80, v10
	s_cbranch_execz .LBB2_6106
; %bb.6101:                             ;   in Loop: Header=BB2_5927 Depth=2
	v_bfe_u32 v86, v11, 24, 7
	v_mov_b32_e32 v34, 0x7f800001
	s_mov_b32 s29, exec_lo
	s_delay_alu instid0(VALU_DEP_2)
	v_cmpx_ne_u32_e32 0x7f, v86
	s_cbranch_execz .LBB2_6105
; %bb.6102:                             ;   in Loop: Header=BB2_5927 Depth=2
	v_and_b32_e32 v34, 7, v10
	v_lshrrev_b32_e32 v11, 3, v86
	s_mov_b32 s40, exec_lo
	v_cmpx_gt_u32_e32 8, v86
; %bb.6103:                             ;   in Loop: Header=BB2_5927 Depth=2
	s_delay_alu instid0(VALU_DEP_3) | instskip(NEXT) | instid1(VALU_DEP_1)
	v_clz_i32_u32_e32 v11, v34
	v_min_u32_e32 v11, 32, v11
	s_delay_alu instid0(VALU_DEP_1) | instskip(NEXT) | instid1(VALU_DEP_1)
	v_subrev_nc_u32_e32 v86, 28, v11
	v_lshlrev_b64_e32 v[86:87], v86, v[34:35]
	s_delay_alu instid0(VALU_DEP_1)
	v_dual_sub_nc_u32 v11, 29, v11 :: v_dual_bitop2_b32 v34, 7, v86 bitop3:0x40
; %bb.6104:                             ;   in Loop: Header=BB2_5927 Depth=2
	s_or_b32 exec_lo, exec_lo, s40
	v_lshlrev_b32_e32 v10, 24, v10
	s_delay_alu instid0(VALU_DEP_2) | instskip(NEXT) | instid1(VALU_DEP_3)
	v_lshlrev_b32_e32 v34, 20, v34
	v_lshl_add_u32 v11, v11, 23, 0x3c000000
	s_delay_alu instid0(VALU_DEP_3) | instskip(NEXT) | instid1(VALU_DEP_1)
	v_and_b32_e32 v10, 0x80000000, v10
	v_or3_b32 v34, v34, v10, v11
.LBB2_6105:                             ;   in Loop: Header=BB2_5927 Depth=2
	s_or_b32 exec_lo, exec_lo, s29
.LBB2_6106:                             ;   in Loop: Header=BB2_5927 Depth=2
	s_delay_alu instid0(SALU_CYCLE_1)
	s_or_b32 exec_lo, exec_lo, s28
.LBB2_6107:                             ;   in Loop: Header=BB2_5927 Depth=2
	s_delay_alu instid0(SALU_CYCLE_1) | instskip(NEXT) | instid1(VALU_DEP_1)
	s_or_b32 exec_lo, exec_lo, s11
	v_mul_f32_e32 v10, s27, v34
                                        ; implicit-def: $vgpr97
	s_mov_b32 s11, exec_lo
	s_delay_alu instid0(VALU_DEP_1) | instskip(SKIP_1) | instid1(VALU_DEP_2)
	v_and_b32_e32 v34, 0x7f800000, v10
	v_lshrrev_b32_e32 v11, 24, v10
	v_cmpx_ne_u64_e32 0x7f800000, v[34:35]
	s_xor_b32 s28, exec_lo, s11
	s_cbranch_execz .LBB2_6121
; %bb.6108:                             ;   in Loop: Header=BB2_5927 Depth=2
	v_and_b32_e32 v34, 0x7fffffff, v10
	v_and_b32_e32 v119, 0x80, v11
                                        ; implicit-def: $vgpr97
	s_mov_b32 s11, exec_lo
	s_delay_alu instid0(VALU_DEP_2)
	v_cmpx_gt_u64_e32 0x43e00001, v[34:35]
	s_xor_b32 s29, exec_lo, s11
	s_cbranch_execz .LBB2_6118
; %bb.6109:                             ;   in Loop: Header=BB2_5927 Depth=2
	v_mov_b32_e32 v97, 0
	s_mov_b32 s40, exec_lo
	v_cmpx_ne_u32_e32 0, v10
	s_cbranch_execz .LBB2_6117
; %bb.6110:                             ;   in Loop: Header=BB2_5927 Depth=2
	v_bfe_u32 v97, v10, 23, 8
	v_and_b32_e32 v34, 0x7fffff, v10
	s_delay_alu instid0(VALU_DEP_2) | instskip(NEXT) | instid1(VALU_DEP_2)
	v_cmp_gt_u32_e32 vcc_lo, 0x7a, v97
	v_or_b32_e32 v86, 0x800000, v34
	v_sub_nc_u32_e32 v11, 0x79, v97
	s_delay_alu instid0(VALU_DEP_1) | instskip(SKIP_1) | instid1(VALU_DEP_2)
	v_cndmask_b32_e32 v11, 0, v11, vcc_lo
	v_cmp_eq_u32_e32 vcc_lo, 0, v97
	v_cndmask_b32_e64 v40, v11, 0x78, vcc_lo
	s_delay_alu instid0(VALU_DEP_1) | instskip(SKIP_1) | instid1(VALU_DEP_2)
	v_dual_cndmask_b32 v34, v86, v34, vcc_lo :: v_dual_add_nc_u32 v10, 20, v40
	v_add_nc_u32_e32 v87, 19, v40
	v_lshlrev_b64_e64 v[10:11], v10, -1
	s_delay_alu instid0(VALU_DEP_2) | instskip(NEXT) | instid1(VALU_DEP_2)
	v_lshlrev_b64_e64 v[86:87], v87, 1
	v_bfi_b32 v43, v11, 0, 0
	s_delay_alu instid0(VALU_DEP_3) | instskip(SKIP_1) | instid1(VALU_DEP_2)
	v_bfi_b32 v42, v10, 0, v34
	v_lshrrev_b64 v[10:11], v40, v[34:35]
	v_cmp_eq_u64_e64 s11, v[42:43], v[86:87]
	s_delay_alu instid0(VALU_DEP_2)
	v_mov_b64_e32 v[86:87], v[10:11]
	s_and_saveexec_b32 s41, s11
; %bb.6111:                             ;   in Loop: Header=BB2_5927 Depth=2
	v_bfe_u32 v34, v10, 20, 1
	s_delay_alu instid0(VALU_DEP_1) | instskip(NEXT) | instid1(VALU_DEP_1)
	v_add_nc_u64_e32 v[86:87], v[10:11], v[34:35]
	v_add_nc_u64_e32 v[86:87], -1, v[86:87]
; %bb.6112:                             ;   in Loop: Header=BB2_5927 Depth=2
	s_or_b32 exec_lo, exec_lo, s41
	v_add_nc_u32_e32 v11, 0xffffff81, v97
	v_lshrrev_b32_e32 v34, 23, v10
	s_mov_b32 s11, exec_lo
	s_delay_alu instid0(VALU_DEP_2) | instskip(NEXT) | instid1(VALU_DEP_1)
	v_cndmask_b32_e64 v11, v11, 0xffffff82, vcc_lo
	v_add3_u32 v87, v40, v11, v34
	v_and_b32_e32 v11, 0xfffff, v86
                                        ; implicit-def: $vgpr86
	s_delay_alu instid0(VALU_DEP_1) | instskip(NEXT) | instid1(VALU_DEP_1)
	v_dual_add_nc_u32 v97, 6, v87 :: v_dual_add_nc_u32 v34, v11, v10
                                        ; implicit-def: $vgpr10_vgpr11
	v_cmpx_ne_u32_e32 0, v97
	s_xor_b32 s11, exec_lo, s11
; %bb.6113:                             ;   in Loop: Header=BB2_5927 Depth=2
	s_delay_alu instid0(VALU_DEP_2) | instskip(SKIP_1) | instid1(VALU_DEP_1)
	v_cmp_lt_u64_e32 vcc_lo, 0xffffff, v[34:35]
	v_add_nc_u32_e32 v10, 7, v87
	v_cndmask_b32_e32 v86, v97, v10, vcc_lo
	v_cndmask_b32_e64 v10, 0, 1, vcc_lo
	s_delay_alu instid0(VALU_DEP_1)
	v_lshrrev_b64 v[10:11], v10, v[34:35]
; %bb.6114:                             ;   in Loop: Header=BB2_5927 Depth=2
	s_and_not1_saveexec_b32 s11, s11
; %bb.6115:                             ;   in Loop: Header=BB2_5927 Depth=2
	v_mov_b64_e32 v[10:11], v[34:35]
	v_bfe_u32 v86, v34, 23, 1
; %bb.6116:                             ;   in Loop: Header=BB2_5927 Depth=2
	s_or_b32 exec_lo, exec_lo, s11
	s_delay_alu instid0(VALU_DEP_2) | instskip(NEXT) | instid1(VALU_DEP_2)
	v_lshrrev_b64 v[10:11], 20, v[10:11]
	v_cmp_gt_i32_e32 vcc_lo, 16, v86
	v_min_i32_e32 v34, 15, v86
	v_cmp_eq_u32_e64 s11, 0, v86
	s_delay_alu instid0(VALU_DEP_2) | instskip(SKIP_1) | instid1(VALU_DEP_2)
	v_dual_cndmask_b32 v11, 0, v11 :: v_dual_lshlrev_b32 v34, 3, v34
	v_cndmask_b32_e32 v10, 7, v10, vcc_lo
	v_and_b32_e32 v34, 0xf8, v34
	s_delay_alu instid0(VALU_DEP_2) | instskip(NEXT) | instid1(VALU_DEP_2)
	v_cmp_eq_u64_e32 vcc_lo, 0, v[10:11]
	v_and_or_b32 v10, v10, 7, v34
	s_and_b32 s11, s11, vcc_lo
	s_delay_alu instid0(VALU_DEP_1) | instid1(SALU_CYCLE_1)
	v_cndmask_b32_e64 v10, v10, 0, s11
	s_delay_alu instid0(VALU_DEP_1)
	v_or_b32_e32 v97, v10, v119
.LBB2_6117:                             ;   in Loop: Header=BB2_5927 Depth=2
	s_or_b32 exec_lo, exec_lo, s40
                                        ; implicit-def: $vgpr119
.LBB2_6118:                             ;   in Loop: Header=BB2_5927 Depth=2
	s_and_not1_saveexec_b32 s11, s29
; %bb.6119:                             ;   in Loop: Header=BB2_5927 Depth=2
	v_or_b32_e32 v97, 0x7e, v119
; %bb.6120:                             ;   in Loop: Header=BB2_5927 Depth=2
	s_or_b32 exec_lo, exec_lo, s11
                                        ; implicit-def: $vgpr11
.LBB2_6121:                             ;   in Loop: Header=BB2_5927 Depth=2
	s_and_not1_saveexec_b32 s11, s28
; %bb.6122:                             ;   in Loop: Header=BB2_5927 Depth=2
	v_or_b32_e32 v97, 0x7f, v11
; %bb.6123:                             ;   in Loop: Header=BB2_5927 Depth=2
	s_or_b32 exec_lo, exec_lo, s11
	v_and_b32_e32 v11, 0xff, v12
	v_mov_b32_e32 v10, 0
	s_mov_b32 s11, exec_lo
	s_delay_alu instid0(VALU_DEP_2)
	v_cmpx_ne_u16_e32 0, v11
	s_cbranch_execz .LBB2_6129
; %bb.6124:                             ;   in Loop: Header=BB2_5927 Depth=2
	v_bfrev_b32_e32 v10, 1
	s_mov_b32 s28, exec_lo
	v_cmpx_ne_u16_e32 0x80, v11
	s_cbranch_execz .LBB2_6128
; %bb.6125:                             ;   in Loop: Header=BB2_5927 Depth=2
	v_and_b32_e32 v11, 0x7f, v12
	v_mov_b32_e32 v10, 0x7f800001
	s_mov_b32 s29, exec_lo
	s_delay_alu instid0(VALU_DEP_2)
	v_cmpx_ne_u32_e32 0x7f, v11
	s_cbranch_execz .LBB2_6127
; %bb.6126:                             ;   in Loop: Header=BB2_5927 Depth=2
	v_dual_lshrrev_b32 v34, 3, v11 :: v_dual_bitop2_b32 v10, 7, v12 bitop3:0x40
	v_cmp_gt_u32_e32 vcc_lo, 8, v11
	s_delay_alu instid0(VALU_DEP_2) | instskip(NEXT) | instid1(VALU_DEP_1)
	v_clz_i32_u32_e32 v10, v10
	v_min_u32_e32 v10, 32, v10
	s_delay_alu instid0(VALU_DEP_1) | instskip(SKIP_1) | instid1(VALU_DEP_1)
	v_subrev_nc_u32_e32 v86, 28, v10
	v_sub_nc_u32_e32 v10, 29, v10
	v_cndmask_b32_e32 v34, v34, v10, vcc_lo
	s_delay_alu instid0(VALU_DEP_3) | instskip(NEXT) | instid1(VALU_DEP_1)
	v_cndmask_b32_e32 v10, 0, v86, vcc_lo
	v_lshlrev_b64_e32 v[10:11], v10, v[12:13]
	v_lshlrev_b32_e32 v11, 24, v12
	s_delay_alu instid0(VALU_DEP_1) | instskip(NEXT) | instid1(VALU_DEP_3)
	v_and_b32_e32 v11, 0x80000000, v11
	v_lshlrev_b32_e32 v10, 20, v10
	v_lshl_add_u32 v34, v34, 23, 0x3c000000
	s_delay_alu instid0(VALU_DEP_2) | instskip(NEXT) | instid1(VALU_DEP_1)
	v_and_b32_e32 v10, 0x700000, v10
	v_or3_b32 v10, v10, v11, v34
.LBB2_6127:                             ;   in Loop: Header=BB2_5927 Depth=2
	s_or_b32 exec_lo, exec_lo, s29
.LBB2_6128:                             ;   in Loop: Header=BB2_5927 Depth=2
	s_delay_alu instid0(SALU_CYCLE_1)
	s_or_b32 exec_lo, exec_lo, s28
.LBB2_6129:                             ;   in Loop: Header=BB2_5927 Depth=2
	s_delay_alu instid0(SALU_CYCLE_1) | instskip(NEXT) | instid1(VALU_DEP_1)
	s_or_b32 exec_lo, exec_lo, s11
	v_mul_f32_e32 v10, s27, v10
                                        ; implicit-def: $vgpr119
	s_mov_b32 s11, exec_lo
	s_delay_alu instid0(VALU_DEP_1) | instskip(SKIP_1) | instid1(VALU_DEP_2)
	v_and_b32_e32 v34, 0x7f800000, v10
	v_lshrrev_b32_e32 v11, 24, v10
	v_cmpx_ne_u64_e32 0x7f800000, v[34:35]
	s_xor_b32 s28, exec_lo, s11
	s_cbranch_execz .LBB2_6143
; %bb.6130:                             ;   in Loop: Header=BB2_5927 Depth=2
	v_and_b32_e32 v34, 0x7fffffff, v10
	v_and_b32_e32 v40, 0x80, v11
                                        ; implicit-def: $vgpr119
	s_mov_b32 s11, exec_lo
	s_delay_alu instid0(VALU_DEP_2)
	v_cmpx_gt_u64_e32 0x43e00001, v[34:35]
	s_xor_b32 s29, exec_lo, s11
	s_cbranch_execz .LBB2_6140
; %bb.6131:                             ;   in Loop: Header=BB2_5927 Depth=2
	v_mov_b32_e32 v119, 0
	s_mov_b32 s40, exec_lo
	v_cmpx_ne_u32_e32 0, v10
	s_cbranch_execz .LBB2_6139
; %bb.6132:                             ;   in Loop: Header=BB2_5927 Depth=2
	v_bfe_u32 v119, v10, 23, 8
	v_and_b32_e32 v34, 0x7fffff, v10
	s_delay_alu instid0(VALU_DEP_2) | instskip(NEXT) | instid1(VALU_DEP_2)
	v_cmp_gt_u32_e32 vcc_lo, 0x7a, v119
	v_or_b32_e32 v86, 0x800000, v34
	v_sub_nc_u32_e32 v11, 0x79, v119
	s_delay_alu instid0(VALU_DEP_1) | instskip(SKIP_1) | instid1(VALU_DEP_2)
	v_cndmask_b32_e32 v11, 0, v11, vcc_lo
	v_cmp_eq_u32_e32 vcc_lo, 0, v119
	v_cndmask_b32_e64 v41, v11, 0x78, vcc_lo
	s_delay_alu instid0(VALU_DEP_1) | instskip(SKIP_1) | instid1(VALU_DEP_2)
	v_dual_cndmask_b32 v34, v86, v34, vcc_lo :: v_dual_add_nc_u32 v10, 20, v41
	v_add_nc_u32_e32 v87, 19, v41
	v_lshlrev_b64_e64 v[10:11], v10, -1
	s_delay_alu instid0(VALU_DEP_2) | instskip(NEXT) | instid1(VALU_DEP_2)
	v_lshlrev_b64_e64 v[86:87], v87, 1
	v_bfi_b32 v43, v11, 0, 0
	s_delay_alu instid0(VALU_DEP_3) | instskip(SKIP_1) | instid1(VALU_DEP_2)
	v_bfi_b32 v42, v10, 0, v34
	v_lshrrev_b64 v[10:11], v41, v[34:35]
	v_cmp_eq_u64_e64 s11, v[42:43], v[86:87]
	s_delay_alu instid0(VALU_DEP_2)
	v_mov_b64_e32 v[86:87], v[10:11]
	s_and_saveexec_b32 s41, s11
; %bb.6133:                             ;   in Loop: Header=BB2_5927 Depth=2
	v_bfe_u32 v34, v10, 20, 1
	s_delay_alu instid0(VALU_DEP_1) | instskip(NEXT) | instid1(VALU_DEP_1)
	v_add_nc_u64_e32 v[86:87], v[10:11], v[34:35]
	v_add_nc_u64_e32 v[86:87], -1, v[86:87]
; %bb.6134:                             ;   in Loop: Header=BB2_5927 Depth=2
	s_or_b32 exec_lo, exec_lo, s41
	v_add_nc_u32_e32 v11, 0xffffff81, v119
	v_lshrrev_b32_e32 v34, 23, v10
	s_mov_b32 s11, exec_lo
	s_delay_alu instid0(VALU_DEP_2) | instskip(NEXT) | instid1(VALU_DEP_1)
	v_cndmask_b32_e64 v11, v11, 0xffffff82, vcc_lo
	v_add3_u32 v87, v41, v11, v34
	v_and_b32_e32 v11, 0xfffff, v86
                                        ; implicit-def: $vgpr86
	s_delay_alu instid0(VALU_DEP_1) | instskip(NEXT) | instid1(VALU_DEP_1)
	v_dual_add_nc_u32 v119, 6, v87 :: v_dual_add_nc_u32 v34, v11, v10
                                        ; implicit-def: $vgpr10_vgpr11
	v_cmpx_ne_u32_e32 0, v119
	s_xor_b32 s11, exec_lo, s11
; %bb.6135:                             ;   in Loop: Header=BB2_5927 Depth=2
	s_delay_alu instid0(VALU_DEP_2) | instskip(SKIP_1) | instid1(VALU_DEP_1)
	v_cmp_lt_u64_e32 vcc_lo, 0xffffff, v[34:35]
	v_add_nc_u32_e32 v10, 7, v87
	v_cndmask_b32_e32 v86, v119, v10, vcc_lo
	v_cndmask_b32_e64 v10, 0, 1, vcc_lo
	s_delay_alu instid0(VALU_DEP_1)
	v_lshrrev_b64 v[10:11], v10, v[34:35]
; %bb.6136:                             ;   in Loop: Header=BB2_5927 Depth=2
	s_and_not1_saveexec_b32 s11, s11
; %bb.6137:                             ;   in Loop: Header=BB2_5927 Depth=2
	v_mov_b64_e32 v[10:11], v[34:35]
	v_bfe_u32 v86, v34, 23, 1
; %bb.6138:                             ;   in Loop: Header=BB2_5927 Depth=2
	s_or_b32 exec_lo, exec_lo, s11
	s_delay_alu instid0(VALU_DEP_2) | instskip(NEXT) | instid1(VALU_DEP_2)
	v_lshrrev_b64 v[10:11], 20, v[10:11]
	v_cmp_gt_i32_e32 vcc_lo, 16, v86
	v_min_i32_e32 v34, 15, v86
	v_cmp_eq_u32_e64 s11, 0, v86
	s_delay_alu instid0(VALU_DEP_2) | instskip(SKIP_1) | instid1(VALU_DEP_2)
	v_dual_cndmask_b32 v11, 0, v11 :: v_dual_lshlrev_b32 v34, 3, v34
	v_cndmask_b32_e32 v10, 7, v10, vcc_lo
	v_and_b32_e32 v34, 0xf8, v34
	s_delay_alu instid0(VALU_DEP_2) | instskip(NEXT) | instid1(VALU_DEP_2)
	v_cmp_eq_u64_e32 vcc_lo, 0, v[10:11]
	v_and_or_b32 v10, v10, 7, v34
	s_and_b32 s11, s11, vcc_lo
	s_delay_alu instid0(VALU_DEP_1) | instid1(SALU_CYCLE_1)
	v_cndmask_b32_e64 v10, v10, 0, s11
	s_delay_alu instid0(VALU_DEP_1)
	v_or_b32_e32 v119, v10, v40
.LBB2_6139:                             ;   in Loop: Header=BB2_5927 Depth=2
	s_or_b32 exec_lo, exec_lo, s40
                                        ; implicit-def: $vgpr40
.LBB2_6140:                             ;   in Loop: Header=BB2_5927 Depth=2
	s_and_not1_saveexec_b32 s11, s29
; %bb.6141:                             ;   in Loop: Header=BB2_5927 Depth=2
	v_or_b32_e32 v119, 0x7e, v40
; %bb.6142:                             ;   in Loop: Header=BB2_5927 Depth=2
	s_or_b32 exec_lo, exec_lo, s11
                                        ; implicit-def: $vgpr11
.LBB2_6143:                             ;   in Loop: Header=BB2_5927 Depth=2
	s_and_not1_saveexec_b32 s11, s28
; %bb.6144:                             ;   in Loop: Header=BB2_5927 Depth=2
	v_or_b32_e32 v119, 0x7f, v11
; %bb.6145:                             ;   in Loop: Header=BB2_5927 Depth=2
	s_or_b32 exec_lo, exec_lo, s11
	v_lshrrev_b16 v11, 8, v12
	v_mov_b32_e32 v10, 0
	s_mov_b32 s11, exec_lo
	s_delay_alu instid0(VALU_DEP_2)
	v_cmpx_ne_u16_e32 0, v11
	s_cbranch_execz .LBB2_6153
; %bb.6146:                             ;   in Loop: Header=BB2_5927 Depth=2
	v_bfrev_b32_e32 v10, 1
	s_mov_b32 s28, exec_lo
	v_cmpx_ne_u16_e32 0x80, v11
	s_cbranch_execz .LBB2_6152
; %bb.6147:                             ;   in Loop: Header=BB2_5927 Depth=2
	v_and_b32_e32 v34, 0xffff, v11
	v_mov_b32_e32 v10, 0x7f800001
	s_mov_b32 s29, exec_lo
	s_delay_alu instid0(VALU_DEP_2) | instskip(NEXT) | instid1(VALU_DEP_1)
	v_and_b32_e32 v11, 0x7f, v34
	v_cmpx_ne_u32_e32 0x7f, v11
	s_cbranch_execz .LBB2_6151
; %bb.6148:                             ;   in Loop: Header=BB2_5927 Depth=2
	v_dual_lshrrev_b32 v10, 3, v11 :: v_dual_bitop2_b32 v34, 7, v34 bitop3:0x40
	s_mov_b32 s40, exec_lo
	v_cmpx_gt_u32_e32 8, v11
; %bb.6149:                             ;   in Loop: Header=BB2_5927 Depth=2
	s_delay_alu instid0(VALU_DEP_2) | instskip(NEXT) | instid1(VALU_DEP_1)
	v_clz_i32_u32_e32 v10, v34
	v_min_u32_e32 v10, 32, v10
	s_delay_alu instid0(VALU_DEP_1) | instskip(SKIP_1) | instid1(VALU_DEP_2)
	v_subrev_nc_u32_e32 v11, 28, v10
	v_sub_nc_u32_e32 v10, 29, v10
	v_lshlrev_b64_e32 v[86:87], v11, v[34:35]
	s_delay_alu instid0(VALU_DEP_1)
	v_and_b32_e32 v34, 7, v86
; %bb.6150:                             ;   in Loop: Header=BB2_5927 Depth=2
	s_or_b32 exec_lo, exec_lo, s40
	s_delay_alu instid0(VALU_DEP_1) | instskip(SKIP_1) | instid1(VALU_DEP_2)
	v_dual_lshlrev_b32 v11, 16, v12 :: v_dual_lshlrev_b32 v34, 20, v34
	v_lshl_add_u32 v10, v10, 23, 0x3c000000
	v_and_b32_e32 v11, 0x80000000, v11
	s_delay_alu instid0(VALU_DEP_1)
	v_or3_b32 v10, v34, v11, v10
.LBB2_6151:                             ;   in Loop: Header=BB2_5927 Depth=2
	s_or_b32 exec_lo, exec_lo, s29
.LBB2_6152:                             ;   in Loop: Header=BB2_5927 Depth=2
	s_delay_alu instid0(SALU_CYCLE_1)
	s_or_b32 exec_lo, exec_lo, s28
.LBB2_6153:                             ;   in Loop: Header=BB2_5927 Depth=2
	s_delay_alu instid0(SALU_CYCLE_1) | instskip(NEXT) | instid1(VALU_DEP_1)
	s_or_b32 exec_lo, exec_lo, s11
	v_mul_f32_e32 v10, s27, v10
                                        ; implicit-def: $vgpr40
	s_mov_b32 s11, exec_lo
	s_delay_alu instid0(VALU_DEP_1) | instskip(SKIP_1) | instid1(VALU_DEP_2)
	v_and_b32_e32 v34, 0x7f800000, v10
	v_lshrrev_b32_e32 v11, 24, v10
	v_cmpx_ne_u64_e32 0x7f800000, v[34:35]
	s_xor_b32 s28, exec_lo, s11
	s_cbranch_execz .LBB2_6167
; %bb.6154:                             ;   in Loop: Header=BB2_5927 Depth=2
	v_and_b32_e32 v34, 0x7fffffff, v10
	v_and_b32_e32 v41, 0x80, v11
                                        ; implicit-def: $vgpr40
	s_mov_b32 s11, exec_lo
	s_delay_alu instid0(VALU_DEP_2)
	v_cmpx_gt_u64_e32 0x43e00001, v[34:35]
	s_xor_b32 s29, exec_lo, s11
	s_cbranch_execz .LBB2_6164
; %bb.6155:                             ;   in Loop: Header=BB2_5927 Depth=2
	v_mov_b32_e32 v40, 0
	s_mov_b32 s40, exec_lo
	v_cmpx_ne_u32_e32 0, v10
	s_cbranch_execz .LBB2_6163
; %bb.6156:                             ;   in Loop: Header=BB2_5927 Depth=2
	v_bfe_u32 v40, v10, 23, 8
	v_and_b32_e32 v34, 0x7fffff, v10
	s_delay_alu instid0(VALU_DEP_2) | instskip(NEXT) | instid1(VALU_DEP_2)
	v_cmp_gt_u32_e32 vcc_lo, 0x7a, v40
	v_or_b32_e32 v86, 0x800000, v34
	v_sub_nc_u32_e32 v11, 0x79, v40
	s_delay_alu instid0(VALU_DEP_1) | instskip(SKIP_1) | instid1(VALU_DEP_2)
	v_cndmask_b32_e32 v11, 0, v11, vcc_lo
	v_cmp_eq_u32_e32 vcc_lo, 0, v40
	v_cndmask_b32_e64 v42, v11, 0x78, vcc_lo
	v_cndmask_b32_e32 v34, v86, v34, vcc_lo
	s_delay_alu instid0(VALU_DEP_2) | instskip(NEXT) | instid1(VALU_DEP_1)
	v_dual_add_nc_u32 v10, 20, v42 :: v_dual_add_nc_u32 v87, 19, v42
	v_lshlrev_b64_e64 v[10:11], v10, -1
	s_delay_alu instid0(VALU_DEP_2) | instskip(NEXT) | instid1(VALU_DEP_2)
	v_lshlrev_b64_e64 v[86:87], v87, 1
	v_bfi_b32 v45, v11, 0, 0
	s_delay_alu instid0(VALU_DEP_3) | instskip(SKIP_1) | instid1(VALU_DEP_2)
	v_bfi_b32 v44, v10, 0, v34
	v_lshrrev_b64 v[10:11], v42, v[34:35]
	v_cmp_eq_u64_e64 s11, v[44:45], v[86:87]
	s_delay_alu instid0(VALU_DEP_2)
	v_mov_b64_e32 v[86:87], v[10:11]
	s_and_saveexec_b32 s41, s11
; %bb.6157:                             ;   in Loop: Header=BB2_5927 Depth=2
	v_bfe_u32 v34, v10, 20, 1
	s_delay_alu instid0(VALU_DEP_1) | instskip(NEXT) | instid1(VALU_DEP_1)
	v_add_nc_u64_e32 v[86:87], v[10:11], v[34:35]
	v_add_nc_u64_e32 v[86:87], -1, v[86:87]
; %bb.6158:                             ;   in Loop: Header=BB2_5927 Depth=2
	s_or_b32 exec_lo, exec_lo, s41
	v_add_nc_u32_e32 v11, 0xffffff81, v40
	v_lshrrev_b32_e32 v34, 23, v10
	s_mov_b32 s11, exec_lo
	s_delay_alu instid0(VALU_DEP_2) | instskip(NEXT) | instid1(VALU_DEP_1)
	v_cndmask_b32_e64 v11, v11, 0xffffff82, vcc_lo
	v_add3_u32 v87, v42, v11, v34
	v_and_b32_e32 v11, 0xfffff, v86
                                        ; implicit-def: $vgpr86
	s_delay_alu instid0(VALU_DEP_1) | instskip(NEXT) | instid1(VALU_DEP_1)
	v_dual_add_nc_u32 v40, 6, v87 :: v_dual_add_nc_u32 v34, v11, v10
                                        ; implicit-def: $vgpr10_vgpr11
	v_cmpx_ne_u32_e32 0, v40
	s_xor_b32 s11, exec_lo, s11
; %bb.6159:                             ;   in Loop: Header=BB2_5927 Depth=2
	s_delay_alu instid0(VALU_DEP_2) | instskip(SKIP_1) | instid1(VALU_DEP_1)
	v_cmp_lt_u64_e32 vcc_lo, 0xffffff, v[34:35]
	v_add_nc_u32_e32 v10, 7, v87
	v_cndmask_b32_e32 v86, v40, v10, vcc_lo
	v_cndmask_b32_e64 v10, 0, 1, vcc_lo
	s_delay_alu instid0(VALU_DEP_1)
	v_lshrrev_b64 v[10:11], v10, v[34:35]
; %bb.6160:                             ;   in Loop: Header=BB2_5927 Depth=2
	s_and_not1_saveexec_b32 s11, s11
; %bb.6161:                             ;   in Loop: Header=BB2_5927 Depth=2
	v_mov_b64_e32 v[10:11], v[34:35]
	v_bfe_u32 v86, v34, 23, 1
; %bb.6162:                             ;   in Loop: Header=BB2_5927 Depth=2
	s_or_b32 exec_lo, exec_lo, s11
	s_delay_alu instid0(VALU_DEP_2) | instskip(NEXT) | instid1(VALU_DEP_2)
	v_lshrrev_b64 v[10:11], 20, v[10:11]
	v_cmp_gt_i32_e32 vcc_lo, 16, v86
	v_min_i32_e32 v34, 15, v86
	v_cmp_eq_u32_e64 s11, 0, v86
	s_delay_alu instid0(VALU_DEP_2) | instskip(SKIP_1) | instid1(VALU_DEP_2)
	v_dual_cndmask_b32 v11, 0, v11 :: v_dual_lshlrev_b32 v34, 3, v34
	v_cndmask_b32_e32 v10, 7, v10, vcc_lo
	v_and_b32_e32 v34, 0xf8, v34
	s_delay_alu instid0(VALU_DEP_2) | instskip(NEXT) | instid1(VALU_DEP_2)
	v_cmp_eq_u64_e32 vcc_lo, 0, v[10:11]
	v_and_or_b32 v10, v10, 7, v34
	s_and_b32 s11, s11, vcc_lo
	s_delay_alu instid0(VALU_DEP_1) | instid1(SALU_CYCLE_1)
	v_cndmask_b32_e64 v10, v10, 0, s11
	s_delay_alu instid0(VALU_DEP_1)
	v_or_b32_e32 v40, v10, v41
.LBB2_6163:                             ;   in Loop: Header=BB2_5927 Depth=2
	s_or_b32 exec_lo, exec_lo, s40
                                        ; implicit-def: $vgpr41
.LBB2_6164:                             ;   in Loop: Header=BB2_5927 Depth=2
	s_and_not1_saveexec_b32 s11, s29
; %bb.6165:                             ;   in Loop: Header=BB2_5927 Depth=2
	v_or_b32_e32 v40, 0x7e, v41
; %bb.6166:                             ;   in Loop: Header=BB2_5927 Depth=2
	s_or_b32 exec_lo, exec_lo, s11
                                        ; implicit-def: $vgpr11
.LBB2_6167:                             ;   in Loop: Header=BB2_5927 Depth=2
	s_and_not1_saveexec_b32 s11, s28
; %bb.6168:                             ;   in Loop: Header=BB2_5927 Depth=2
	v_or_b32_e32 v40, 0x7f, v11
; %bb.6169:                             ;   in Loop: Header=BB2_5927 Depth=2
	s_or_b32 exec_lo, exec_lo, s11
	v_dual_mov_b32 v11, 0 :: v_dual_lshrrev_b32 v10, 16, v12
	s_mov_b32 s11, exec_lo
	s_delay_alu instid0(VALU_DEP_1) | instskip(NEXT) | instid1(VALU_DEP_1)
	v_and_b32_e32 v34, 0xff, v10
	v_cmpx_ne_u16_e32 0, v34
	s_cbranch_execz .LBB2_6177
; %bb.6170:                             ;   in Loop: Header=BB2_5927 Depth=2
	v_bfrev_b32_e32 v11, 1
	s_mov_b32 s28, exec_lo
	v_cmpx_ne_u16_e32 0x80, v34
	s_cbranch_execz .LBB2_6176
; %bb.6171:                             ;   in Loop: Header=BB2_5927 Depth=2
	v_bfe_u32 v86, v12, 16, 7
	v_mov_b32_e32 v11, 0x7f800001
	s_mov_b32 s29, exec_lo
	s_delay_alu instid0(VALU_DEP_2)
	v_cmpx_ne_u32_e32 0x7f, v86
	s_cbranch_execz .LBB2_6175
; %bb.6172:                             ;   in Loop: Header=BB2_5927 Depth=2
	v_and_b32_e32 v34, 7, v10
	v_lshrrev_b32_e32 v11, 3, v86
	s_mov_b32 s40, exec_lo
	v_cmpx_gt_u32_e32 8, v86
; %bb.6173:                             ;   in Loop: Header=BB2_5927 Depth=2
	s_delay_alu instid0(VALU_DEP_3) | instskip(NEXT) | instid1(VALU_DEP_1)
	v_clz_i32_u32_e32 v11, v34
	v_min_u32_e32 v11, 32, v11
	s_delay_alu instid0(VALU_DEP_1) | instskip(NEXT) | instid1(VALU_DEP_1)
	v_subrev_nc_u32_e32 v86, 28, v11
	v_lshlrev_b64_e32 v[86:87], v86, v[34:35]
	s_delay_alu instid0(VALU_DEP_1)
	v_dual_sub_nc_u32 v11, 29, v11 :: v_dual_bitop2_b32 v34, 7, v86 bitop3:0x40
; %bb.6174:                             ;   in Loop: Header=BB2_5927 Depth=2
	s_or_b32 exec_lo, exec_lo, s40
	v_lshlrev_b32_e32 v10, 24, v10
	s_delay_alu instid0(VALU_DEP_2) | instskip(NEXT) | instid1(VALU_DEP_3)
	v_lshlrev_b32_e32 v34, 20, v34
	v_lshl_add_u32 v11, v11, 23, 0x3c000000
	s_delay_alu instid0(VALU_DEP_3) | instskip(NEXT) | instid1(VALU_DEP_1)
	v_and_b32_e32 v10, 0x80000000, v10
	v_or3_b32 v11, v34, v10, v11
.LBB2_6175:                             ;   in Loop: Header=BB2_5927 Depth=2
	s_or_b32 exec_lo, exec_lo, s29
.LBB2_6176:                             ;   in Loop: Header=BB2_5927 Depth=2
	s_delay_alu instid0(SALU_CYCLE_1)
	s_or_b32 exec_lo, exec_lo, s28
.LBB2_6177:                             ;   in Loop: Header=BB2_5927 Depth=2
	s_delay_alu instid0(SALU_CYCLE_1) | instskip(NEXT) | instid1(VALU_DEP_1)
	s_or_b32 exec_lo, exec_lo, s11
	v_mul_f32_e32 v10, s27, v11
                                        ; implicit-def: $vgpr41
	s_mov_b32 s11, exec_lo
	s_delay_alu instid0(VALU_DEP_1) | instskip(SKIP_1) | instid1(VALU_DEP_2)
	v_and_b32_e32 v34, 0x7f800000, v10
	v_lshrrev_b32_e32 v11, 24, v10
	v_cmpx_ne_u64_e32 0x7f800000, v[34:35]
	s_xor_b32 s28, exec_lo, s11
	s_cbranch_execz .LBB2_6191
; %bb.6178:                             ;   in Loop: Header=BB2_5927 Depth=2
	v_and_b32_e32 v34, 0x7fffffff, v10
	v_and_b32_e32 v42, 0x80, v11
                                        ; implicit-def: $vgpr41
	s_mov_b32 s11, exec_lo
	s_delay_alu instid0(VALU_DEP_2)
	v_cmpx_gt_u64_e32 0x43e00001, v[34:35]
	s_xor_b32 s29, exec_lo, s11
	s_cbranch_execz .LBB2_6188
; %bb.6179:                             ;   in Loop: Header=BB2_5927 Depth=2
	v_mov_b32_e32 v41, 0
	s_mov_b32 s40, exec_lo
	v_cmpx_ne_u32_e32 0, v10
	s_cbranch_execz .LBB2_6187
; %bb.6180:                             ;   in Loop: Header=BB2_5927 Depth=2
	v_bfe_u32 v41, v10, 23, 8
	v_and_b32_e32 v34, 0x7fffff, v10
	s_delay_alu instid0(VALU_DEP_2) | instskip(NEXT) | instid1(VALU_DEP_2)
	v_cmp_gt_u32_e32 vcc_lo, 0x7a, v41
	v_or_b32_e32 v86, 0x800000, v34
	v_sub_nc_u32_e32 v11, 0x79, v41
	s_delay_alu instid0(VALU_DEP_1) | instskip(SKIP_1) | instid1(VALU_DEP_2)
	v_cndmask_b32_e32 v11, 0, v11, vcc_lo
	v_cmp_eq_u32_e32 vcc_lo, 0, v41
	v_cndmask_b32_e64 v43, v11, 0x78, vcc_lo
	s_delay_alu instid0(VALU_DEP_1) | instskip(SKIP_1) | instid1(VALU_DEP_2)
	v_dual_cndmask_b32 v34, v86, v34, vcc_lo :: v_dual_add_nc_u32 v10, 20, v43
	v_add_nc_u32_e32 v87, 19, v43
	v_lshlrev_b64_e64 v[10:11], v10, -1
	s_delay_alu instid0(VALU_DEP_2) | instskip(NEXT) | instid1(VALU_DEP_2)
	v_lshlrev_b64_e64 v[86:87], v87, 1
	v_bfi_b32 v45, v11, 0, 0
	s_delay_alu instid0(VALU_DEP_3) | instskip(SKIP_1) | instid1(VALU_DEP_2)
	v_bfi_b32 v44, v10, 0, v34
	v_lshrrev_b64 v[10:11], v43, v[34:35]
	v_cmp_eq_u64_e64 s11, v[44:45], v[86:87]
	s_delay_alu instid0(VALU_DEP_2)
	v_mov_b64_e32 v[86:87], v[10:11]
	s_and_saveexec_b32 s41, s11
; %bb.6181:                             ;   in Loop: Header=BB2_5927 Depth=2
	v_bfe_u32 v34, v10, 20, 1
	s_delay_alu instid0(VALU_DEP_1) | instskip(NEXT) | instid1(VALU_DEP_1)
	v_add_nc_u64_e32 v[86:87], v[10:11], v[34:35]
	v_add_nc_u64_e32 v[86:87], -1, v[86:87]
; %bb.6182:                             ;   in Loop: Header=BB2_5927 Depth=2
	s_or_b32 exec_lo, exec_lo, s41
	v_add_nc_u32_e32 v11, 0xffffff81, v41
	v_lshrrev_b32_e32 v34, 23, v10
	s_mov_b32 s11, exec_lo
	s_delay_alu instid0(VALU_DEP_2) | instskip(NEXT) | instid1(VALU_DEP_1)
	v_cndmask_b32_e64 v11, v11, 0xffffff82, vcc_lo
	v_add3_u32 v87, v43, v11, v34
	v_and_b32_e32 v11, 0xfffff, v86
                                        ; implicit-def: $vgpr86
	s_delay_alu instid0(VALU_DEP_1) | instskip(NEXT) | instid1(VALU_DEP_1)
	v_dual_add_nc_u32 v41, 6, v87 :: v_dual_add_nc_u32 v34, v11, v10
                                        ; implicit-def: $vgpr10_vgpr11
	v_cmpx_ne_u32_e32 0, v41
	s_xor_b32 s11, exec_lo, s11
; %bb.6183:                             ;   in Loop: Header=BB2_5927 Depth=2
	s_delay_alu instid0(VALU_DEP_2) | instskip(SKIP_1) | instid1(VALU_DEP_1)
	v_cmp_lt_u64_e32 vcc_lo, 0xffffff, v[34:35]
	v_add_nc_u32_e32 v10, 7, v87
	v_cndmask_b32_e32 v86, v41, v10, vcc_lo
	v_cndmask_b32_e64 v10, 0, 1, vcc_lo
	s_delay_alu instid0(VALU_DEP_1)
	v_lshrrev_b64 v[10:11], v10, v[34:35]
; %bb.6184:                             ;   in Loop: Header=BB2_5927 Depth=2
	s_and_not1_saveexec_b32 s11, s11
; %bb.6185:                             ;   in Loop: Header=BB2_5927 Depth=2
	v_mov_b64_e32 v[10:11], v[34:35]
	v_bfe_u32 v86, v34, 23, 1
; %bb.6186:                             ;   in Loop: Header=BB2_5927 Depth=2
	s_or_b32 exec_lo, exec_lo, s11
	s_delay_alu instid0(VALU_DEP_2) | instskip(NEXT) | instid1(VALU_DEP_2)
	v_lshrrev_b64 v[10:11], 20, v[10:11]
	v_cmp_gt_i32_e32 vcc_lo, 16, v86
	v_min_i32_e32 v34, 15, v86
	v_cmp_eq_u32_e64 s11, 0, v86
	s_delay_alu instid0(VALU_DEP_2) | instskip(SKIP_1) | instid1(VALU_DEP_2)
	v_dual_cndmask_b32 v11, 0, v11 :: v_dual_lshlrev_b32 v34, 3, v34
	v_cndmask_b32_e32 v10, 7, v10, vcc_lo
	v_and_b32_e32 v34, 0xf8, v34
	s_delay_alu instid0(VALU_DEP_2) | instskip(NEXT) | instid1(VALU_DEP_2)
	v_cmp_eq_u64_e32 vcc_lo, 0, v[10:11]
	v_and_or_b32 v10, v10, 7, v34
	s_and_b32 s11, s11, vcc_lo
	s_delay_alu instid0(VALU_DEP_1) | instid1(SALU_CYCLE_1)
	v_cndmask_b32_e64 v10, v10, 0, s11
	s_delay_alu instid0(VALU_DEP_1)
	v_or_b32_e32 v41, v10, v42
.LBB2_6187:                             ;   in Loop: Header=BB2_5927 Depth=2
	s_or_b32 exec_lo, exec_lo, s40
                                        ; implicit-def: $vgpr42
.LBB2_6188:                             ;   in Loop: Header=BB2_5927 Depth=2
	s_and_not1_saveexec_b32 s11, s29
; %bb.6189:                             ;   in Loop: Header=BB2_5927 Depth=2
	v_or_b32_e32 v41, 0x7e, v42
; %bb.6190:                             ;   in Loop: Header=BB2_5927 Depth=2
	s_or_b32 exec_lo, exec_lo, s11
                                        ; implicit-def: $vgpr11
.LBB2_6191:                             ;   in Loop: Header=BB2_5927 Depth=2
	s_and_not1_saveexec_b32 s11, s28
; %bb.6192:                             ;   in Loop: Header=BB2_5927 Depth=2
	v_or_b32_e32 v41, 0x7f, v11
; %bb.6193:                             ;   in Loop: Header=BB2_5927 Depth=2
	s_or_b32 exec_lo, exec_lo, s11
	v_mov_b32_e32 v11, 0
	s_mov_b32 s11, exec_lo
	v_cmpx_lt_u32_e32 0xffffff, v12
	s_cbranch_execz .LBB2_6201
; %bb.6194:                             ;   in Loop: Header=BB2_5927 Depth=2
	v_lshrrev_b32_e32 v10, 24, v12
	v_bfrev_b32_e32 v11, 1
	s_mov_b32 s28, exec_lo
	s_delay_alu instid0(VALU_DEP_2)
	v_cmpx_ne_u32_e32 0x80, v10
	s_cbranch_execz .LBB2_6200
; %bb.6195:                             ;   in Loop: Header=BB2_5927 Depth=2
	v_bfe_u32 v86, v12, 24, 7
	v_mov_b32_e32 v11, 0x7f800001
	s_mov_b32 s29, exec_lo
	s_delay_alu instid0(VALU_DEP_2)
	v_cmpx_ne_u32_e32 0x7f, v86
	s_cbranch_execz .LBB2_6199
; %bb.6196:                             ;   in Loop: Header=BB2_5927 Depth=2
	v_and_b32_e32 v34, 7, v10
	v_lshrrev_b32_e32 v11, 3, v86
	s_mov_b32 s40, exec_lo
	v_cmpx_gt_u32_e32 8, v86
; %bb.6197:                             ;   in Loop: Header=BB2_5927 Depth=2
	s_delay_alu instid0(VALU_DEP_3) | instskip(NEXT) | instid1(VALU_DEP_1)
	v_clz_i32_u32_e32 v11, v34
	v_min_u32_e32 v11, 32, v11
	s_delay_alu instid0(VALU_DEP_1) | instskip(NEXT) | instid1(VALU_DEP_1)
	v_subrev_nc_u32_e32 v86, 28, v11
	v_lshlrev_b64_e32 v[86:87], v86, v[34:35]
	s_delay_alu instid0(VALU_DEP_1)
	v_dual_sub_nc_u32 v11, 29, v11 :: v_dual_bitop2_b32 v34, 7, v86 bitop3:0x40
; %bb.6198:                             ;   in Loop: Header=BB2_5927 Depth=2
	s_or_b32 exec_lo, exec_lo, s40
	v_lshlrev_b32_e32 v10, 24, v10
	s_delay_alu instid0(VALU_DEP_2) | instskip(NEXT) | instid1(VALU_DEP_3)
	v_lshlrev_b32_e32 v34, 20, v34
	v_lshl_add_u32 v11, v11, 23, 0x3c000000
	s_delay_alu instid0(VALU_DEP_3) | instskip(NEXT) | instid1(VALU_DEP_1)
	v_and_b32_e32 v10, 0x80000000, v10
	v_or3_b32 v11, v34, v10, v11
.LBB2_6199:                             ;   in Loop: Header=BB2_5927 Depth=2
	s_or_b32 exec_lo, exec_lo, s29
.LBB2_6200:                             ;   in Loop: Header=BB2_5927 Depth=2
	s_delay_alu instid0(SALU_CYCLE_1)
	s_or_b32 exec_lo, exec_lo, s28
.LBB2_6201:                             ;   in Loop: Header=BB2_5927 Depth=2
	s_delay_alu instid0(SALU_CYCLE_1) | instskip(NEXT) | instid1(VALU_DEP_1)
	s_or_b32 exec_lo, exec_lo, s11
	v_mul_f32_e32 v10, s27, v11
                                        ; implicit-def: $vgpr42
	s_mov_b32 s11, exec_lo
	s_delay_alu instid0(VALU_DEP_1) | instskip(SKIP_1) | instid1(VALU_DEP_2)
	v_and_b32_e32 v34, 0x7f800000, v10
	v_lshrrev_b32_e32 v11, 24, v10
	v_cmpx_ne_u64_e32 0x7f800000, v[34:35]
	s_xor_b32 s28, exec_lo, s11
	s_cbranch_execz .LBB2_6215
; %bb.6202:                             ;   in Loop: Header=BB2_5927 Depth=2
	v_and_b32_e32 v34, 0x7fffffff, v10
	v_and_b32_e32 v43, 0x80, v11
                                        ; implicit-def: $vgpr42
	s_mov_b32 s11, exec_lo
	s_delay_alu instid0(VALU_DEP_2)
	v_cmpx_gt_u64_e32 0x43e00001, v[34:35]
	s_xor_b32 s29, exec_lo, s11
	s_cbranch_execz .LBB2_6212
; %bb.6203:                             ;   in Loop: Header=BB2_5927 Depth=2
	v_mov_b32_e32 v42, 0
	s_mov_b32 s40, exec_lo
	v_cmpx_ne_u32_e32 0, v10
	s_cbranch_execz .LBB2_6211
; %bb.6204:                             ;   in Loop: Header=BB2_5927 Depth=2
	v_bfe_u32 v42, v10, 23, 8
	v_and_b32_e32 v34, 0x7fffff, v10
	s_delay_alu instid0(VALU_DEP_2) | instskip(SKIP_1) | instid1(VALU_DEP_3)
	v_sub_nc_u32_e32 v11, 0x79, v42
	v_cmp_gt_u32_e32 vcc_lo, 0x7a, v42
	v_or_b32_e32 v86, 0x800000, v34
	s_delay_alu instid0(VALU_DEP_3) | instskip(SKIP_1) | instid1(VALU_DEP_2)
	v_cndmask_b32_e32 v11, 0, v11, vcc_lo
	v_cmp_eq_u32_e32 vcc_lo, 0, v42
	v_cndmask_b32_e64 v44, v11, 0x78, vcc_lo
	s_delay_alu instid0(VALU_DEP_1) | instskip(SKIP_1) | instid1(VALU_DEP_2)
	v_dual_cndmask_b32 v34, v86, v34 :: v_dual_add_nc_u32 v87, 19, v44
	v_add_nc_u32_e32 v10, 20, v44
	v_lshlrev_b64_e64 v[86:87], v87, 1
	s_delay_alu instid0(VALU_DEP_2) | instskip(NEXT) | instid1(VALU_DEP_1)
	v_lshlrev_b64_e64 v[10:11], v10, -1
	v_bfi_b32 v47, v11, 0, 0
	s_delay_alu instid0(VALU_DEP_2) | instskip(SKIP_1) | instid1(VALU_DEP_2)
	v_bfi_b32 v46, v10, 0, v34
	v_lshrrev_b64 v[10:11], v44, v[34:35]
	v_cmp_eq_u64_e64 s11, v[46:47], v[86:87]
	s_delay_alu instid0(VALU_DEP_2)
	v_mov_b64_e32 v[86:87], v[10:11]
	s_and_saveexec_b32 s41, s11
; %bb.6205:                             ;   in Loop: Header=BB2_5927 Depth=2
	v_bfe_u32 v34, v10, 20, 1
	s_delay_alu instid0(VALU_DEP_1) | instskip(NEXT) | instid1(VALU_DEP_1)
	v_add_nc_u64_e32 v[86:87], v[10:11], v[34:35]
	v_add_nc_u64_e32 v[86:87], -1, v[86:87]
; %bb.6206:                             ;   in Loop: Header=BB2_5927 Depth=2
	s_or_b32 exec_lo, exec_lo, s41
	v_add_nc_u32_e32 v11, 0xffffff81, v42
	v_lshrrev_b32_e32 v34, 23, v10
	s_mov_b32 s11, exec_lo
	s_delay_alu instid0(VALU_DEP_2) | instskip(NEXT) | instid1(VALU_DEP_1)
	v_cndmask_b32_e64 v11, v11, 0xffffff82, vcc_lo
	v_add3_u32 v87, v44, v11, v34
	v_and_b32_e32 v11, 0xfffff, v86
                                        ; implicit-def: $vgpr86
	s_delay_alu instid0(VALU_DEP_1) | instskip(NEXT) | instid1(VALU_DEP_1)
	v_dual_add_nc_u32 v42, 6, v87 :: v_dual_add_nc_u32 v34, v11, v10
                                        ; implicit-def: $vgpr10_vgpr11
	v_cmpx_ne_u32_e32 0, v42
	s_xor_b32 s11, exec_lo, s11
; %bb.6207:                             ;   in Loop: Header=BB2_5927 Depth=2
	s_delay_alu instid0(VALU_DEP_2) | instskip(SKIP_1) | instid1(VALU_DEP_1)
	v_cmp_lt_u64_e32 vcc_lo, 0xffffff, v[34:35]
	v_add_nc_u32_e32 v10, 7, v87
	v_cndmask_b32_e32 v86, v42, v10, vcc_lo
	v_cndmask_b32_e64 v10, 0, 1, vcc_lo
	s_delay_alu instid0(VALU_DEP_1)
	v_lshrrev_b64 v[10:11], v10, v[34:35]
; %bb.6208:                             ;   in Loop: Header=BB2_5927 Depth=2
	s_and_not1_saveexec_b32 s11, s11
; %bb.6209:                             ;   in Loop: Header=BB2_5927 Depth=2
	v_mov_b64_e32 v[10:11], v[34:35]
	v_bfe_u32 v86, v34, 23, 1
; %bb.6210:                             ;   in Loop: Header=BB2_5927 Depth=2
	s_or_b32 exec_lo, exec_lo, s11
	s_delay_alu instid0(VALU_DEP_2) | instskip(NEXT) | instid1(VALU_DEP_2)
	v_lshrrev_b64 v[10:11], 20, v[10:11]
	v_cmp_gt_i32_e32 vcc_lo, 16, v86
	v_min_i32_e32 v34, 15, v86
	v_cmp_eq_u32_e64 s11, 0, v86
	s_delay_alu instid0(VALU_DEP_2) | instskip(SKIP_1) | instid1(VALU_DEP_2)
	v_dual_cndmask_b32 v11, 0, v11 :: v_dual_lshlrev_b32 v34, 3, v34
	v_cndmask_b32_e32 v10, 7, v10, vcc_lo
	v_and_b32_e32 v34, 0xf8, v34
	s_delay_alu instid0(VALU_DEP_2) | instskip(NEXT) | instid1(VALU_DEP_2)
	v_cmp_eq_u64_e32 vcc_lo, 0, v[10:11]
	v_and_or_b32 v10, v10, 7, v34
	s_and_b32 s11, s11, vcc_lo
	s_delay_alu instid0(VALU_DEP_1) | instid1(SALU_CYCLE_1)
	v_cndmask_b32_e64 v10, v10, 0, s11
	s_delay_alu instid0(VALU_DEP_1)
	v_or_b32_e32 v42, v10, v43
.LBB2_6211:                             ;   in Loop: Header=BB2_5927 Depth=2
	s_or_b32 exec_lo, exec_lo, s40
                                        ; implicit-def: $vgpr43
.LBB2_6212:                             ;   in Loop: Header=BB2_5927 Depth=2
	s_and_not1_saveexec_b32 s11, s29
; %bb.6213:                             ;   in Loop: Header=BB2_5927 Depth=2
	v_or_b32_e32 v42, 0x7e, v43
; %bb.6214:                             ;   in Loop: Header=BB2_5927 Depth=2
	s_or_b32 exec_lo, exec_lo, s11
                                        ; implicit-def: $vgpr11
.LBB2_6215:                             ;   in Loop: Header=BB2_5927 Depth=2
	s_and_not1_saveexec_b32 s11, s28
; %bb.6216:                             ;   in Loop: Header=BB2_5927 Depth=2
	v_or_b32_e32 v42, 0x7f, v11
; %bb.6217:                             ;   in Loop: Header=BB2_5927 Depth=2
	s_or_b32 exec_lo, exec_lo, s11
	v_and_b32_e32 v11, 0xff, v13
	v_dual_mov_b32 v34, v13 :: v_dual_mov_b32 v10, 0
	s_mov_b32 s11, exec_lo
	s_delay_alu instid0(VALU_DEP_2)
	v_cmpx_ne_u16_e32 0, v11
	s_cbranch_execz .LBB2_6223
; %bb.6218:                             ;   in Loop: Header=BB2_5927 Depth=2
	v_bfrev_b32_e32 v10, 1
	s_mov_b32 s28, exec_lo
	v_cmpx_ne_u16_e32 0x80, v11
	s_cbranch_execz .LBB2_6222
; %bb.6219:                             ;   in Loop: Header=BB2_5927 Depth=2
	v_and_b32_e32 v11, 0x7f, v13
	v_mov_b32_e32 v10, 0x7f800001
	s_mov_b32 s29, exec_lo
	s_delay_alu instid0(VALU_DEP_2)
	v_cmpx_ne_u32_e32 0x7f, v11
	s_cbranch_execz .LBB2_6221
; %bb.6220:                             ;   in Loop: Header=BB2_5927 Depth=2
	v_dual_lshrrev_b32 v86, 3, v11 :: v_dual_bitop2_b32 v10, 7, v13 bitop3:0x40
	v_cmp_gt_u32_e32 vcc_lo, 8, v11
	s_delay_alu instid0(VALU_DEP_2) | instskip(NEXT) | instid1(VALU_DEP_1)
	v_clz_i32_u32_e32 v10, v10
	v_min_u32_e32 v10, 32, v10
	s_delay_alu instid0(VALU_DEP_1) | instskip(SKIP_1) | instid1(VALU_DEP_1)
	v_subrev_nc_u32_e32 v87, 28, v10
	v_sub_nc_u32_e32 v10, 29, v10
	v_dual_cndmask_b32 v86, v86, v10, vcc_lo :: v_dual_cndmask_b32 v10, 0, v87, vcc_lo
	s_delay_alu instid0(VALU_DEP_1) | instskip(NEXT) | instid1(VALU_DEP_2)
	v_lshl_add_u32 v86, v86, 23, 0x3c000000
	v_lshlrev_b64_e32 v[10:11], v10, v[34:35]
	v_lshlrev_b32_e32 v11, 24, v34
	s_delay_alu instid0(VALU_DEP_1) | instskip(NEXT) | instid1(VALU_DEP_3)
	v_and_b32_e32 v11, 0x80000000, v11
	v_lshlrev_b32_e32 v10, 20, v10
	s_delay_alu instid0(VALU_DEP_1) | instskip(NEXT) | instid1(VALU_DEP_1)
	v_and_b32_e32 v10, 0x700000, v10
	v_or3_b32 v10, v10, v11, v86
.LBB2_6221:                             ;   in Loop: Header=BB2_5927 Depth=2
	s_or_b32 exec_lo, exec_lo, s29
.LBB2_6222:                             ;   in Loop: Header=BB2_5927 Depth=2
	s_delay_alu instid0(SALU_CYCLE_1)
	s_or_b32 exec_lo, exec_lo, s28
.LBB2_6223:                             ;   in Loop: Header=BB2_5927 Depth=2
	s_delay_alu instid0(SALU_CYCLE_1) | instskip(NEXT) | instid1(VALU_DEP_1)
	s_or_b32 exec_lo, exec_lo, s11
	v_dual_mul_f32 v10, s27, v10 :: v_dual_mov_b32 v87, v35
                                        ; implicit-def: $vgpr43
	s_mov_b32 s11, exec_lo
	s_delay_alu instid0(VALU_DEP_1) | instskip(SKIP_1) | instid1(VALU_DEP_2)
	v_and_b32_e32 v86, 0x7f800000, v10
	v_lshrrev_b32_e32 v11, 24, v10
	v_cmpx_ne_u64_e32 0x7f800000, v[86:87]
	s_xor_b32 s28, exec_lo, s11
	s_cbranch_execz .LBB2_6237
; %bb.6224:                             ;   in Loop: Header=BB2_5927 Depth=2
	v_and_b32_e32 v86, 0x7fffffff, v10
	v_mov_b32_e32 v87, v35
	v_and_b32_e32 v44, 0x80, v11
                                        ; implicit-def: $vgpr43
	s_mov_b32 s11, exec_lo
	s_delay_alu instid0(VALU_DEP_2)
	v_cmpx_gt_u64_e32 0x43e00001, v[86:87]
	s_xor_b32 s29, exec_lo, s11
	s_cbranch_execz .LBB2_6234
; %bb.6225:                             ;   in Loop: Header=BB2_5927 Depth=2
	v_mov_b32_e32 v43, 0
	s_mov_b32 s40, exec_lo
	v_cmpx_ne_u32_e32 0, v10
	s_cbranch_execz .LBB2_6233
; %bb.6226:                             ;   in Loop: Header=BB2_5927 Depth=2
	v_bfe_u32 v43, v10, 23, 8
	v_and_b32_e32 v86, 0x7fffff, v10
	s_mov_b32 s41, exec_lo
	s_delay_alu instid0(VALU_DEP_2) | instskip(NEXT) | instid1(VALU_DEP_2)
	v_cmp_gt_u32_e32 vcc_lo, 0x7a, v43
	v_or_b32_e32 v87, 0x800000, v86
	v_sub_nc_u32_e32 v11, 0x79, v43
	s_delay_alu instid0(VALU_DEP_1) | instskip(SKIP_1) | instid1(VALU_DEP_2)
	v_cndmask_b32_e32 v11, 0, v11, vcc_lo
	v_cmp_eq_u32_e32 vcc_lo, 0, v43
	v_cndmask_b32_e64 v45, v11, 0x78, vcc_lo
	v_cndmask_b32_e32 v86, v87, v86, vcc_lo
	s_delay_alu instid0(VALU_DEP_2) | instskip(SKIP_1) | instid1(VALU_DEP_2)
	v_dual_mov_b32 v87, v35 :: v_dual_add_nc_u32 v46, 19, v45
	v_add_nc_u32_e32 v10, 20, v45
	v_lshlrev_b64_e64 v[46:47], v46, 1
	s_delay_alu instid0(VALU_DEP_2) | instskip(NEXT) | instid1(VALU_DEP_1)
	v_lshlrev_b64_e64 v[10:11], v10, -1
	v_bfi_b32 v57, v11, 0, 0
	s_delay_alu instid0(VALU_DEP_2) | instskip(SKIP_1) | instid1(VALU_DEP_1)
	v_bfi_b32 v56, v10, 0, v86
	v_lshrrev_b64 v[10:11], v45, v[86:87]
	v_mov_b64_e32 v[86:87], v[10:11]
	s_delay_alu instid0(VALU_DEP_3)
	v_cmpx_eq_u64_e64 v[56:57], v[46:47]
; %bb.6227:                             ;   in Loop: Header=BB2_5927 Depth=2
	v_bfe_u32 v86, v10, 20, 1
	v_mov_b32_e32 v87, v35
	s_delay_alu instid0(VALU_DEP_1) | instskip(NEXT) | instid1(VALU_DEP_1)
	v_add_nc_u64_e32 v[86:87], v[10:11], v[86:87]
	v_add_nc_u64_e32 v[86:87], -1, v[86:87]
; %bb.6228:                             ;   in Loop: Header=BB2_5927 Depth=2
	s_or_b32 exec_lo, exec_lo, s41
	v_add_nc_u32_e32 v11, 0xffffff81, v43
	v_lshrrev_b32_e32 v87, 23, v10
	s_mov_b32 s11, exec_lo
	s_delay_alu instid0(VALU_DEP_2) | instskip(NEXT) | instid1(VALU_DEP_1)
	v_cndmask_b32_e64 v11, v11, 0xffffff82, vcc_lo
	v_add3_u32 v87, v45, v11, v87
	v_and_b32_e32 v11, 0xfffff, v86
                                        ; implicit-def: $vgpr86
	s_delay_alu instid0(VALU_DEP_1) | instskip(SKIP_1) | instid1(VALU_DEP_2)
	v_dual_add_nc_u32 v43, 6, v87 :: v_dual_add_nc_u32 v10, v11, v10
	v_mov_b32_e32 v11, v35
	v_cmpx_ne_u32_e32 0, v43
	s_xor_b32 s11, exec_lo, s11
; %bb.6229:                             ;   in Loop: Header=BB2_5927 Depth=2
	s_delay_alu instid0(VALU_DEP_2) | instskip(SKIP_2) | instid1(VALU_DEP_2)
	v_cmp_lt_u64_e32 vcc_lo, 0xffffff, v[10:11]
	v_add_nc_u32_e32 v86, 7, v87
	v_cndmask_b32_e64 v87, 0, 1, vcc_lo
	v_cndmask_b32_e32 v86, v43, v86, vcc_lo
	s_delay_alu instid0(VALU_DEP_2)
	v_lshrrev_b64 v[10:11], v87, v[10:11]
; %bb.6230:                             ;   in Loop: Header=BB2_5927 Depth=2
	s_and_not1_saveexec_b32 s11, s11
; %bb.6231:                             ;   in Loop: Header=BB2_5927 Depth=2
	s_delay_alu instid0(VALU_DEP_1)
	v_bfe_u32 v86, v10, 23, 1
; %bb.6232:                             ;   in Loop: Header=BB2_5927 Depth=2
	s_or_b32 exec_lo, exec_lo, s11
	s_delay_alu instid0(VALU_DEP_2) | instskip(NEXT) | instid1(VALU_DEP_2)
	v_lshrrev_b64 v[10:11], 20, v[10:11]
	v_cmp_gt_i32_e32 vcc_lo, 16, v86
	v_min_i32_e32 v87, 15, v86
	v_cmp_eq_u32_e64 s11, 0, v86
	s_delay_alu instid0(VALU_DEP_4) | instskip(NEXT) | instid1(VALU_DEP_3)
	v_cndmask_b32_e32 v11, 0, v11, vcc_lo
	v_dual_cndmask_b32 v10, 7, v10 :: v_dual_lshlrev_b32 v87, 3, v87
	s_delay_alu instid0(VALU_DEP_1) | instskip(NEXT) | instid1(VALU_DEP_2)
	v_and_b32_e32 v87, 0xf8, v87
	v_cmp_eq_u64_e32 vcc_lo, 0, v[10:11]
	s_delay_alu instid0(VALU_DEP_2)
	v_and_or_b32 v10, v10, 7, v87
	s_and_b32 s11, s11, vcc_lo
	s_delay_alu instid0(VALU_DEP_1) | instid1(SALU_CYCLE_1)
	v_cndmask_b32_e64 v10, v10, 0, s11
	s_delay_alu instid0(VALU_DEP_1)
	v_or_b32_e32 v43, v10, v44
.LBB2_6233:                             ;   in Loop: Header=BB2_5927 Depth=2
	s_or_b32 exec_lo, exec_lo, s40
                                        ; implicit-def: $vgpr44
.LBB2_6234:                             ;   in Loop: Header=BB2_5927 Depth=2
	s_and_not1_saveexec_b32 s11, s29
; %bb.6235:                             ;   in Loop: Header=BB2_5927 Depth=2
	v_or_b32_e32 v43, 0x7e, v44
; %bb.6236:                             ;   in Loop: Header=BB2_5927 Depth=2
	s_or_b32 exec_lo, exec_lo, s11
                                        ; implicit-def: $vgpr11
.LBB2_6237:                             ;   in Loop: Header=BB2_5927 Depth=2
	s_and_not1_saveexec_b32 s11, s28
; %bb.6238:                             ;   in Loop: Header=BB2_5927 Depth=2
	v_or_b32_e32 v43, 0x7f, v11
; %bb.6239:                             ;   in Loop: Header=BB2_5927 Depth=2
	s_or_b32 exec_lo, exec_lo, s11
	v_lshrrev_b16 v11, 8, v34
	v_mov_b32_e32 v10, 0
	s_mov_b32 s11, exec_lo
	s_delay_alu instid0(VALU_DEP_2)
	v_cmpx_ne_u16_e32 0, v11
	s_cbranch_execz .LBB2_6247
; %bb.6240:                             ;   in Loop: Header=BB2_5927 Depth=2
	v_bfrev_b32_e32 v10, 1
	s_mov_b32 s28, exec_lo
	v_cmpx_ne_u16_e32 0x80, v11
	s_cbranch_execz .LBB2_6246
; %bb.6241:                             ;   in Loop: Header=BB2_5927 Depth=2
	v_and_b32_e32 v11, 0xffff, v11
	v_mov_b32_e32 v10, 0x7f800001
	s_mov_b32 s29, exec_lo
	s_delay_alu instid0(VALU_DEP_2) | instskip(NEXT) | instid1(VALU_DEP_1)
	v_and_b32_e32 v87, 0x7f, v11
	v_cmpx_ne_u32_e32 0x7f, v87
	s_cbranch_execz .LBB2_6245
; %bb.6242:                             ;   in Loop: Header=BB2_5927 Depth=2
	v_dual_mov_b32 v11, v35 :: v_dual_bitop2_b32 v10, 7, v11 bitop3:0x40
	v_lshrrev_b32_e32 v86, 3, v87
	s_mov_b32 s40, exec_lo
	v_cmpx_gt_u32_e32 8, v87
; %bb.6243:                             ;   in Loop: Header=BB2_5927 Depth=2
	s_delay_alu instid0(VALU_DEP_3) | instskip(NEXT) | instid1(VALU_DEP_1)
	v_clz_i32_u32_e32 v86, v10
	v_min_u32_e32 v86, 32, v86
	s_delay_alu instid0(VALU_DEP_1) | instskip(SKIP_1) | instid1(VALU_DEP_2)
	v_subrev_nc_u32_e32 v87, 28, v86
	v_sub_nc_u32_e32 v86, 29, v86
	v_lshlrev_b64_e32 v[10:11], v87, v[10:11]
	s_delay_alu instid0(VALU_DEP_1)
	v_and_b32_e32 v10, 7, v10
; %bb.6244:                             ;   in Loop: Header=BB2_5927 Depth=2
	s_or_b32 exec_lo, exec_lo, s40
	v_lshlrev_b32_e32 v11, 16, v34
	s_delay_alu instid0(VALU_DEP_2) | instskip(SKIP_1) | instid1(VALU_DEP_3)
	v_lshlrev_b32_e32 v10, 20, v10
	v_lshl_add_u32 v34, v86, 23, 0x3c000000
	v_and_b32_e32 v11, 0x80000000, v11
	s_delay_alu instid0(VALU_DEP_1)
	v_or3_b32 v10, v10, v11, v34
.LBB2_6245:                             ;   in Loop: Header=BB2_5927 Depth=2
	s_or_b32 exec_lo, exec_lo, s29
.LBB2_6246:                             ;   in Loop: Header=BB2_5927 Depth=2
	s_delay_alu instid0(SALU_CYCLE_1)
	s_or_b32 exec_lo, exec_lo, s28
.LBB2_6247:                             ;   in Loop: Header=BB2_5927 Depth=2
	s_delay_alu instid0(SALU_CYCLE_1) | instskip(NEXT) | instid1(VALU_DEP_1)
	s_or_b32 exec_lo, exec_lo, s11
	v_mul_f32_e32 v10, s27, v10
                                        ; implicit-def: $vgpr44
	s_mov_b32 s11, exec_lo
	s_delay_alu instid0(VALU_DEP_1) | instskip(SKIP_1) | instid1(VALU_DEP_2)
	v_and_b32_e32 v34, 0x7f800000, v10
	v_lshrrev_b32_e32 v11, 24, v10
	v_cmpx_ne_u64_e32 0x7f800000, v[34:35]
	s_xor_b32 s28, exec_lo, s11
	s_cbranch_execz .LBB2_6261
; %bb.6248:                             ;   in Loop: Header=BB2_5927 Depth=2
	v_and_b32_e32 v34, 0x7fffffff, v10
	v_and_b32_e32 v45, 0x80, v11
                                        ; implicit-def: $vgpr44
	s_mov_b32 s11, exec_lo
	s_delay_alu instid0(VALU_DEP_2)
	v_cmpx_gt_u64_e32 0x43e00001, v[34:35]
	s_xor_b32 s29, exec_lo, s11
	s_cbranch_execz .LBB2_6258
; %bb.6249:                             ;   in Loop: Header=BB2_5927 Depth=2
	v_mov_b32_e32 v44, 0
	s_mov_b32 s40, exec_lo
	v_cmpx_ne_u32_e32 0, v10
	s_cbranch_execz .LBB2_6257
; %bb.6250:                             ;   in Loop: Header=BB2_5927 Depth=2
	v_bfe_u32 v44, v10, 23, 8
	v_and_b32_e32 v34, 0x7fffff, v10
	s_delay_alu instid0(VALU_DEP_2) | instskip(NEXT) | instid1(VALU_DEP_2)
	v_cmp_gt_u32_e32 vcc_lo, 0x7a, v44
	v_or_b32_e32 v86, 0x800000, v34
	v_sub_nc_u32_e32 v11, 0x79, v44
	s_delay_alu instid0(VALU_DEP_1) | instskip(SKIP_1) | instid1(VALU_DEP_2)
	v_cndmask_b32_e32 v11, 0, v11, vcc_lo
	v_cmp_eq_u32_e32 vcc_lo, 0, v44
	v_cndmask_b32_e64 v46, v11, 0x78, vcc_lo
	v_cndmask_b32_e32 v34, v86, v34, vcc_lo
	s_delay_alu instid0(VALU_DEP_2) | instskip(NEXT) | instid1(VALU_DEP_1)
	v_dual_add_nc_u32 v10, 20, v46 :: v_dual_add_nc_u32 v87, 19, v46
	v_lshlrev_b64_e64 v[10:11], v10, -1
	s_delay_alu instid0(VALU_DEP_2) | instskip(NEXT) | instid1(VALU_DEP_2)
	v_lshlrev_b64_e64 v[86:87], v87, 1
	v_bfi_b32 v57, v11, 0, 0
	s_delay_alu instid0(VALU_DEP_3) | instskip(SKIP_1) | instid1(VALU_DEP_2)
	v_bfi_b32 v56, v10, 0, v34
	v_lshrrev_b64 v[10:11], v46, v[34:35]
	v_cmp_eq_u64_e64 s11, v[56:57], v[86:87]
	s_delay_alu instid0(VALU_DEP_2)
	v_mov_b64_e32 v[86:87], v[10:11]
	s_and_saveexec_b32 s41, s11
; %bb.6251:                             ;   in Loop: Header=BB2_5927 Depth=2
	v_bfe_u32 v34, v10, 20, 1
	s_delay_alu instid0(VALU_DEP_1) | instskip(NEXT) | instid1(VALU_DEP_1)
	v_add_nc_u64_e32 v[86:87], v[10:11], v[34:35]
	v_add_nc_u64_e32 v[86:87], -1, v[86:87]
; %bb.6252:                             ;   in Loop: Header=BB2_5927 Depth=2
	s_or_b32 exec_lo, exec_lo, s41
	v_add_nc_u32_e32 v11, 0xffffff81, v44
	v_lshrrev_b32_e32 v34, 23, v10
	s_mov_b32 s11, exec_lo
	s_delay_alu instid0(VALU_DEP_2) | instskip(NEXT) | instid1(VALU_DEP_1)
	v_cndmask_b32_e64 v11, v11, 0xffffff82, vcc_lo
	v_add3_u32 v87, v46, v11, v34
	v_and_b32_e32 v11, 0xfffff, v86
                                        ; implicit-def: $vgpr86
	s_delay_alu instid0(VALU_DEP_1) | instskip(NEXT) | instid1(VALU_DEP_1)
	v_dual_add_nc_u32 v44, 6, v87 :: v_dual_add_nc_u32 v34, v11, v10
                                        ; implicit-def: $vgpr10_vgpr11
	v_cmpx_ne_u32_e32 0, v44
	s_xor_b32 s11, exec_lo, s11
; %bb.6253:                             ;   in Loop: Header=BB2_5927 Depth=2
	s_delay_alu instid0(VALU_DEP_2) | instskip(SKIP_1) | instid1(VALU_DEP_1)
	v_cmp_lt_u64_e32 vcc_lo, 0xffffff, v[34:35]
	v_add_nc_u32_e32 v10, 7, v87
	v_cndmask_b32_e32 v86, v44, v10, vcc_lo
	v_cndmask_b32_e64 v10, 0, 1, vcc_lo
	s_delay_alu instid0(VALU_DEP_1)
	v_lshrrev_b64 v[10:11], v10, v[34:35]
; %bb.6254:                             ;   in Loop: Header=BB2_5927 Depth=2
	s_and_not1_saveexec_b32 s11, s11
; %bb.6255:                             ;   in Loop: Header=BB2_5927 Depth=2
	v_mov_b64_e32 v[10:11], v[34:35]
	v_bfe_u32 v86, v34, 23, 1
; %bb.6256:                             ;   in Loop: Header=BB2_5927 Depth=2
	s_or_b32 exec_lo, exec_lo, s11
	s_delay_alu instid0(VALU_DEP_2) | instskip(NEXT) | instid1(VALU_DEP_2)
	v_lshrrev_b64 v[10:11], 20, v[10:11]
	v_cmp_gt_i32_e32 vcc_lo, 16, v86
	v_min_i32_e32 v34, 15, v86
	v_cmp_eq_u32_e64 s11, 0, v86
	s_delay_alu instid0(VALU_DEP_2) | instskip(SKIP_1) | instid1(VALU_DEP_2)
	v_dual_cndmask_b32 v11, 0, v11 :: v_dual_lshlrev_b32 v34, 3, v34
	v_cndmask_b32_e32 v10, 7, v10, vcc_lo
	v_and_b32_e32 v34, 0xf8, v34
	s_delay_alu instid0(VALU_DEP_2) | instskip(NEXT) | instid1(VALU_DEP_2)
	v_cmp_eq_u64_e32 vcc_lo, 0, v[10:11]
	v_and_or_b32 v10, v10, 7, v34
	s_and_b32 s11, s11, vcc_lo
	s_delay_alu instid0(VALU_DEP_1) | instid1(SALU_CYCLE_1)
	v_cndmask_b32_e64 v10, v10, 0, s11
	s_delay_alu instid0(VALU_DEP_1)
	v_or_b32_e32 v44, v10, v45
.LBB2_6257:                             ;   in Loop: Header=BB2_5927 Depth=2
	s_or_b32 exec_lo, exec_lo, s40
                                        ; implicit-def: $vgpr45
.LBB2_6258:                             ;   in Loop: Header=BB2_5927 Depth=2
	s_and_not1_saveexec_b32 s11, s29
; %bb.6259:                             ;   in Loop: Header=BB2_5927 Depth=2
	v_or_b32_e32 v44, 0x7e, v45
; %bb.6260:                             ;   in Loop: Header=BB2_5927 Depth=2
	s_or_b32 exec_lo, exec_lo, s11
                                        ; implicit-def: $vgpr11
.LBB2_6261:                             ;   in Loop: Header=BB2_5927 Depth=2
	s_and_not1_saveexec_b32 s11, s28
; %bb.6262:                             ;   in Loop: Header=BB2_5927 Depth=2
	v_or_b32_e32 v44, 0x7f, v11
; %bb.6263:                             ;   in Loop: Header=BB2_5927 Depth=2
	s_or_b32 exec_lo, exec_lo, s11
	v_dual_mov_b32 v11, 0 :: v_dual_lshrrev_b32 v10, 16, v13
	s_mov_b32 s11, exec_lo
	s_delay_alu instid0(VALU_DEP_1) | instskip(NEXT) | instid1(VALU_DEP_1)
	v_and_b32_e32 v34, 0xff, v10
	v_cmpx_ne_u16_e32 0, v34
	s_cbranch_execz .LBB2_6271
; %bb.6264:                             ;   in Loop: Header=BB2_5927 Depth=2
	v_bfrev_b32_e32 v11, 1
	s_mov_b32 s28, exec_lo
	v_cmpx_ne_u16_e32 0x80, v34
	s_cbranch_execz .LBB2_6270
; %bb.6265:                             ;   in Loop: Header=BB2_5927 Depth=2
	v_bfe_u32 v86, v13, 16, 7
	v_mov_b32_e32 v11, 0x7f800001
	s_mov_b32 s29, exec_lo
	s_delay_alu instid0(VALU_DEP_2)
	v_cmpx_ne_u32_e32 0x7f, v86
	s_cbranch_execz .LBB2_6269
; %bb.6266:                             ;   in Loop: Header=BB2_5927 Depth=2
	v_and_b32_e32 v34, 7, v10
	v_lshrrev_b32_e32 v11, 3, v86
	s_mov_b32 s40, exec_lo
	v_cmpx_gt_u32_e32 8, v86
; %bb.6267:                             ;   in Loop: Header=BB2_5927 Depth=2
	s_delay_alu instid0(VALU_DEP_3) | instskip(NEXT) | instid1(VALU_DEP_1)
	v_clz_i32_u32_e32 v11, v34
	v_min_u32_e32 v11, 32, v11
	s_delay_alu instid0(VALU_DEP_1) | instskip(NEXT) | instid1(VALU_DEP_1)
	v_subrev_nc_u32_e32 v86, 28, v11
	v_lshlrev_b64_e32 v[86:87], v86, v[34:35]
	s_delay_alu instid0(VALU_DEP_1)
	v_dual_sub_nc_u32 v11, 29, v11 :: v_dual_bitop2_b32 v34, 7, v86 bitop3:0x40
; %bb.6268:                             ;   in Loop: Header=BB2_5927 Depth=2
	s_or_b32 exec_lo, exec_lo, s40
	v_lshlrev_b32_e32 v10, 24, v10
	s_delay_alu instid0(VALU_DEP_2) | instskip(NEXT) | instid1(VALU_DEP_3)
	v_lshlrev_b32_e32 v34, 20, v34
	v_lshl_add_u32 v11, v11, 23, 0x3c000000
	s_delay_alu instid0(VALU_DEP_3) | instskip(NEXT) | instid1(VALU_DEP_1)
	v_and_b32_e32 v10, 0x80000000, v10
	v_or3_b32 v11, v34, v10, v11
.LBB2_6269:                             ;   in Loop: Header=BB2_5927 Depth=2
	s_or_b32 exec_lo, exec_lo, s29
.LBB2_6270:                             ;   in Loop: Header=BB2_5927 Depth=2
	s_delay_alu instid0(SALU_CYCLE_1)
	s_or_b32 exec_lo, exec_lo, s28
.LBB2_6271:                             ;   in Loop: Header=BB2_5927 Depth=2
	s_delay_alu instid0(SALU_CYCLE_1) | instskip(NEXT) | instid1(VALU_DEP_1)
	s_or_b32 exec_lo, exec_lo, s11
	v_mul_f32_e32 v10, s27, v11
                                        ; implicit-def: $vgpr86
	s_mov_b32 s11, exec_lo
	s_delay_alu instid0(VALU_DEP_1) | instskip(SKIP_1) | instid1(VALU_DEP_2)
	v_and_b32_e32 v34, 0x7f800000, v10
	v_lshrrev_b32_e32 v11, 24, v10
	v_cmpx_ne_u64_e32 0x7f800000, v[34:35]
	s_xor_b32 s28, exec_lo, s11
	s_cbranch_execz .LBB2_6285
; %bb.6272:                             ;   in Loop: Header=BB2_5927 Depth=2
	v_and_b32_e32 v34, 0x7fffffff, v10
	v_and_b32_e32 v45, 0x80, v11
                                        ; implicit-def: $vgpr86
	s_mov_b32 s11, exec_lo
	s_delay_alu instid0(VALU_DEP_2)
	v_cmpx_gt_u64_e32 0x43e00001, v[34:35]
	s_xor_b32 s29, exec_lo, s11
	s_cbranch_execz .LBB2_6282
; %bb.6273:                             ;   in Loop: Header=BB2_5927 Depth=2
	v_mov_b32_e32 v86, 0
	s_mov_b32 s40, exec_lo
	v_cmpx_ne_u32_e32 0, v10
	s_cbranch_execz .LBB2_6281
; %bb.6274:                             ;   in Loop: Header=BB2_5927 Depth=2
	v_bfe_u32 v46, v10, 23, 8
	v_and_b32_e32 v34, 0x7fffff, v10
	s_delay_alu instid0(VALU_DEP_2) | instskip(SKIP_1) | instid1(VALU_DEP_3)
	v_sub_nc_u32_e32 v11, 0x79, v46
	v_cmp_gt_u32_e32 vcc_lo, 0x7a, v46
	v_or_b32_e32 v86, 0x800000, v34
	s_delay_alu instid0(VALU_DEP_3) | instskip(SKIP_1) | instid1(VALU_DEP_3)
	v_cndmask_b32_e32 v11, 0, v11, vcc_lo
	v_cmp_eq_u32_e32 vcc_lo, 0, v46
	v_cndmask_b32_e32 v34, v86, v34, vcc_lo
	s_delay_alu instid0(VALU_DEP_3) | instskip(NEXT) | instid1(VALU_DEP_1)
	v_cndmask_b32_e64 v47, v11, 0x78, vcc_lo
	v_dual_add_nc_u32 v10, 20, v47 :: v_dual_add_nc_u32 v87, 19, v47
	s_delay_alu instid0(VALU_DEP_1) | instskip(NEXT) | instid1(VALU_DEP_2)
	v_lshlrev_b64_e64 v[10:11], v10, -1
	v_lshlrev_b64_e64 v[86:87], v87, 1
	s_delay_alu instid0(VALU_DEP_2) | instskip(NEXT) | instid1(VALU_DEP_3)
	v_bfi_b32 v57, v11, 0, 0
	v_bfi_b32 v56, v10, 0, v34
	v_lshrrev_b64 v[10:11], v47, v[34:35]
	s_delay_alu instid0(VALU_DEP_2) | instskip(NEXT) | instid1(VALU_DEP_2)
	v_cmp_eq_u64_e64 s11, v[56:57], v[86:87]
	v_mov_b64_e32 v[86:87], v[10:11]
	s_and_saveexec_b32 s41, s11
; %bb.6275:                             ;   in Loop: Header=BB2_5927 Depth=2
	v_bfe_u32 v34, v10, 20, 1
	s_delay_alu instid0(VALU_DEP_1) | instskip(NEXT) | instid1(VALU_DEP_1)
	v_add_nc_u64_e32 v[86:87], v[10:11], v[34:35]
	v_add_nc_u64_e32 v[86:87], -1, v[86:87]
; %bb.6276:                             ;   in Loop: Header=BB2_5927 Depth=2
	s_or_b32 exec_lo, exec_lo, s41
	v_add_nc_u32_e32 v11, 0xffffff81, v46
	v_lshrrev_b32_e32 v34, 23, v10
	s_mov_b32 s11, exec_lo
	s_delay_alu instid0(VALU_DEP_2) | instskip(NEXT) | instid1(VALU_DEP_1)
	v_cndmask_b32_e64 v11, v11, 0xffffff82, vcc_lo
	v_add3_u32 v87, v47, v11, v34
	v_and_b32_e32 v11, 0xfffff, v86
                                        ; implicit-def: $vgpr86
	s_delay_alu instid0(VALU_DEP_1) | instskip(NEXT) | instid1(VALU_DEP_1)
	v_dual_add_nc_u32 v46, 6, v87 :: v_dual_add_nc_u32 v34, v11, v10
                                        ; implicit-def: $vgpr10_vgpr11
	v_cmpx_ne_u32_e32 0, v46
	s_xor_b32 s11, exec_lo, s11
; %bb.6277:                             ;   in Loop: Header=BB2_5927 Depth=2
	s_delay_alu instid0(VALU_DEP_2) | instskip(SKIP_1) | instid1(VALU_DEP_1)
	v_cmp_lt_u64_e32 vcc_lo, 0xffffff, v[34:35]
	v_add_nc_u32_e32 v10, 7, v87
	v_cndmask_b32_e32 v86, v46, v10, vcc_lo
	v_cndmask_b32_e64 v10, 0, 1, vcc_lo
	s_delay_alu instid0(VALU_DEP_1)
	v_lshrrev_b64 v[10:11], v10, v[34:35]
; %bb.6278:                             ;   in Loop: Header=BB2_5927 Depth=2
	s_and_not1_saveexec_b32 s11, s11
; %bb.6279:                             ;   in Loop: Header=BB2_5927 Depth=2
	v_mov_b64_e32 v[10:11], v[34:35]
	v_bfe_u32 v86, v34, 23, 1
; %bb.6280:                             ;   in Loop: Header=BB2_5927 Depth=2
	s_or_b32 exec_lo, exec_lo, s11
	s_delay_alu instid0(VALU_DEP_2) | instskip(NEXT) | instid1(VALU_DEP_2)
	v_lshrrev_b64 v[10:11], 20, v[10:11]
	v_cmp_gt_i32_e32 vcc_lo, 16, v86
	v_min_i32_e32 v34, 15, v86
	v_cmp_eq_u32_e64 s11, 0, v86
	s_delay_alu instid0(VALU_DEP_2) | instskip(SKIP_1) | instid1(VALU_DEP_2)
	v_dual_cndmask_b32 v11, 0, v11 :: v_dual_lshlrev_b32 v34, 3, v34
	v_cndmask_b32_e32 v10, 7, v10, vcc_lo
	v_and_b32_e32 v34, 0xf8, v34
	s_delay_alu instid0(VALU_DEP_2) | instskip(NEXT) | instid1(VALU_DEP_2)
	v_cmp_eq_u64_e32 vcc_lo, 0, v[10:11]
	v_and_or_b32 v10, v10, 7, v34
	s_and_b32 s11, s11, vcc_lo
	s_delay_alu instid0(VALU_DEP_1) | instid1(SALU_CYCLE_1)
	v_cndmask_b32_e64 v10, v10, 0, s11
	s_delay_alu instid0(VALU_DEP_1)
	v_or_b32_e32 v86, v10, v45
.LBB2_6281:                             ;   in Loop: Header=BB2_5927 Depth=2
	s_or_b32 exec_lo, exec_lo, s40
                                        ; implicit-def: $vgpr45
.LBB2_6282:                             ;   in Loop: Header=BB2_5927 Depth=2
	s_and_not1_saveexec_b32 s11, s29
; %bb.6283:                             ;   in Loop: Header=BB2_5927 Depth=2
	v_or_b32_e32 v86, 0x7e, v45
; %bb.6284:                             ;   in Loop: Header=BB2_5927 Depth=2
	s_or_b32 exec_lo, exec_lo, s11
                                        ; implicit-def: $vgpr11
.LBB2_6285:                             ;   in Loop: Header=BB2_5927 Depth=2
	s_and_not1_saveexec_b32 s11, s28
; %bb.6286:                             ;   in Loop: Header=BB2_5927 Depth=2
	v_or_b32_e32 v86, 0x7f, v11
; %bb.6287:                             ;   in Loop: Header=BB2_5927 Depth=2
	s_or_b32 exec_lo, exec_lo, s11
	v_mov_b32_e32 v11, 0
	s_mov_b32 s11, exec_lo
	v_cmpx_lt_u64_e64 s[12:13], v[12:13]
	s_cbranch_execz .LBB2_6295
; %bb.6288:                             ;   in Loop: Header=BB2_5927 Depth=2
	v_lshrrev_b32_e32 v10, 24, v13
	v_bfrev_b32_e32 v11, 1
	s_mov_b32 s28, exec_lo
	s_delay_alu instid0(VALU_DEP_2)
	v_cmpx_ne_u32_e32 0x80, v10
	s_cbranch_execz .LBB2_6294
; %bb.6289:                             ;   in Loop: Header=BB2_5927 Depth=2
	v_bfe_u32 v12, v13, 24, 7
	v_mov_b32_e32 v11, 0x7f800001
	s_mov_b32 s29, exec_lo
	s_delay_alu instid0(VALU_DEP_2)
	v_cmpx_ne_u32_e32 0x7f, v12
	s_cbranch_execz .LBB2_6293
; %bb.6290:                             ;   in Loop: Header=BB2_5927 Depth=2
	v_dual_lshrrev_b32 v11, 3, v12 :: v_dual_bitop2_b32 v34, 7, v10 bitop3:0x40
	s_mov_b32 s40, exec_lo
	v_cmpx_gt_u32_e32 8, v12
; %bb.6291:                             ;   in Loop: Header=BB2_5927 Depth=2
	s_delay_alu instid0(VALU_DEP_2) | instskip(NEXT) | instid1(VALU_DEP_1)
	v_clz_i32_u32_e32 v11, v34
	v_min_u32_e32 v11, 32, v11
	s_delay_alu instid0(VALU_DEP_1) | instskip(NEXT) | instid1(VALU_DEP_1)
	v_subrev_nc_u32_e32 v12, 28, v11
	v_lshlrev_b64_e32 v[12:13], v12, v[34:35]
	s_delay_alu instid0(VALU_DEP_1)
	v_dual_sub_nc_u32 v11, 29, v11 :: v_dual_bitop2_b32 v34, 7, v12 bitop3:0x40
; %bb.6292:                             ;   in Loop: Header=BB2_5927 Depth=2
	s_or_b32 exec_lo, exec_lo, s40
	v_lshlrev_b32_e32 v10, 24, v10
	s_delay_alu instid0(VALU_DEP_2) | instskip(NEXT) | instid1(VALU_DEP_3)
	v_lshlrev_b32_e32 v12, 20, v34
	v_lshl_add_u32 v11, v11, 23, 0x3c000000
	s_delay_alu instid0(VALU_DEP_3) | instskip(NEXT) | instid1(VALU_DEP_1)
	v_and_b32_e32 v10, 0x80000000, v10
	v_or3_b32 v11, v12, v10, v11
.LBB2_6293:                             ;   in Loop: Header=BB2_5927 Depth=2
	s_or_b32 exec_lo, exec_lo, s29
.LBB2_6294:                             ;   in Loop: Header=BB2_5927 Depth=2
	s_delay_alu instid0(SALU_CYCLE_1)
	s_or_b32 exec_lo, exec_lo, s28
.LBB2_6295:                             ;   in Loop: Header=BB2_5927 Depth=2
	s_delay_alu instid0(SALU_CYCLE_1) | instskip(NEXT) | instid1(VALU_DEP_1)
	s_or_b32 exec_lo, exec_lo, s11
	v_mul_f32_e32 v11, s27, v11
                                        ; implicit-def: $vgpr10
	s_mov_b32 s11, exec_lo
	s_delay_alu instid0(VALU_DEP_1) | instskip(SKIP_1) | instid1(VALU_DEP_2)
	v_and_b32_e32 v34, 0x7f800000, v11
	v_lshrrev_b32_e32 v12, 24, v11
	v_cmpx_ne_u64_e32 0x7f800000, v[34:35]
	s_xor_b32 s27, exec_lo, s11
	s_cbranch_execz .LBB2_6309
; %bb.6296:                             ;   in Loop: Header=BB2_5927 Depth=2
	v_and_b32_e32 v34, 0x7fffffff, v11
	v_and_b32_e32 v87, 0x80, v12
                                        ; implicit-def: $vgpr10
	s_mov_b32 s11, exec_lo
	s_delay_alu instid0(VALU_DEP_2)
	v_cmpx_gt_u64_e32 0x43e00001, v[34:35]
	s_xor_b32 s28, exec_lo, s11
	s_cbranch_execz .LBB2_6306
; %bb.6297:                             ;   in Loop: Header=BB2_5927 Depth=2
	v_mov_b32_e32 v10, 0
	s_mov_b32 s29, exec_lo
	v_cmpx_ne_u32_e32 0, v11
	s_cbranch_execz .LBB2_6305
; %bb.6298:                             ;   in Loop: Header=BB2_5927 Depth=2
	v_bfe_u32 v45, v11, 23, 8
	v_and_b32_e32 v12, 0x7fffff, v11
	s_delay_alu instid0(VALU_DEP_2) | instskip(SKIP_1) | instid1(VALU_DEP_3)
	v_sub_nc_u32_e32 v10, 0x79, v45
	v_cmp_gt_u32_e32 vcc_lo, 0x7a, v45
	v_or_b32_e32 v13, 0x800000, v12
	s_delay_alu instid0(VALU_DEP_3) | instskip(SKIP_1) | instid1(VALU_DEP_3)
	v_cndmask_b32_e32 v10, 0, v10, vcc_lo
	v_cmp_eq_u32_e32 vcc_lo, 0, v45
	v_cndmask_b32_e32 v34, v13, v12, vcc_lo
	s_delay_alu instid0(VALU_DEP_3) | instskip(NEXT) | instid1(VALU_DEP_1)
	v_cndmask_b32_e64 v46, v10, 0x78, vcc_lo
	v_dual_add_nc_u32 v10, 20, v46 :: v_dual_add_nc_u32 v47, 19, v46
	s_delay_alu instid0(VALU_DEP_1) | instskip(NEXT) | instid1(VALU_DEP_2)
	v_lshlrev_b64_e64 v[10:11], v10, -1
	v_lshlrev_b64_e64 v[12:13], v47, 1
	s_delay_alu instid0(VALU_DEP_2) | instskip(NEXT) | instid1(VALU_DEP_3)
	v_bfi_b32 v57, v11, 0, 0
	v_bfi_b32 v56, v10, 0, v34
	v_lshrrev_b64 v[10:11], v46, v[34:35]
	s_delay_alu instid0(VALU_DEP_2) | instskip(NEXT) | instid1(VALU_DEP_2)
	v_cmp_eq_u64_e64 s11, v[56:57], v[12:13]
	v_mov_b64_e32 v[12:13], v[10:11]
	s_and_saveexec_b32 s40, s11
; %bb.6299:                             ;   in Loop: Header=BB2_5927 Depth=2
	v_bfe_u32 v34, v10, 20, 1
	s_delay_alu instid0(VALU_DEP_1) | instskip(NEXT) | instid1(VALU_DEP_1)
	v_add_nc_u64_e32 v[12:13], v[10:11], v[34:35]
	v_add_nc_u64_e32 v[12:13], -1, v[12:13]
; %bb.6300:                             ;   in Loop: Header=BB2_5927 Depth=2
	s_or_b32 exec_lo, exec_lo, s40
	v_add_nc_u32_e32 v11, 0xffffff81, v45
	v_lshrrev_b32_e32 v13, 23, v10
	s_mov_b32 s11, exec_lo
	s_delay_alu instid0(VALU_DEP_2) | instskip(NEXT) | instid1(VALU_DEP_1)
	v_cndmask_b32_e64 v11, v11, 0xffffff82, vcc_lo
	v_add3_u32 v13, v46, v11, v13
	v_and_b32_e32 v11, 0xfffff, v12
                                        ; implicit-def: $vgpr12
	s_delay_alu instid0(VALU_DEP_1) | instskip(NEXT) | instid1(VALU_DEP_1)
	v_dual_add_nc_u32 v45, 6, v13 :: v_dual_add_nc_u32 v34, v11, v10
                                        ; implicit-def: $vgpr10_vgpr11
	v_cmpx_ne_u32_e32 0, v45
	s_xor_b32 s11, exec_lo, s11
; %bb.6301:                             ;   in Loop: Header=BB2_5927 Depth=2
	s_delay_alu instid0(VALU_DEP_2) | instskip(SKIP_1) | instid1(VALU_DEP_1)
	v_cmp_lt_u64_e32 vcc_lo, 0xffffff, v[34:35]
	v_add_nc_u32_e32 v10, 7, v13
	v_cndmask_b32_e32 v12, v45, v10, vcc_lo
	v_cndmask_b32_e64 v10, 0, 1, vcc_lo
	s_delay_alu instid0(VALU_DEP_1)
	v_lshrrev_b64 v[10:11], v10, v[34:35]
; %bb.6302:                             ;   in Loop: Header=BB2_5927 Depth=2
	s_and_not1_saveexec_b32 s11, s11
; %bb.6303:                             ;   in Loop: Header=BB2_5927 Depth=2
	v_mov_b64_e32 v[10:11], v[34:35]
	v_bfe_u32 v12, v34, 23, 1
; %bb.6304:                             ;   in Loop: Header=BB2_5927 Depth=2
	s_or_b32 exec_lo, exec_lo, s11
	s_delay_alu instid0(VALU_DEP_2) | instskip(NEXT) | instid1(VALU_DEP_2)
	v_lshrrev_b64 v[10:11], 20, v[10:11]
	v_cmp_gt_i32_e32 vcc_lo, 16, v12
	v_min_i32_e32 v13, 15, v12
	v_cmp_eq_u32_e64 s11, 0, v12
	s_delay_alu instid0(VALU_DEP_2) | instskip(SKIP_1) | instid1(VALU_DEP_2)
	v_dual_cndmask_b32 v11, 0, v11, vcc_lo :: v_dual_lshlrev_b32 v13, 3, v13
	v_cndmask_b32_e32 v10, 7, v10, vcc_lo
	v_and_b32_e32 v13, 0xf8, v13
	s_delay_alu instid0(VALU_DEP_2) | instskip(NEXT) | instid1(VALU_DEP_2)
	v_cmp_eq_u64_e32 vcc_lo, 0, v[10:11]
	v_and_or_b32 v10, v10, 7, v13
	s_and_b32 s11, s11, vcc_lo
	s_delay_alu instid0(VALU_DEP_1) | instid1(SALU_CYCLE_1)
	v_cndmask_b32_e64 v10, v10, 0, s11
	s_delay_alu instid0(VALU_DEP_1)
	v_or_b32_e32 v10, v10, v87
.LBB2_6305:                             ;   in Loop: Header=BB2_5927 Depth=2
	s_or_b32 exec_lo, exec_lo, s29
                                        ; implicit-def: $vgpr87
.LBB2_6306:                             ;   in Loop: Header=BB2_5927 Depth=2
	s_and_not1_saveexec_b32 s11, s28
; %bb.6307:                             ;   in Loop: Header=BB2_5927 Depth=2
	v_or_b32_e32 v10, 0x7e, v87
; %bb.6308:                             ;   in Loop: Header=BB2_5927 Depth=2
	s_or_b32 exec_lo, exec_lo, s11
                                        ; implicit-def: $vgpr12
.LBB2_6309:                             ;   in Loop: Header=BB2_5927 Depth=2
	s_and_not1_saveexec_b32 s11, s27
	s_cbranch_execz .LBB2_5926
; %bb.6310:                             ;   in Loop: Header=BB2_5927 Depth=2
	v_or_b32_e32 v10, 0x7f, v12
	s_branch .LBB2_5926
.LBB2_6311:                             ;   in Loop: Header=BB2_5087 Depth=1
	s_or_b32 exec_lo, exec_lo, s24
.LBB2_6312:                             ;   in Loop: Header=BB2_5087 Depth=1
	s_delay_alu instid0(SALU_CYCLE_1) | instskip(SKIP_3) | instid1(VALU_DEP_2)
	s_or_b32 exec_lo, exec_lo, s23
	v_cmp_lt_i32_e32 vcc_lo, 0, v99
	v_and_b32_e32 v10, 15, v69
	v_and_b32_e32 v11, 0x1f0, v69
	v_dual_cndmask_b32 v12, 0, v36, vcc_lo :: v_dual_cndmask_b32 v97, v98, v10, s10
	s_delay_alu instid0(VALU_DEP_2) | instskip(NEXT) | instid1(VALU_DEP_2)
	v_cndmask_b32_e64 v10, 0, v11, s10
	v_sub_nc_u32_e32 v11, v12, v99
	s_delay_alu instid0(VALU_DEP_3) | instskip(NEXT) | instid1(VALU_DEP_3)
	v_cmp_ne_u32_e32 vcc_lo, 0, v97
	v_and_or_b32 v96, 0x3ffffe00, v69, v10
	s_delay_alu instid0(VALU_DEP_3)
	v_lshl_add_u32 v98, v11, 5, v71
	s_and_b32 s10, vcc_lo, exec_lo
.LBB2_6313:                             ;   in Loop: Header=BB2_5087 Depth=1
	s_or_b32 exec_lo, exec_lo, s22
	s_and_saveexec_b32 s22, s10
	s_cbranch_execz .LBB2_6582
.LBB2_6314:                             ;   in Loop: Header=BB2_5087 Depth=1
	v_dual_ashrrev_i32 v10, 31, v98 :: v_dual_lshrrev_b32 v11, 8, v97
	s_mov_b32 s23, exec_lo
	s_delay_alu instid0(VALU_DEP_1) | instskip(NEXT) | instid1(VALU_DEP_1)
	v_lshrrev_b32_e32 v10, 27, v10
	v_add_nc_u32_e32 v10, v98, v10
	s_delay_alu instid0(VALU_DEP_1) | instskip(NEXT) | instid1(VALU_DEP_1)
	v_ashrrev_i32_e32 v71, 5, v10
	v_sub_nc_u32_e32 v99, v11, v71
	s_delay_alu instid0(VALU_DEP_1)
	v_cmpx_lt_i32_e32 0, v99
	s_cbranch_execz .LBB2_6546
; %bb.6315:                             ;   in Loop: Header=BB2_5087 Depth=1
	v_and_b32_e32 v10, 0xffffffe0, v10
	s_mov_b32 s24, 0
	s_delay_alu instid0(VALU_DEP_1) | instskip(NEXT) | instid1(VALU_DEP_1)
	v_dual_lshlrev_b32 v11, 8, v71 :: v_dual_sub_nc_u32 v10, v98, v10
	v_add3_u32 v10, v96, v10, v11
	s_delay_alu instid0(VALU_DEP_1)
	v_ashrrev_i32_e32 v11, 31, v10
	s_branch .LBB2_6317
.LBB2_6316:                             ;   in Loop: Header=BB2_6317 Depth=2
	s_or_b32 exec_lo, exec_lo, s10
	v_sub_nc_u32_e32 v99, v99, v36
	v_add_nc_u64_e32 v[84:85], v[10:11], v[82:83]
	v_add_nc_u64_e32 v[80:81], v[80:81], v[50:51]
	;; [unrolled: 1-line block ×3, first 2 shown]
	s_clause 0x7
	flat_store_b8 v[84:85], v112 th:TH_STORE_NT
	flat_store_b8 v[84:85], v113 offset:32 th:TH_STORE_NT
	flat_store_b8 v[84:85], v114 offset:64 th:TH_STORE_NT
	;; [unrolled: 1-line block ×7, first 2 shown]
	v_cmp_gt_i32_e32 vcc_lo, 1, v99
	s_or_b32 s24, vcc_lo, s24
	s_wait_xcnt 0x0
	s_and_not1_b32 exec_lo, exec_lo, s24
	s_cbranch_execz .LBB2_6545
.LBB2_6317:                             ;   Parent Loop BB2_5087 Depth=1
                                        ; =>  This Inner Loop Header: Depth=2
	s_trap 2
	ds_load_b64 v[84:85], v0
	s_mov_b32 s25, 0
	s_wait_dscnt 0x0
	v_and_b32_e32 v12, 0xff, v84
	v_readfirstlane_b32 s10, v84
	v_readfirstlane_b32 s11, v85
	s_delay_alu instid0(VALU_DEP_3)
	v_cmp_eq_u32_e32 vcc_lo, 0, v12
	s_cbranch_vccnz .LBB2_6321
; %bb.6318:                             ;   in Loop: Header=BB2_6317 Depth=2
	v_cmp_eq_u32_e32 vcc_lo, 0x80, v12
	s_brev_b32 s25, 1
	s_cbranch_vccnz .LBB2_6321
; %bb.6319:                             ;   in Loop: Header=BB2_6317 Depth=2
	s_and_b32 s26, s10, 0x7f
	s_mov_b32 s25, 0x7f800001
	s_cmp_eq_u32 s26, 0x7f
	s_cbranch_scc1 .LBB2_6321
; %bb.6320:                             ;   in Loop: Header=BB2_6317 Depth=2
	s_and_b32 s25, s10, 7
	s_lshr_b32 s27, s26, 3
	s_clz_i32_u32 s25, s25
	s_delay_alu instid0(SALU_CYCLE_1) | instskip(NEXT) | instid1(SALU_CYCLE_1)
	s_min_u32 s25, s25, 32
	s_sub_co_i32 s28, s25, 28
	s_sub_co_i32 s25, 29, s25
	s_cmp_lt_u32 s26, 8
	s_cselect_b32 s26, s28, 0
	s_cselect_b32 s25, s25, s27
	s_lshl_b64 s[26:27], s[10:11], s26
	s_lshl_b32 s10, s10, 24
	s_lshl_b32 s11, s26, 20
	;; [unrolled: 1-line block ×3, first 2 shown]
	s_and_b32 s11, s11, 0x700000
	s_and_b32 s10, s10, 0x80000000
	s_add_co_i32 s25, s25, 0x3c000000
	s_or_b32 s10, s11, s10
	s_delay_alu instid0(SALU_CYCLE_1)
	s_or_b32 s25, s25, s10
.LBB2_6321:                             ;   in Loop: Header=BB2_6317 Depth=2
	v_add_nc_u64_e32 v[12:13], v[10:11], v[80:81]
	v_mov_b32_e32 v34, 0
	s_mov_b32 s10, exec_lo
	flat_load_u8 v84, v[12:13] th:TH_LOAD_NT
	s_wait_loadcnt_dscnt 0x0
	v_cmpx_ne_u16_e32 0, v84
	s_cbranch_execz .LBB2_6329
; %bb.6322:                             ;   in Loop: Header=BB2_6317 Depth=2
	v_bfrev_b32_e32 v34, 1
	s_mov_b32 s11, exec_lo
	v_cmpx_ne_u16_e32 0x80, v84
	s_cbranch_execz .LBB2_6328
; %bb.6323:                             ;   in Loop: Header=BB2_6317 Depth=2
	v_and_b32_e32 v85, 0xffff, v84
	v_mov_b32_e32 v34, 0x7f800001
	s_mov_b32 s26, exec_lo
	s_delay_alu instid0(VALU_DEP_2) | instskip(NEXT) | instid1(VALU_DEP_1)
	v_and_b32_e32 v86, 0x7f, v85
	v_cmpx_ne_u32_e32 0x7f, v86
	s_cbranch_execz .LBB2_6327
; %bb.6324:                             ;   in Loop: Header=BB2_6317 Depth=2
	v_dual_lshrrev_b32 v85, 3, v86 :: v_dual_bitop2_b32 v34, 7, v85 bitop3:0x40
	s_mov_b32 s27, exec_lo
	v_cmpx_gt_u32_e32 8, v86
; %bb.6325:                             ;   in Loop: Header=BB2_6317 Depth=2
	s_delay_alu instid0(VALU_DEP_2) | instskip(NEXT) | instid1(VALU_DEP_1)
	v_clz_i32_u32_e32 v85, v34
	v_min_u32_e32 v85, 32, v85
	s_delay_alu instid0(VALU_DEP_1) | instskip(NEXT) | instid1(VALU_DEP_1)
	v_subrev_nc_u32_e32 v86, 28, v85
	v_lshlrev_b64_e32 v[86:87], v86, v[34:35]
	s_delay_alu instid0(VALU_DEP_1)
	v_dual_sub_nc_u32 v85, 29, v85 :: v_dual_bitop2_b32 v34, 7, v86 bitop3:0x40
; %bb.6326:                             ;   in Loop: Header=BB2_6317 Depth=2
	s_or_b32 exec_lo, exec_lo, s27
	s_delay_alu instid0(VALU_DEP_1) | instskip(NEXT) | instid1(VALU_DEP_2)
	v_dual_lshlrev_b32 v84, 24, v84 :: v_dual_lshlrev_b32 v34, 20, v34
	v_lshl_add_u32 v85, v85, 23, 0x3c000000
	s_delay_alu instid0(VALU_DEP_2) | instskip(NEXT) | instid1(VALU_DEP_1)
	v_and_b32_e32 v84, 0x80000000, v84
	v_or3_b32 v34, v34, v84, v85
.LBB2_6327:                             ;   in Loop: Header=BB2_6317 Depth=2
	s_or_b32 exec_lo, exec_lo, s26
.LBB2_6328:                             ;   in Loop: Header=BB2_6317 Depth=2
	s_delay_alu instid0(SALU_CYCLE_1)
	s_or_b32 exec_lo, exec_lo, s11
.LBB2_6329:                             ;   in Loop: Header=BB2_6317 Depth=2
	s_delay_alu instid0(SALU_CYCLE_1) | instskip(NEXT) | instid1(VALU_DEP_1)
	s_or_b32 exec_lo, exec_lo, s10
	v_mul_f32_e32 v84, s25, v34
                                        ; implicit-def: $vgpr112
	s_mov_b32 s10, exec_lo
	s_delay_alu instid0(VALU_DEP_1) | instskip(SKIP_1) | instid1(VALU_DEP_2)
	v_and_b32_e32 v34, 0x7f800000, v84
	v_lshrrev_b32_e32 v85, 24, v84
	v_cmpx_ne_u64_e32 0x7f800000, v[34:35]
	s_xor_b32 s11, exec_lo, s10
	s_cbranch_execz .LBB2_6347
; %bb.6330:                             ;   in Loop: Header=BB2_6317 Depth=2
	v_and_b32_e32 v34, 0x7fffffff, v84
	v_and_b32_e32 v113, 0x80, v85
                                        ; implicit-def: $vgpr112
	s_mov_b32 s10, exec_lo
	s_delay_alu instid0(VALU_DEP_2)
	v_cmpx_gt_u64_e32 0x43e00001, v[34:35]
	s_xor_b32 s26, exec_lo, s10
	s_cbranch_execz .LBB2_6344
; %bb.6331:                             ;   in Loop: Header=BB2_6317 Depth=2
	v_mov_b32_e32 v112, 0
	s_mov_b32 s27, exec_lo
	v_cmpx_ne_u32_e32 0, v84
	s_cbranch_execz .LBB2_6343
; %bb.6332:                             ;   in Loop: Header=BB2_6317 Depth=2
	v_bfe_u32 v112, v84, 23, 8
	s_delay_alu instid0(VALU_DEP_1) | instskip(SKIP_1) | instid1(VALU_DEP_2)
	v_sub_nc_u32_e32 v34, 0x79, v112
	v_cmp_gt_u32_e32 vcc_lo, 0x7a, v112
	v_cndmask_b32_e32 v34, 0, v34, vcc_lo
	v_cmp_eq_u32_e32 vcc_lo, 0, v112
	s_delay_alu instid0(VALU_DEP_2) | instskip(SKIP_1) | instid1(VALU_DEP_2)
	v_cndmask_b32_e64 v114, v34, 0x78, vcc_lo
	v_and_b32_e32 v34, 0x7fffff, v84
	v_dual_add_nc_u32 v84, 20, v114 :: v_dual_add_nc_u32 v87, 19, v114
	s_delay_alu instid0(VALU_DEP_2) | instskip(NEXT) | instid1(VALU_DEP_2)
	v_or_b32_e32 v86, 0x800000, v34
	v_lshlrev_b64_e64 v[84:85], v84, -1
	s_delay_alu instid0(VALU_DEP_2) | instskip(NEXT) | instid1(VALU_DEP_4)
	v_cndmask_b32_e32 v34, v86, v34, vcc_lo
	v_lshlrev_b64_e64 v[86:87], v87, 1
	s_delay_alu instid0(VALU_DEP_3) | instskip(NEXT) | instid1(VALU_DEP_3)
	v_bfi_b32 v117, v85, 0, 0
	v_bfi_b32 v116, v84, 0, v34
	v_lshrrev_b64 v[84:85], v114, v[34:35]
	s_delay_alu instid0(VALU_DEP_2) | instskip(NEXT) | instid1(VALU_DEP_2)
	v_cmp_eq_u64_e64 s10, v[116:117], v[86:87]
	v_mov_b64_e32 v[86:87], v[84:85]
	s_and_saveexec_b32 s28, s10
; %bb.6333:                             ;   in Loop: Header=BB2_6317 Depth=2
	v_bfe_u32 v34, v84, 20, 1
	s_delay_alu instid0(VALU_DEP_1) | instskip(NEXT) | instid1(VALU_DEP_1)
	v_add_nc_u64_e32 v[86:87], v[84:85], v[34:35]
	v_add_nc_u64_e32 v[86:87], -1, v[86:87]
; %bb.6334:                             ;   in Loop: Header=BB2_6317 Depth=2
	s_or_b32 exec_lo, exec_lo, s28
	v_add_nc_u32_e32 v34, 0xffffff81, v112
	v_lshrrev_b32_e32 v85, 23, v84
	s_mov_b32 s10, exec_lo
	s_delay_alu instid0(VALU_DEP_2) | instskip(NEXT) | instid1(VALU_DEP_1)
	v_cndmask_b32_e64 v34, v34, 0xffffff82, vcc_lo
	v_add3_u32 v87, v114, v34, v85
	v_and_b32_e32 v34, 0xfffff, v86
                                        ; implicit-def: $vgpr86
	s_delay_alu instid0(VALU_DEP_1) | instskip(NEXT) | instid1(VALU_DEP_1)
	v_dual_add_nc_u32 v112, 6, v87 :: v_dual_add_nc_u32 v34, v34, v84
                                        ; implicit-def: $vgpr84_vgpr85
	v_cmpx_ne_u32_e32 0, v112
	s_xor_b32 s10, exec_lo, s10
; %bb.6335:                             ;   in Loop: Header=BB2_6317 Depth=2
	s_delay_alu instid0(VALU_DEP_2) | instskip(SKIP_1) | instid1(VALU_DEP_1)
	v_cmp_lt_u64_e32 vcc_lo, 0xffffff, v[34:35]
	v_add_nc_u32_e32 v84, 7, v87
	v_cndmask_b32_e32 v86, v112, v84, vcc_lo
	v_cndmask_b32_e64 v84, 0, 1, vcc_lo
	s_delay_alu instid0(VALU_DEP_1)
	v_lshrrev_b64 v[84:85], v84, v[34:35]
; %bb.6336:                             ;   in Loop: Header=BB2_6317 Depth=2
	s_and_not1_saveexec_b32 s10, s10
; %bb.6337:                             ;   in Loop: Header=BB2_6317 Depth=2
	v_mov_b64_e32 v[84:85], v[34:35]
	v_bfe_u32 v86, v34, 23, 1
; %bb.6338:                             ;   in Loop: Header=BB2_6317 Depth=2
	s_or_b32 exec_lo, exec_lo, s10
	s_delay_alu instid0(VALU_DEP_2) | instskip(NEXT) | instid1(VALU_DEP_2)
	v_lshrrev_b64 v[84:85], 20, v[84:85]
	v_cmp_gt_i32_e32 vcc_lo, 16, v86
	v_cmp_ne_u32_e64 s10, 0, v86
                                        ; implicit-def: $vgpr112
	s_delay_alu instid0(VALU_DEP_3) | instskip(NEXT) | instid1(VALU_DEP_1)
	v_dual_cndmask_b32 v85, 0, v85 :: v_dual_cndmask_b32 v84, 7, v84
	v_cmp_ne_u64_e32 vcc_lo, 0, v[84:85]
	s_or_b32 s10, s10, vcc_lo
	s_delay_alu instid0(SALU_CYCLE_1) | instskip(NEXT) | instid1(SALU_CYCLE_1)
	s_and_saveexec_b32 s28, s10
	s_xor_b32 s10, exec_lo, s28
; %bb.6339:                             ;   in Loop: Header=BB2_6317 Depth=2
	v_min_i32_e32 v34, 15, v86
	s_delay_alu instid0(VALU_DEP_1) | instskip(NEXT) | instid1(VALU_DEP_1)
	v_lshl_or_b32 v34, v34, 3, v113
                                        ; implicit-def: $vgpr113
	v_and_or_b32 v112, v84, 7, v34
; %bb.6340:                             ;   in Loop: Header=BB2_6317 Depth=2
	s_and_not1_saveexec_b32 s10, s10
; %bb.6341:                             ;   in Loop: Header=BB2_6317 Depth=2
	v_mov_b32_e32 v112, v113
; %bb.6342:                             ;   in Loop: Header=BB2_6317 Depth=2
	s_or_b32 exec_lo, exec_lo, s10
.LBB2_6343:                             ;   in Loop: Header=BB2_6317 Depth=2
	s_delay_alu instid0(SALU_CYCLE_1)
	s_or_b32 exec_lo, exec_lo, s27
                                        ; implicit-def: $vgpr113
.LBB2_6344:                             ;   in Loop: Header=BB2_6317 Depth=2
	s_and_not1_saveexec_b32 s10, s26
; %bb.6345:                             ;   in Loop: Header=BB2_6317 Depth=2
	v_or_b32_e32 v112, 0x7e, v113
; %bb.6346:                             ;   in Loop: Header=BB2_6317 Depth=2
	s_or_b32 exec_lo, exec_lo, s10
                                        ; implicit-def: $vgpr85
.LBB2_6347:                             ;   in Loop: Header=BB2_6317 Depth=2
	s_and_not1_saveexec_b32 s10, s11
; %bb.6348:                             ;   in Loop: Header=BB2_6317 Depth=2
	v_or_b32_e32 v112, 0x7f, v85
; %bb.6349:                             ;   in Loop: Header=BB2_6317 Depth=2
	s_or_b32 exec_lo, exec_lo, s10
	flat_load_u8 v84, v[12:13] offset:32 th:TH_LOAD_NT
	v_mov_b32_e32 v34, 0
	s_mov_b32 s10, exec_lo
	s_wait_loadcnt_dscnt 0x0
	v_cmpx_ne_u16_e32 0, v84
	s_cbranch_execz .LBB2_6357
; %bb.6350:                             ;   in Loop: Header=BB2_6317 Depth=2
	v_bfrev_b32_e32 v34, 1
	s_mov_b32 s11, exec_lo
	v_cmpx_ne_u16_e32 0x80, v84
	s_cbranch_execz .LBB2_6356
; %bb.6351:                             ;   in Loop: Header=BB2_6317 Depth=2
	v_and_b32_e32 v85, 0xffff, v84
	v_mov_b32_e32 v34, 0x7f800001
	s_mov_b32 s26, exec_lo
	s_delay_alu instid0(VALU_DEP_2) | instskip(NEXT) | instid1(VALU_DEP_1)
	v_and_b32_e32 v86, 0x7f, v85
	v_cmpx_ne_u32_e32 0x7f, v86
	s_cbranch_execz .LBB2_6355
; %bb.6352:                             ;   in Loop: Header=BB2_6317 Depth=2
	v_dual_lshrrev_b32 v85, 3, v86 :: v_dual_bitop2_b32 v34, 7, v85 bitop3:0x40
	s_mov_b32 s27, exec_lo
	v_cmpx_gt_u32_e32 8, v86
; %bb.6353:                             ;   in Loop: Header=BB2_6317 Depth=2
	s_delay_alu instid0(VALU_DEP_2) | instskip(NEXT) | instid1(VALU_DEP_1)
	v_clz_i32_u32_e32 v85, v34
	v_min_u32_e32 v85, 32, v85
	s_delay_alu instid0(VALU_DEP_1) | instskip(NEXT) | instid1(VALU_DEP_1)
	v_subrev_nc_u32_e32 v86, 28, v85
	v_lshlrev_b64_e32 v[86:87], v86, v[34:35]
	s_delay_alu instid0(VALU_DEP_1)
	v_dual_sub_nc_u32 v85, 29, v85 :: v_dual_bitop2_b32 v34, 7, v86 bitop3:0x40
; %bb.6354:                             ;   in Loop: Header=BB2_6317 Depth=2
	s_or_b32 exec_lo, exec_lo, s27
	s_delay_alu instid0(VALU_DEP_1) | instskip(NEXT) | instid1(VALU_DEP_2)
	v_dual_lshlrev_b32 v84, 24, v84 :: v_dual_lshlrev_b32 v34, 20, v34
	v_lshl_add_u32 v85, v85, 23, 0x3c000000
	s_delay_alu instid0(VALU_DEP_2) | instskip(NEXT) | instid1(VALU_DEP_1)
	v_and_b32_e32 v84, 0x80000000, v84
	v_or3_b32 v34, v34, v84, v85
.LBB2_6355:                             ;   in Loop: Header=BB2_6317 Depth=2
	s_or_b32 exec_lo, exec_lo, s26
.LBB2_6356:                             ;   in Loop: Header=BB2_6317 Depth=2
	s_delay_alu instid0(SALU_CYCLE_1)
	s_or_b32 exec_lo, exec_lo, s11
.LBB2_6357:                             ;   in Loop: Header=BB2_6317 Depth=2
	s_delay_alu instid0(SALU_CYCLE_1) | instskip(NEXT) | instid1(VALU_DEP_1)
	s_or_b32 exec_lo, exec_lo, s10
	v_mul_f32_e32 v84, s25, v34
                                        ; implicit-def: $vgpr113
	s_mov_b32 s10, exec_lo
	s_delay_alu instid0(VALU_DEP_1) | instskip(SKIP_1) | instid1(VALU_DEP_2)
	v_and_b32_e32 v34, 0x7f800000, v84
	v_lshrrev_b32_e32 v85, 24, v84
	v_cmpx_ne_u64_e32 0x7f800000, v[34:35]
	s_xor_b32 s11, exec_lo, s10
	s_cbranch_execz .LBB2_6375
; %bb.6358:                             ;   in Loop: Header=BB2_6317 Depth=2
	v_and_b32_e32 v34, 0x7fffffff, v84
	v_and_b32_e32 v114, 0x80, v85
                                        ; implicit-def: $vgpr113
	s_mov_b32 s10, exec_lo
	s_delay_alu instid0(VALU_DEP_2)
	v_cmpx_gt_u64_e32 0x43e00001, v[34:35]
	s_xor_b32 s26, exec_lo, s10
	s_cbranch_execz .LBB2_6372
; %bb.6359:                             ;   in Loop: Header=BB2_6317 Depth=2
	v_mov_b32_e32 v113, 0
	s_mov_b32 s27, exec_lo
	v_cmpx_ne_u32_e32 0, v84
	s_cbranch_execz .LBB2_6371
; %bb.6360:                             ;   in Loop: Header=BB2_6317 Depth=2
	v_bfe_u32 v113, v84, 23, 8
	s_delay_alu instid0(VALU_DEP_1) | instskip(SKIP_1) | instid1(VALU_DEP_2)
	v_sub_nc_u32_e32 v34, 0x79, v113
	v_cmp_gt_u32_e32 vcc_lo, 0x7a, v113
	v_cndmask_b32_e32 v34, 0, v34, vcc_lo
	v_cmp_eq_u32_e32 vcc_lo, 0, v113
	s_delay_alu instid0(VALU_DEP_2) | instskip(SKIP_1) | instid1(VALU_DEP_2)
	v_cndmask_b32_e64 v115, v34, 0x78, vcc_lo
	v_and_b32_e32 v34, 0x7fffff, v84
	v_add_nc_u32_e32 v84, 20, v115
	s_delay_alu instid0(VALU_DEP_2) | instskip(SKIP_1) | instid1(VALU_DEP_3)
	v_or_b32_e32 v86, 0x800000, v34
	v_add_nc_u32_e32 v87, 19, v115
	v_lshlrev_b64_e64 v[84:85], v84, -1
	s_delay_alu instid0(VALU_DEP_3) | instskip(NEXT) | instid1(VALU_DEP_3)
	v_cndmask_b32_e32 v34, v86, v34, vcc_lo
	v_lshlrev_b64_e64 v[86:87], v87, 1
	s_delay_alu instid0(VALU_DEP_3) | instskip(NEXT) | instid1(VALU_DEP_3)
	v_bfi_b32 v117, v85, 0, 0
	v_bfi_b32 v116, v84, 0, v34
	v_lshrrev_b64 v[84:85], v115, v[34:35]
	s_delay_alu instid0(VALU_DEP_2) | instskip(NEXT) | instid1(VALU_DEP_2)
	v_cmp_eq_u64_e64 s10, v[116:117], v[86:87]
	v_mov_b64_e32 v[86:87], v[84:85]
	s_and_saveexec_b32 s28, s10
; %bb.6361:                             ;   in Loop: Header=BB2_6317 Depth=2
	v_bfe_u32 v34, v84, 20, 1
	s_delay_alu instid0(VALU_DEP_1) | instskip(NEXT) | instid1(VALU_DEP_1)
	v_add_nc_u64_e32 v[86:87], v[84:85], v[34:35]
	v_add_nc_u64_e32 v[86:87], -1, v[86:87]
; %bb.6362:                             ;   in Loop: Header=BB2_6317 Depth=2
	s_or_b32 exec_lo, exec_lo, s28
	v_add_nc_u32_e32 v34, 0xffffff81, v113
	v_lshrrev_b32_e32 v85, 23, v84
	s_mov_b32 s10, exec_lo
	s_delay_alu instid0(VALU_DEP_2) | instskip(NEXT) | instid1(VALU_DEP_1)
	v_cndmask_b32_e64 v34, v34, 0xffffff82, vcc_lo
	v_add3_u32 v87, v115, v34, v85
	v_and_b32_e32 v34, 0xfffff, v86
                                        ; implicit-def: $vgpr86
	s_delay_alu instid0(VALU_DEP_1) | instskip(NEXT) | instid1(VALU_DEP_1)
	v_dual_add_nc_u32 v113, 6, v87 :: v_dual_add_nc_u32 v34, v34, v84
                                        ; implicit-def: $vgpr84_vgpr85
	v_cmpx_ne_u32_e32 0, v113
	s_xor_b32 s10, exec_lo, s10
; %bb.6363:                             ;   in Loop: Header=BB2_6317 Depth=2
	s_delay_alu instid0(VALU_DEP_2) | instskip(SKIP_1) | instid1(VALU_DEP_1)
	v_cmp_lt_u64_e32 vcc_lo, 0xffffff, v[34:35]
	v_add_nc_u32_e32 v84, 7, v87
	v_cndmask_b32_e32 v86, v113, v84, vcc_lo
	v_cndmask_b32_e64 v84, 0, 1, vcc_lo
	s_delay_alu instid0(VALU_DEP_1)
	v_lshrrev_b64 v[84:85], v84, v[34:35]
; %bb.6364:                             ;   in Loop: Header=BB2_6317 Depth=2
	s_and_not1_saveexec_b32 s10, s10
; %bb.6365:                             ;   in Loop: Header=BB2_6317 Depth=2
	v_mov_b64_e32 v[84:85], v[34:35]
	v_bfe_u32 v86, v34, 23, 1
; %bb.6366:                             ;   in Loop: Header=BB2_6317 Depth=2
	s_or_b32 exec_lo, exec_lo, s10
	s_delay_alu instid0(VALU_DEP_2) | instskip(NEXT) | instid1(VALU_DEP_2)
	v_lshrrev_b64 v[84:85], 20, v[84:85]
	v_cmp_gt_i32_e32 vcc_lo, 16, v86
	v_cmp_ne_u32_e64 s10, 0, v86
                                        ; implicit-def: $vgpr113
	s_delay_alu instid0(VALU_DEP_3) | instskip(NEXT) | instid1(VALU_DEP_1)
	v_dual_cndmask_b32 v85, 0, v85 :: v_dual_cndmask_b32 v84, 7, v84
	v_cmp_ne_u64_e32 vcc_lo, 0, v[84:85]
	s_or_b32 s10, s10, vcc_lo
	s_delay_alu instid0(SALU_CYCLE_1) | instskip(NEXT) | instid1(SALU_CYCLE_1)
	s_and_saveexec_b32 s28, s10
	s_xor_b32 s10, exec_lo, s28
; %bb.6367:                             ;   in Loop: Header=BB2_6317 Depth=2
	v_min_i32_e32 v34, 15, v86
	s_delay_alu instid0(VALU_DEP_1) | instskip(NEXT) | instid1(VALU_DEP_1)
	v_lshl_or_b32 v34, v34, 3, v114
                                        ; implicit-def: $vgpr114
	v_and_or_b32 v113, v84, 7, v34
; %bb.6368:                             ;   in Loop: Header=BB2_6317 Depth=2
	s_and_not1_saveexec_b32 s10, s10
; %bb.6369:                             ;   in Loop: Header=BB2_6317 Depth=2
	v_mov_b32_e32 v113, v114
; %bb.6370:                             ;   in Loop: Header=BB2_6317 Depth=2
	s_or_b32 exec_lo, exec_lo, s10
.LBB2_6371:                             ;   in Loop: Header=BB2_6317 Depth=2
	s_delay_alu instid0(SALU_CYCLE_1)
	s_or_b32 exec_lo, exec_lo, s27
                                        ; implicit-def: $vgpr114
.LBB2_6372:                             ;   in Loop: Header=BB2_6317 Depth=2
	s_and_not1_saveexec_b32 s10, s26
; %bb.6373:                             ;   in Loop: Header=BB2_6317 Depth=2
	v_or_b32_e32 v113, 0x7e, v114
; %bb.6374:                             ;   in Loop: Header=BB2_6317 Depth=2
	s_or_b32 exec_lo, exec_lo, s10
                                        ; implicit-def: $vgpr85
.LBB2_6375:                             ;   in Loop: Header=BB2_6317 Depth=2
	s_and_not1_saveexec_b32 s10, s11
; %bb.6376:                             ;   in Loop: Header=BB2_6317 Depth=2
	v_or_b32_e32 v113, 0x7f, v85
; %bb.6377:                             ;   in Loop: Header=BB2_6317 Depth=2
	s_or_b32 exec_lo, exec_lo, s10
	flat_load_u8 v84, v[12:13] offset:64 th:TH_LOAD_NT
	v_mov_b32_e32 v34, 0
	s_mov_b32 s10, exec_lo
	s_wait_loadcnt_dscnt 0x0
	v_cmpx_ne_u16_e32 0, v84
	s_cbranch_execz .LBB2_6385
; %bb.6378:                             ;   in Loop: Header=BB2_6317 Depth=2
	v_bfrev_b32_e32 v34, 1
	s_mov_b32 s11, exec_lo
	v_cmpx_ne_u16_e32 0x80, v84
	s_cbranch_execz .LBB2_6384
; %bb.6379:                             ;   in Loop: Header=BB2_6317 Depth=2
	v_and_b32_e32 v85, 0xffff, v84
	v_mov_b32_e32 v34, 0x7f800001
	s_mov_b32 s26, exec_lo
	s_delay_alu instid0(VALU_DEP_2) | instskip(NEXT) | instid1(VALU_DEP_1)
	v_and_b32_e32 v86, 0x7f, v85
	v_cmpx_ne_u32_e32 0x7f, v86
	s_cbranch_execz .LBB2_6383
; %bb.6380:                             ;   in Loop: Header=BB2_6317 Depth=2
	v_dual_lshrrev_b32 v85, 3, v86 :: v_dual_bitop2_b32 v34, 7, v85 bitop3:0x40
	s_mov_b32 s27, exec_lo
	v_cmpx_gt_u32_e32 8, v86
; %bb.6381:                             ;   in Loop: Header=BB2_6317 Depth=2
	s_delay_alu instid0(VALU_DEP_2) | instskip(NEXT) | instid1(VALU_DEP_1)
	v_clz_i32_u32_e32 v85, v34
	v_min_u32_e32 v85, 32, v85
	s_delay_alu instid0(VALU_DEP_1) | instskip(NEXT) | instid1(VALU_DEP_1)
	v_subrev_nc_u32_e32 v86, 28, v85
	v_lshlrev_b64_e32 v[86:87], v86, v[34:35]
	s_delay_alu instid0(VALU_DEP_1)
	v_dual_sub_nc_u32 v85, 29, v85 :: v_dual_bitop2_b32 v34, 7, v86 bitop3:0x40
; %bb.6382:                             ;   in Loop: Header=BB2_6317 Depth=2
	s_or_b32 exec_lo, exec_lo, s27
	s_delay_alu instid0(VALU_DEP_1) | instskip(NEXT) | instid1(VALU_DEP_2)
	v_dual_lshlrev_b32 v84, 24, v84 :: v_dual_lshlrev_b32 v34, 20, v34
	v_lshl_add_u32 v85, v85, 23, 0x3c000000
	s_delay_alu instid0(VALU_DEP_2) | instskip(NEXT) | instid1(VALU_DEP_1)
	v_and_b32_e32 v84, 0x80000000, v84
	v_or3_b32 v34, v34, v84, v85
.LBB2_6383:                             ;   in Loop: Header=BB2_6317 Depth=2
	s_or_b32 exec_lo, exec_lo, s26
.LBB2_6384:                             ;   in Loop: Header=BB2_6317 Depth=2
	s_delay_alu instid0(SALU_CYCLE_1)
	s_or_b32 exec_lo, exec_lo, s11
.LBB2_6385:                             ;   in Loop: Header=BB2_6317 Depth=2
	s_delay_alu instid0(SALU_CYCLE_1) | instskip(NEXT) | instid1(VALU_DEP_1)
	s_or_b32 exec_lo, exec_lo, s10
	v_mul_f32_e32 v84, s25, v34
                                        ; implicit-def: $vgpr114
	s_mov_b32 s10, exec_lo
	s_delay_alu instid0(VALU_DEP_1) | instskip(SKIP_1) | instid1(VALU_DEP_2)
	v_and_b32_e32 v34, 0x7f800000, v84
	v_lshrrev_b32_e32 v85, 24, v84
	v_cmpx_ne_u64_e32 0x7f800000, v[34:35]
	s_xor_b32 s11, exec_lo, s10
	s_cbranch_execz .LBB2_6403
; %bb.6386:                             ;   in Loop: Header=BB2_6317 Depth=2
	v_and_b32_e32 v34, 0x7fffffff, v84
	v_and_b32_e32 v115, 0x80, v85
                                        ; implicit-def: $vgpr114
	s_mov_b32 s10, exec_lo
	s_delay_alu instid0(VALU_DEP_2)
	v_cmpx_gt_u64_e32 0x43e00001, v[34:35]
	s_xor_b32 s26, exec_lo, s10
	s_cbranch_execz .LBB2_6400
; %bb.6387:                             ;   in Loop: Header=BB2_6317 Depth=2
	v_mov_b32_e32 v114, 0
	s_mov_b32 s27, exec_lo
	v_cmpx_ne_u32_e32 0, v84
	s_cbranch_execz .LBB2_6399
; %bb.6388:                             ;   in Loop: Header=BB2_6317 Depth=2
	v_bfe_u32 v114, v84, 23, 8
	s_delay_alu instid0(VALU_DEP_1) | instskip(SKIP_1) | instid1(VALU_DEP_2)
	v_sub_nc_u32_e32 v34, 0x79, v114
	v_cmp_gt_u32_e32 vcc_lo, 0x7a, v114
	v_cndmask_b32_e32 v34, 0, v34, vcc_lo
	v_cmp_eq_u32_e32 vcc_lo, 0, v114
	s_delay_alu instid0(VALU_DEP_2) | instskip(SKIP_1) | instid1(VALU_DEP_2)
	v_cndmask_b32_e64 v116, v34, 0x78, vcc_lo
	v_and_b32_e32 v34, 0x7fffff, v84
	v_add_nc_u32_e32 v84, 20, v116
	s_delay_alu instid0(VALU_DEP_2) | instskip(SKIP_1) | instid1(VALU_DEP_3)
	v_or_b32_e32 v86, 0x800000, v34
	v_add_nc_u32_e32 v87, 19, v116
	v_lshlrev_b64_e64 v[84:85], v84, -1
	s_delay_alu instid0(VALU_DEP_3) | instskip(NEXT) | instid1(VALU_DEP_3)
	v_cndmask_b32_e32 v34, v86, v34, vcc_lo
	v_lshlrev_b64_e64 v[86:87], v87, 1
	s_delay_alu instid0(VALU_DEP_3) | instskip(NEXT) | instid1(VALU_DEP_3)
	v_bfi_b32 v119, v85, 0, 0
	v_bfi_b32 v118, v84, 0, v34
	v_lshrrev_b64 v[84:85], v116, v[34:35]
	s_delay_alu instid0(VALU_DEP_2) | instskip(NEXT) | instid1(VALU_DEP_2)
	v_cmp_eq_u64_e64 s10, v[118:119], v[86:87]
	v_mov_b64_e32 v[86:87], v[84:85]
	s_and_saveexec_b32 s28, s10
; %bb.6389:                             ;   in Loop: Header=BB2_6317 Depth=2
	v_bfe_u32 v34, v84, 20, 1
	s_delay_alu instid0(VALU_DEP_1) | instskip(NEXT) | instid1(VALU_DEP_1)
	v_add_nc_u64_e32 v[86:87], v[84:85], v[34:35]
	v_add_nc_u64_e32 v[86:87], -1, v[86:87]
; %bb.6390:                             ;   in Loop: Header=BB2_6317 Depth=2
	s_or_b32 exec_lo, exec_lo, s28
	v_add_nc_u32_e32 v34, 0xffffff81, v114
	v_lshrrev_b32_e32 v85, 23, v84
	s_mov_b32 s10, exec_lo
	s_delay_alu instid0(VALU_DEP_2) | instskip(NEXT) | instid1(VALU_DEP_1)
	v_cndmask_b32_e64 v34, v34, 0xffffff82, vcc_lo
	v_add3_u32 v87, v116, v34, v85
	v_and_b32_e32 v34, 0xfffff, v86
                                        ; implicit-def: $vgpr86
	s_delay_alu instid0(VALU_DEP_1) | instskip(NEXT) | instid1(VALU_DEP_1)
	v_dual_add_nc_u32 v114, 6, v87 :: v_dual_add_nc_u32 v34, v34, v84
                                        ; implicit-def: $vgpr84_vgpr85
	v_cmpx_ne_u32_e32 0, v114
	s_xor_b32 s10, exec_lo, s10
; %bb.6391:                             ;   in Loop: Header=BB2_6317 Depth=2
	s_delay_alu instid0(VALU_DEP_2) | instskip(SKIP_1) | instid1(VALU_DEP_1)
	v_cmp_lt_u64_e32 vcc_lo, 0xffffff, v[34:35]
	v_add_nc_u32_e32 v84, 7, v87
	v_cndmask_b32_e32 v86, v114, v84, vcc_lo
	v_cndmask_b32_e64 v84, 0, 1, vcc_lo
	s_delay_alu instid0(VALU_DEP_1)
	v_lshrrev_b64 v[84:85], v84, v[34:35]
; %bb.6392:                             ;   in Loop: Header=BB2_6317 Depth=2
	s_and_not1_saveexec_b32 s10, s10
; %bb.6393:                             ;   in Loop: Header=BB2_6317 Depth=2
	v_mov_b64_e32 v[84:85], v[34:35]
	v_bfe_u32 v86, v34, 23, 1
; %bb.6394:                             ;   in Loop: Header=BB2_6317 Depth=2
	s_or_b32 exec_lo, exec_lo, s10
	s_delay_alu instid0(VALU_DEP_2) | instskip(NEXT) | instid1(VALU_DEP_2)
	v_lshrrev_b64 v[84:85], 20, v[84:85]
	v_cmp_gt_i32_e32 vcc_lo, 16, v86
	v_cmp_ne_u32_e64 s10, 0, v86
                                        ; implicit-def: $vgpr114
	s_delay_alu instid0(VALU_DEP_3) | instskip(NEXT) | instid1(VALU_DEP_1)
	v_dual_cndmask_b32 v85, 0, v85 :: v_dual_cndmask_b32 v84, 7, v84
	v_cmp_ne_u64_e32 vcc_lo, 0, v[84:85]
	s_or_b32 s10, s10, vcc_lo
	s_delay_alu instid0(SALU_CYCLE_1) | instskip(NEXT) | instid1(SALU_CYCLE_1)
	s_and_saveexec_b32 s28, s10
	s_xor_b32 s10, exec_lo, s28
; %bb.6395:                             ;   in Loop: Header=BB2_6317 Depth=2
	v_min_i32_e32 v34, 15, v86
	s_delay_alu instid0(VALU_DEP_1) | instskip(NEXT) | instid1(VALU_DEP_1)
	v_lshl_or_b32 v34, v34, 3, v115
                                        ; implicit-def: $vgpr115
	v_and_or_b32 v114, v84, 7, v34
; %bb.6396:                             ;   in Loop: Header=BB2_6317 Depth=2
	s_and_not1_saveexec_b32 s10, s10
; %bb.6397:                             ;   in Loop: Header=BB2_6317 Depth=2
	v_mov_b32_e32 v114, v115
; %bb.6398:                             ;   in Loop: Header=BB2_6317 Depth=2
	s_or_b32 exec_lo, exec_lo, s10
.LBB2_6399:                             ;   in Loop: Header=BB2_6317 Depth=2
	s_delay_alu instid0(SALU_CYCLE_1)
	s_or_b32 exec_lo, exec_lo, s27
                                        ; implicit-def: $vgpr115
.LBB2_6400:                             ;   in Loop: Header=BB2_6317 Depth=2
	s_and_not1_saveexec_b32 s10, s26
; %bb.6401:                             ;   in Loop: Header=BB2_6317 Depth=2
	v_or_b32_e32 v114, 0x7e, v115
; %bb.6402:                             ;   in Loop: Header=BB2_6317 Depth=2
	s_or_b32 exec_lo, exec_lo, s10
                                        ; implicit-def: $vgpr85
.LBB2_6403:                             ;   in Loop: Header=BB2_6317 Depth=2
	s_and_not1_saveexec_b32 s10, s11
; %bb.6404:                             ;   in Loop: Header=BB2_6317 Depth=2
	v_or_b32_e32 v114, 0x7f, v85
; %bb.6405:                             ;   in Loop: Header=BB2_6317 Depth=2
	s_or_b32 exec_lo, exec_lo, s10
	flat_load_u8 v84, v[12:13] offset:96 th:TH_LOAD_NT
	v_mov_b32_e32 v34, 0
	s_mov_b32 s10, exec_lo
	s_wait_loadcnt_dscnt 0x0
	v_cmpx_ne_u16_e32 0, v84
	s_cbranch_execz .LBB2_6413
; %bb.6406:                             ;   in Loop: Header=BB2_6317 Depth=2
	v_bfrev_b32_e32 v34, 1
	s_mov_b32 s11, exec_lo
	v_cmpx_ne_u16_e32 0x80, v84
	s_cbranch_execz .LBB2_6412
; %bb.6407:                             ;   in Loop: Header=BB2_6317 Depth=2
	v_and_b32_e32 v85, 0xffff, v84
	v_mov_b32_e32 v34, 0x7f800001
	s_mov_b32 s26, exec_lo
	s_delay_alu instid0(VALU_DEP_2) | instskip(NEXT) | instid1(VALU_DEP_1)
	v_and_b32_e32 v86, 0x7f, v85
	v_cmpx_ne_u32_e32 0x7f, v86
	s_cbranch_execz .LBB2_6411
; %bb.6408:                             ;   in Loop: Header=BB2_6317 Depth=2
	v_dual_lshrrev_b32 v85, 3, v86 :: v_dual_bitop2_b32 v34, 7, v85 bitop3:0x40
	s_mov_b32 s27, exec_lo
	v_cmpx_gt_u32_e32 8, v86
; %bb.6409:                             ;   in Loop: Header=BB2_6317 Depth=2
	s_delay_alu instid0(VALU_DEP_2) | instskip(NEXT) | instid1(VALU_DEP_1)
	v_clz_i32_u32_e32 v85, v34
	v_min_u32_e32 v85, 32, v85
	s_delay_alu instid0(VALU_DEP_1) | instskip(NEXT) | instid1(VALU_DEP_1)
	v_subrev_nc_u32_e32 v86, 28, v85
	v_lshlrev_b64_e32 v[86:87], v86, v[34:35]
	s_delay_alu instid0(VALU_DEP_1)
	v_dual_sub_nc_u32 v85, 29, v85 :: v_dual_bitop2_b32 v34, 7, v86 bitop3:0x40
; %bb.6410:                             ;   in Loop: Header=BB2_6317 Depth=2
	s_or_b32 exec_lo, exec_lo, s27
	s_delay_alu instid0(VALU_DEP_1) | instskip(NEXT) | instid1(VALU_DEP_2)
	v_dual_lshlrev_b32 v84, 24, v84 :: v_dual_lshlrev_b32 v34, 20, v34
	v_lshl_add_u32 v85, v85, 23, 0x3c000000
	s_delay_alu instid0(VALU_DEP_2) | instskip(NEXT) | instid1(VALU_DEP_1)
	v_and_b32_e32 v84, 0x80000000, v84
	v_or3_b32 v34, v34, v84, v85
.LBB2_6411:                             ;   in Loop: Header=BB2_6317 Depth=2
	s_or_b32 exec_lo, exec_lo, s26
.LBB2_6412:                             ;   in Loop: Header=BB2_6317 Depth=2
	s_delay_alu instid0(SALU_CYCLE_1)
	s_or_b32 exec_lo, exec_lo, s11
.LBB2_6413:                             ;   in Loop: Header=BB2_6317 Depth=2
	s_delay_alu instid0(SALU_CYCLE_1) | instskip(NEXT) | instid1(VALU_DEP_1)
	s_or_b32 exec_lo, exec_lo, s10
	v_mul_f32_e32 v84, s25, v34
                                        ; implicit-def: $vgpr115
	s_mov_b32 s10, exec_lo
	s_delay_alu instid0(VALU_DEP_1) | instskip(SKIP_1) | instid1(VALU_DEP_2)
	v_and_b32_e32 v34, 0x7f800000, v84
	v_lshrrev_b32_e32 v85, 24, v84
	v_cmpx_ne_u64_e32 0x7f800000, v[34:35]
	s_xor_b32 s11, exec_lo, s10
	s_cbranch_execz .LBB2_6431
; %bb.6414:                             ;   in Loop: Header=BB2_6317 Depth=2
	v_and_b32_e32 v34, 0x7fffffff, v84
	v_and_b32_e32 v116, 0x80, v85
                                        ; implicit-def: $vgpr115
	s_mov_b32 s10, exec_lo
	s_delay_alu instid0(VALU_DEP_2)
	v_cmpx_gt_u64_e32 0x43e00001, v[34:35]
	s_xor_b32 s26, exec_lo, s10
	s_cbranch_execz .LBB2_6428
; %bb.6415:                             ;   in Loop: Header=BB2_6317 Depth=2
	v_mov_b32_e32 v115, 0
	s_mov_b32 s27, exec_lo
	v_cmpx_ne_u32_e32 0, v84
	s_cbranch_execz .LBB2_6427
; %bb.6416:                             ;   in Loop: Header=BB2_6317 Depth=2
	v_bfe_u32 v115, v84, 23, 8
	s_delay_alu instid0(VALU_DEP_1) | instskip(SKIP_1) | instid1(VALU_DEP_2)
	v_sub_nc_u32_e32 v34, 0x79, v115
	v_cmp_gt_u32_e32 vcc_lo, 0x7a, v115
	v_cndmask_b32_e32 v34, 0, v34, vcc_lo
	v_cmp_eq_u32_e32 vcc_lo, 0, v115
	s_delay_alu instid0(VALU_DEP_2) | instskip(SKIP_1) | instid1(VALU_DEP_2)
	v_cndmask_b32_e64 v117, v34, 0x78, vcc_lo
	v_and_b32_e32 v34, 0x7fffff, v84
	v_add_nc_u32_e32 v84, 20, v117
	s_delay_alu instid0(VALU_DEP_2) | instskip(SKIP_1) | instid1(VALU_DEP_3)
	v_or_b32_e32 v86, 0x800000, v34
	v_add_nc_u32_e32 v87, 19, v117
	v_lshlrev_b64_e64 v[84:85], v84, -1
	s_delay_alu instid0(VALU_DEP_3) | instskip(NEXT) | instid1(VALU_DEP_3)
	v_cndmask_b32_e32 v34, v86, v34, vcc_lo
	v_lshlrev_b64_e64 v[86:87], v87, 1
	s_delay_alu instid0(VALU_DEP_3) | instskip(NEXT) | instid1(VALU_DEP_3)
	v_bfi_b32 v119, v85, 0, 0
	v_bfi_b32 v118, v84, 0, v34
	v_lshrrev_b64 v[84:85], v117, v[34:35]
	s_delay_alu instid0(VALU_DEP_2) | instskip(NEXT) | instid1(VALU_DEP_2)
	v_cmp_eq_u64_e64 s10, v[118:119], v[86:87]
	v_mov_b64_e32 v[86:87], v[84:85]
	s_and_saveexec_b32 s28, s10
; %bb.6417:                             ;   in Loop: Header=BB2_6317 Depth=2
	v_bfe_u32 v34, v84, 20, 1
	s_delay_alu instid0(VALU_DEP_1) | instskip(NEXT) | instid1(VALU_DEP_1)
	v_add_nc_u64_e32 v[86:87], v[84:85], v[34:35]
	v_add_nc_u64_e32 v[86:87], -1, v[86:87]
; %bb.6418:                             ;   in Loop: Header=BB2_6317 Depth=2
	s_or_b32 exec_lo, exec_lo, s28
	v_add_nc_u32_e32 v34, 0xffffff81, v115
	v_lshrrev_b32_e32 v85, 23, v84
	s_mov_b32 s10, exec_lo
	s_delay_alu instid0(VALU_DEP_2) | instskip(NEXT) | instid1(VALU_DEP_1)
	v_cndmask_b32_e64 v34, v34, 0xffffff82, vcc_lo
	v_add3_u32 v87, v117, v34, v85
	v_and_b32_e32 v34, 0xfffff, v86
                                        ; implicit-def: $vgpr86
	s_delay_alu instid0(VALU_DEP_1) | instskip(NEXT) | instid1(VALU_DEP_1)
	v_dual_add_nc_u32 v115, 6, v87 :: v_dual_add_nc_u32 v34, v34, v84
                                        ; implicit-def: $vgpr84_vgpr85
	v_cmpx_ne_u32_e32 0, v115
	s_xor_b32 s10, exec_lo, s10
; %bb.6419:                             ;   in Loop: Header=BB2_6317 Depth=2
	s_delay_alu instid0(VALU_DEP_2) | instskip(SKIP_1) | instid1(VALU_DEP_1)
	v_cmp_lt_u64_e32 vcc_lo, 0xffffff, v[34:35]
	v_add_nc_u32_e32 v84, 7, v87
	v_cndmask_b32_e32 v86, v115, v84, vcc_lo
	v_cndmask_b32_e64 v84, 0, 1, vcc_lo
	s_delay_alu instid0(VALU_DEP_1)
	v_lshrrev_b64 v[84:85], v84, v[34:35]
; %bb.6420:                             ;   in Loop: Header=BB2_6317 Depth=2
	s_and_not1_saveexec_b32 s10, s10
; %bb.6421:                             ;   in Loop: Header=BB2_6317 Depth=2
	v_mov_b64_e32 v[84:85], v[34:35]
	v_bfe_u32 v86, v34, 23, 1
; %bb.6422:                             ;   in Loop: Header=BB2_6317 Depth=2
	s_or_b32 exec_lo, exec_lo, s10
	s_delay_alu instid0(VALU_DEP_2) | instskip(NEXT) | instid1(VALU_DEP_2)
	v_lshrrev_b64 v[84:85], 20, v[84:85]
	v_cmp_gt_i32_e32 vcc_lo, 16, v86
	v_cmp_ne_u32_e64 s10, 0, v86
                                        ; implicit-def: $vgpr115
	s_delay_alu instid0(VALU_DEP_3) | instskip(NEXT) | instid1(VALU_DEP_1)
	v_dual_cndmask_b32 v85, 0, v85 :: v_dual_cndmask_b32 v84, 7, v84
	v_cmp_ne_u64_e32 vcc_lo, 0, v[84:85]
	s_or_b32 s10, s10, vcc_lo
	s_delay_alu instid0(SALU_CYCLE_1) | instskip(NEXT) | instid1(SALU_CYCLE_1)
	s_and_saveexec_b32 s28, s10
	s_xor_b32 s10, exec_lo, s28
; %bb.6423:                             ;   in Loop: Header=BB2_6317 Depth=2
	v_min_i32_e32 v34, 15, v86
	s_delay_alu instid0(VALU_DEP_1) | instskip(NEXT) | instid1(VALU_DEP_1)
	v_lshl_or_b32 v34, v34, 3, v116
                                        ; implicit-def: $vgpr116
	v_and_or_b32 v115, v84, 7, v34
; %bb.6424:                             ;   in Loop: Header=BB2_6317 Depth=2
	s_and_not1_saveexec_b32 s10, s10
; %bb.6425:                             ;   in Loop: Header=BB2_6317 Depth=2
	v_mov_b32_e32 v115, v116
; %bb.6426:                             ;   in Loop: Header=BB2_6317 Depth=2
	s_or_b32 exec_lo, exec_lo, s10
.LBB2_6427:                             ;   in Loop: Header=BB2_6317 Depth=2
	s_delay_alu instid0(SALU_CYCLE_1)
	s_or_b32 exec_lo, exec_lo, s27
                                        ; implicit-def: $vgpr116
.LBB2_6428:                             ;   in Loop: Header=BB2_6317 Depth=2
	s_and_not1_saveexec_b32 s10, s26
; %bb.6429:                             ;   in Loop: Header=BB2_6317 Depth=2
	v_or_b32_e32 v115, 0x7e, v116
; %bb.6430:                             ;   in Loop: Header=BB2_6317 Depth=2
	s_or_b32 exec_lo, exec_lo, s10
                                        ; implicit-def: $vgpr85
.LBB2_6431:                             ;   in Loop: Header=BB2_6317 Depth=2
	s_and_not1_saveexec_b32 s10, s11
; %bb.6432:                             ;   in Loop: Header=BB2_6317 Depth=2
	v_or_b32_e32 v115, 0x7f, v85
; %bb.6433:                             ;   in Loop: Header=BB2_6317 Depth=2
	s_or_b32 exec_lo, exec_lo, s10
	flat_load_u8 v84, v[12:13] offset:128 th:TH_LOAD_NT
	v_mov_b32_e32 v34, 0
	s_mov_b32 s10, exec_lo
	s_wait_loadcnt_dscnt 0x0
	v_cmpx_ne_u16_e32 0, v84
	s_cbranch_execz .LBB2_6441
; %bb.6434:                             ;   in Loop: Header=BB2_6317 Depth=2
	v_bfrev_b32_e32 v34, 1
	s_mov_b32 s11, exec_lo
	v_cmpx_ne_u16_e32 0x80, v84
	s_cbranch_execz .LBB2_6440
; %bb.6435:                             ;   in Loop: Header=BB2_6317 Depth=2
	v_and_b32_e32 v85, 0xffff, v84
	v_mov_b32_e32 v34, 0x7f800001
	s_mov_b32 s26, exec_lo
	s_delay_alu instid0(VALU_DEP_2) | instskip(NEXT) | instid1(VALU_DEP_1)
	v_and_b32_e32 v86, 0x7f, v85
	v_cmpx_ne_u32_e32 0x7f, v86
	s_cbranch_execz .LBB2_6439
; %bb.6436:                             ;   in Loop: Header=BB2_6317 Depth=2
	v_dual_lshrrev_b32 v85, 3, v86 :: v_dual_bitop2_b32 v34, 7, v85 bitop3:0x40
	s_mov_b32 s27, exec_lo
	v_cmpx_gt_u32_e32 8, v86
; %bb.6437:                             ;   in Loop: Header=BB2_6317 Depth=2
	s_delay_alu instid0(VALU_DEP_2) | instskip(NEXT) | instid1(VALU_DEP_1)
	v_clz_i32_u32_e32 v85, v34
	v_min_u32_e32 v85, 32, v85
	s_delay_alu instid0(VALU_DEP_1) | instskip(NEXT) | instid1(VALU_DEP_1)
	v_subrev_nc_u32_e32 v86, 28, v85
	v_lshlrev_b64_e32 v[86:87], v86, v[34:35]
	s_delay_alu instid0(VALU_DEP_1)
	v_dual_sub_nc_u32 v85, 29, v85 :: v_dual_bitop2_b32 v34, 7, v86 bitop3:0x40
; %bb.6438:                             ;   in Loop: Header=BB2_6317 Depth=2
	s_or_b32 exec_lo, exec_lo, s27
	s_delay_alu instid0(VALU_DEP_1) | instskip(NEXT) | instid1(VALU_DEP_2)
	v_dual_lshlrev_b32 v84, 24, v84 :: v_dual_lshlrev_b32 v34, 20, v34
	v_lshl_add_u32 v85, v85, 23, 0x3c000000
	s_delay_alu instid0(VALU_DEP_2) | instskip(NEXT) | instid1(VALU_DEP_1)
	v_and_b32_e32 v84, 0x80000000, v84
	v_or3_b32 v34, v34, v84, v85
.LBB2_6439:                             ;   in Loop: Header=BB2_6317 Depth=2
	s_or_b32 exec_lo, exec_lo, s26
.LBB2_6440:                             ;   in Loop: Header=BB2_6317 Depth=2
	s_delay_alu instid0(SALU_CYCLE_1)
	s_or_b32 exec_lo, exec_lo, s11
.LBB2_6441:                             ;   in Loop: Header=BB2_6317 Depth=2
	s_delay_alu instid0(SALU_CYCLE_1) | instskip(NEXT) | instid1(VALU_DEP_1)
	s_or_b32 exec_lo, exec_lo, s10
	v_mul_f32_e32 v84, s25, v34
                                        ; implicit-def: $vgpr116
	s_mov_b32 s10, exec_lo
	s_delay_alu instid0(VALU_DEP_1) | instskip(SKIP_1) | instid1(VALU_DEP_2)
	v_and_b32_e32 v34, 0x7f800000, v84
	v_lshrrev_b32_e32 v85, 24, v84
	v_cmpx_ne_u64_e32 0x7f800000, v[34:35]
	s_xor_b32 s11, exec_lo, s10
	s_cbranch_execz .LBB2_6459
; %bb.6442:                             ;   in Loop: Header=BB2_6317 Depth=2
	v_and_b32_e32 v34, 0x7fffffff, v84
	v_and_b32_e32 v117, 0x80, v85
                                        ; implicit-def: $vgpr116
	s_mov_b32 s10, exec_lo
	s_delay_alu instid0(VALU_DEP_2)
	v_cmpx_gt_u64_e32 0x43e00001, v[34:35]
	s_xor_b32 s26, exec_lo, s10
	s_cbranch_execz .LBB2_6456
; %bb.6443:                             ;   in Loop: Header=BB2_6317 Depth=2
	v_mov_b32_e32 v116, 0
	s_mov_b32 s27, exec_lo
	v_cmpx_ne_u32_e32 0, v84
	s_cbranch_execz .LBB2_6455
; %bb.6444:                             ;   in Loop: Header=BB2_6317 Depth=2
	v_bfe_u32 v116, v84, 23, 8
	s_delay_alu instid0(VALU_DEP_1) | instskip(SKIP_1) | instid1(VALU_DEP_2)
	v_sub_nc_u32_e32 v34, 0x79, v116
	v_cmp_gt_u32_e32 vcc_lo, 0x7a, v116
	v_cndmask_b32_e32 v34, 0, v34, vcc_lo
	v_cmp_eq_u32_e32 vcc_lo, 0, v116
	s_delay_alu instid0(VALU_DEP_2) | instskip(SKIP_1) | instid1(VALU_DEP_2)
	v_cndmask_b32_e64 v118, v34, 0x78, vcc_lo
	v_and_b32_e32 v34, 0x7fffff, v84
	v_dual_add_nc_u32 v84, 20, v118 :: v_dual_add_nc_u32 v87, 19, v118
	s_delay_alu instid0(VALU_DEP_2) | instskip(NEXT) | instid1(VALU_DEP_2)
	v_or_b32_e32 v86, 0x800000, v34
	v_lshlrev_b64_e64 v[84:85], v84, -1
	s_delay_alu instid0(VALU_DEP_2) | instskip(NEXT) | instid1(VALU_DEP_4)
	v_cndmask_b32_e32 v34, v86, v34, vcc_lo
	v_lshlrev_b64_e64 v[86:87], v87, 1
	s_delay_alu instid0(VALU_DEP_3) | instskip(NEXT) | instid1(VALU_DEP_3)
	v_bfi_b32 v41, v85, 0, 0
	v_bfi_b32 v40, v84, 0, v34
	v_lshrrev_b64 v[84:85], v118, v[34:35]
	s_delay_alu instid0(VALU_DEP_2) | instskip(NEXT) | instid1(VALU_DEP_2)
	v_cmp_eq_u64_e64 s10, v[40:41], v[86:87]
	v_mov_b64_e32 v[86:87], v[84:85]
	s_and_saveexec_b32 s28, s10
; %bb.6445:                             ;   in Loop: Header=BB2_6317 Depth=2
	v_bfe_u32 v34, v84, 20, 1
	s_delay_alu instid0(VALU_DEP_1) | instskip(NEXT) | instid1(VALU_DEP_1)
	v_add_nc_u64_e32 v[86:87], v[84:85], v[34:35]
	v_add_nc_u64_e32 v[86:87], -1, v[86:87]
; %bb.6446:                             ;   in Loop: Header=BB2_6317 Depth=2
	s_or_b32 exec_lo, exec_lo, s28
	v_add_nc_u32_e32 v34, 0xffffff81, v116
	v_lshrrev_b32_e32 v85, 23, v84
	s_mov_b32 s10, exec_lo
	s_delay_alu instid0(VALU_DEP_2) | instskip(NEXT) | instid1(VALU_DEP_1)
	v_cndmask_b32_e64 v34, v34, 0xffffff82, vcc_lo
	v_add3_u32 v87, v118, v34, v85
	v_and_b32_e32 v34, 0xfffff, v86
                                        ; implicit-def: $vgpr86
	s_delay_alu instid0(VALU_DEP_1) | instskip(NEXT) | instid1(VALU_DEP_1)
	v_dual_add_nc_u32 v116, 6, v87 :: v_dual_add_nc_u32 v34, v34, v84
                                        ; implicit-def: $vgpr84_vgpr85
	v_cmpx_ne_u32_e32 0, v116
	s_xor_b32 s10, exec_lo, s10
; %bb.6447:                             ;   in Loop: Header=BB2_6317 Depth=2
	s_delay_alu instid0(VALU_DEP_2) | instskip(SKIP_1) | instid1(VALU_DEP_1)
	v_cmp_lt_u64_e32 vcc_lo, 0xffffff, v[34:35]
	v_add_nc_u32_e32 v84, 7, v87
	v_cndmask_b32_e32 v86, v116, v84, vcc_lo
	v_cndmask_b32_e64 v84, 0, 1, vcc_lo
	s_delay_alu instid0(VALU_DEP_1)
	v_lshrrev_b64 v[84:85], v84, v[34:35]
; %bb.6448:                             ;   in Loop: Header=BB2_6317 Depth=2
	s_and_not1_saveexec_b32 s10, s10
; %bb.6449:                             ;   in Loop: Header=BB2_6317 Depth=2
	v_mov_b64_e32 v[84:85], v[34:35]
	v_bfe_u32 v86, v34, 23, 1
; %bb.6450:                             ;   in Loop: Header=BB2_6317 Depth=2
	s_or_b32 exec_lo, exec_lo, s10
	s_delay_alu instid0(VALU_DEP_2) | instskip(NEXT) | instid1(VALU_DEP_2)
	v_lshrrev_b64 v[84:85], 20, v[84:85]
	v_cmp_gt_i32_e32 vcc_lo, 16, v86
	v_cmp_ne_u32_e64 s10, 0, v86
                                        ; implicit-def: $vgpr116
	s_delay_alu instid0(VALU_DEP_3) | instskip(NEXT) | instid1(VALU_DEP_1)
	v_dual_cndmask_b32 v85, 0, v85 :: v_dual_cndmask_b32 v84, 7, v84
	v_cmp_ne_u64_e32 vcc_lo, 0, v[84:85]
	s_or_b32 s10, s10, vcc_lo
	s_delay_alu instid0(SALU_CYCLE_1) | instskip(NEXT) | instid1(SALU_CYCLE_1)
	s_and_saveexec_b32 s28, s10
	s_xor_b32 s10, exec_lo, s28
; %bb.6451:                             ;   in Loop: Header=BB2_6317 Depth=2
	v_min_i32_e32 v34, 15, v86
	s_delay_alu instid0(VALU_DEP_1) | instskip(NEXT) | instid1(VALU_DEP_1)
	v_lshl_or_b32 v34, v34, 3, v117
                                        ; implicit-def: $vgpr117
	v_and_or_b32 v116, v84, 7, v34
; %bb.6452:                             ;   in Loop: Header=BB2_6317 Depth=2
	s_and_not1_saveexec_b32 s10, s10
; %bb.6453:                             ;   in Loop: Header=BB2_6317 Depth=2
	v_mov_b32_e32 v116, v117
; %bb.6454:                             ;   in Loop: Header=BB2_6317 Depth=2
	s_or_b32 exec_lo, exec_lo, s10
.LBB2_6455:                             ;   in Loop: Header=BB2_6317 Depth=2
	s_delay_alu instid0(SALU_CYCLE_1)
	s_or_b32 exec_lo, exec_lo, s27
                                        ; implicit-def: $vgpr117
.LBB2_6456:                             ;   in Loop: Header=BB2_6317 Depth=2
	s_and_not1_saveexec_b32 s10, s26
; %bb.6457:                             ;   in Loop: Header=BB2_6317 Depth=2
	v_or_b32_e32 v116, 0x7e, v117
; %bb.6458:                             ;   in Loop: Header=BB2_6317 Depth=2
	s_or_b32 exec_lo, exec_lo, s10
                                        ; implicit-def: $vgpr85
.LBB2_6459:                             ;   in Loop: Header=BB2_6317 Depth=2
	s_and_not1_saveexec_b32 s10, s11
; %bb.6460:                             ;   in Loop: Header=BB2_6317 Depth=2
	v_or_b32_e32 v116, 0x7f, v85
; %bb.6461:                             ;   in Loop: Header=BB2_6317 Depth=2
	s_or_b32 exec_lo, exec_lo, s10
	flat_load_u8 v84, v[12:13] offset:160 th:TH_LOAD_NT
	v_mov_b32_e32 v34, 0
	s_mov_b32 s10, exec_lo
	s_wait_loadcnt_dscnt 0x0
	v_cmpx_ne_u16_e32 0, v84
	s_cbranch_execz .LBB2_6469
; %bb.6462:                             ;   in Loop: Header=BB2_6317 Depth=2
	v_bfrev_b32_e32 v34, 1
	s_mov_b32 s11, exec_lo
	v_cmpx_ne_u16_e32 0x80, v84
	s_cbranch_execz .LBB2_6468
; %bb.6463:                             ;   in Loop: Header=BB2_6317 Depth=2
	v_and_b32_e32 v85, 0xffff, v84
	v_mov_b32_e32 v34, 0x7f800001
	s_mov_b32 s26, exec_lo
	s_delay_alu instid0(VALU_DEP_2) | instskip(NEXT) | instid1(VALU_DEP_1)
	v_and_b32_e32 v86, 0x7f, v85
	v_cmpx_ne_u32_e32 0x7f, v86
	s_cbranch_execz .LBB2_6467
; %bb.6464:                             ;   in Loop: Header=BB2_6317 Depth=2
	v_dual_lshrrev_b32 v85, 3, v86 :: v_dual_bitop2_b32 v34, 7, v85 bitop3:0x40
	s_mov_b32 s27, exec_lo
	v_cmpx_gt_u32_e32 8, v86
; %bb.6465:                             ;   in Loop: Header=BB2_6317 Depth=2
	s_delay_alu instid0(VALU_DEP_2) | instskip(NEXT) | instid1(VALU_DEP_1)
	v_clz_i32_u32_e32 v85, v34
	v_min_u32_e32 v85, 32, v85
	s_delay_alu instid0(VALU_DEP_1) | instskip(NEXT) | instid1(VALU_DEP_1)
	v_subrev_nc_u32_e32 v86, 28, v85
	v_lshlrev_b64_e32 v[86:87], v86, v[34:35]
	s_delay_alu instid0(VALU_DEP_1)
	v_dual_sub_nc_u32 v85, 29, v85 :: v_dual_bitop2_b32 v34, 7, v86 bitop3:0x40
; %bb.6466:                             ;   in Loop: Header=BB2_6317 Depth=2
	s_or_b32 exec_lo, exec_lo, s27
	s_delay_alu instid0(VALU_DEP_1) | instskip(NEXT) | instid1(VALU_DEP_2)
	v_dual_lshlrev_b32 v84, 24, v84 :: v_dual_lshlrev_b32 v34, 20, v34
	v_lshl_add_u32 v85, v85, 23, 0x3c000000
	s_delay_alu instid0(VALU_DEP_2) | instskip(NEXT) | instid1(VALU_DEP_1)
	v_and_b32_e32 v84, 0x80000000, v84
	v_or3_b32 v34, v34, v84, v85
.LBB2_6467:                             ;   in Loop: Header=BB2_6317 Depth=2
	s_or_b32 exec_lo, exec_lo, s26
.LBB2_6468:                             ;   in Loop: Header=BB2_6317 Depth=2
	s_delay_alu instid0(SALU_CYCLE_1)
	s_or_b32 exec_lo, exec_lo, s11
.LBB2_6469:                             ;   in Loop: Header=BB2_6317 Depth=2
	s_delay_alu instid0(SALU_CYCLE_1) | instskip(NEXT) | instid1(VALU_DEP_1)
	s_or_b32 exec_lo, exec_lo, s10
	v_mul_f32_e32 v84, s25, v34
                                        ; implicit-def: $vgpr117
	s_mov_b32 s10, exec_lo
	s_delay_alu instid0(VALU_DEP_1) | instskip(SKIP_1) | instid1(VALU_DEP_2)
	v_and_b32_e32 v34, 0x7f800000, v84
	v_lshrrev_b32_e32 v85, 24, v84
	v_cmpx_ne_u64_e32 0x7f800000, v[34:35]
	s_xor_b32 s11, exec_lo, s10
	s_cbranch_execz .LBB2_6487
; %bb.6470:                             ;   in Loop: Header=BB2_6317 Depth=2
	v_and_b32_e32 v34, 0x7fffffff, v84
	v_and_b32_e32 v118, 0x80, v85
                                        ; implicit-def: $vgpr117
	s_mov_b32 s10, exec_lo
	s_delay_alu instid0(VALU_DEP_2)
	v_cmpx_gt_u64_e32 0x43e00001, v[34:35]
	s_xor_b32 s26, exec_lo, s10
	s_cbranch_execz .LBB2_6484
; %bb.6471:                             ;   in Loop: Header=BB2_6317 Depth=2
	v_mov_b32_e32 v117, 0
	s_mov_b32 s27, exec_lo
	v_cmpx_ne_u32_e32 0, v84
	s_cbranch_execz .LBB2_6483
; %bb.6472:                             ;   in Loop: Header=BB2_6317 Depth=2
	v_bfe_u32 v117, v84, 23, 8
	s_delay_alu instid0(VALU_DEP_1) | instskip(SKIP_1) | instid1(VALU_DEP_2)
	v_sub_nc_u32_e32 v34, 0x79, v117
	v_cmp_gt_u32_e32 vcc_lo, 0x7a, v117
	v_cndmask_b32_e32 v34, 0, v34, vcc_lo
	v_cmp_eq_u32_e32 vcc_lo, 0, v117
	s_delay_alu instid0(VALU_DEP_2) | instskip(SKIP_1) | instid1(VALU_DEP_2)
	v_cndmask_b32_e64 v119, v34, 0x78, vcc_lo
	v_and_b32_e32 v34, 0x7fffff, v84
	v_add_nc_u32_e32 v84, 20, v119
	s_delay_alu instid0(VALU_DEP_2) | instskip(SKIP_1) | instid1(VALU_DEP_3)
	v_or_b32_e32 v86, 0x800000, v34
	v_add_nc_u32_e32 v87, 19, v119
	v_lshlrev_b64_e64 v[84:85], v84, -1
	s_delay_alu instid0(VALU_DEP_3) | instskip(NEXT) | instid1(VALU_DEP_3)
	v_cndmask_b32_e32 v34, v86, v34, vcc_lo
	v_lshlrev_b64_e64 v[86:87], v87, 1
	s_delay_alu instid0(VALU_DEP_3) | instskip(NEXT) | instid1(VALU_DEP_3)
	v_bfi_b32 v41, v85, 0, 0
	v_bfi_b32 v40, v84, 0, v34
	v_lshrrev_b64 v[84:85], v119, v[34:35]
	s_delay_alu instid0(VALU_DEP_2) | instskip(NEXT) | instid1(VALU_DEP_2)
	v_cmp_eq_u64_e64 s10, v[40:41], v[86:87]
	v_mov_b64_e32 v[86:87], v[84:85]
	s_and_saveexec_b32 s28, s10
; %bb.6473:                             ;   in Loop: Header=BB2_6317 Depth=2
	v_bfe_u32 v34, v84, 20, 1
	s_delay_alu instid0(VALU_DEP_1) | instskip(NEXT) | instid1(VALU_DEP_1)
	v_add_nc_u64_e32 v[86:87], v[84:85], v[34:35]
	v_add_nc_u64_e32 v[86:87], -1, v[86:87]
; %bb.6474:                             ;   in Loop: Header=BB2_6317 Depth=2
	s_or_b32 exec_lo, exec_lo, s28
	v_add_nc_u32_e32 v34, 0xffffff81, v117
	v_lshrrev_b32_e32 v85, 23, v84
	s_mov_b32 s10, exec_lo
	s_delay_alu instid0(VALU_DEP_2) | instskip(NEXT) | instid1(VALU_DEP_1)
	v_cndmask_b32_e64 v34, v34, 0xffffff82, vcc_lo
	v_add3_u32 v87, v119, v34, v85
	v_and_b32_e32 v34, 0xfffff, v86
                                        ; implicit-def: $vgpr86
	s_delay_alu instid0(VALU_DEP_1) | instskip(NEXT) | instid1(VALU_DEP_1)
	v_dual_add_nc_u32 v117, 6, v87 :: v_dual_add_nc_u32 v34, v34, v84
                                        ; implicit-def: $vgpr84_vgpr85
	v_cmpx_ne_u32_e32 0, v117
	s_xor_b32 s10, exec_lo, s10
; %bb.6475:                             ;   in Loop: Header=BB2_6317 Depth=2
	s_delay_alu instid0(VALU_DEP_2) | instskip(SKIP_1) | instid1(VALU_DEP_1)
	v_cmp_lt_u64_e32 vcc_lo, 0xffffff, v[34:35]
	v_add_nc_u32_e32 v84, 7, v87
	v_cndmask_b32_e32 v86, v117, v84, vcc_lo
	v_cndmask_b32_e64 v84, 0, 1, vcc_lo
	s_delay_alu instid0(VALU_DEP_1)
	v_lshrrev_b64 v[84:85], v84, v[34:35]
; %bb.6476:                             ;   in Loop: Header=BB2_6317 Depth=2
	s_and_not1_saveexec_b32 s10, s10
; %bb.6477:                             ;   in Loop: Header=BB2_6317 Depth=2
	v_mov_b64_e32 v[84:85], v[34:35]
	v_bfe_u32 v86, v34, 23, 1
; %bb.6478:                             ;   in Loop: Header=BB2_6317 Depth=2
	s_or_b32 exec_lo, exec_lo, s10
	s_delay_alu instid0(VALU_DEP_2) | instskip(NEXT) | instid1(VALU_DEP_2)
	v_lshrrev_b64 v[84:85], 20, v[84:85]
	v_cmp_gt_i32_e32 vcc_lo, 16, v86
	v_cmp_ne_u32_e64 s10, 0, v86
                                        ; implicit-def: $vgpr117
	s_delay_alu instid0(VALU_DEP_3) | instskip(NEXT) | instid1(VALU_DEP_1)
	v_dual_cndmask_b32 v85, 0, v85 :: v_dual_cndmask_b32 v84, 7, v84
	v_cmp_ne_u64_e32 vcc_lo, 0, v[84:85]
	s_or_b32 s10, s10, vcc_lo
	s_delay_alu instid0(SALU_CYCLE_1) | instskip(NEXT) | instid1(SALU_CYCLE_1)
	s_and_saveexec_b32 s28, s10
	s_xor_b32 s10, exec_lo, s28
; %bb.6479:                             ;   in Loop: Header=BB2_6317 Depth=2
	v_min_i32_e32 v34, 15, v86
	s_delay_alu instid0(VALU_DEP_1) | instskip(NEXT) | instid1(VALU_DEP_1)
	v_lshl_or_b32 v34, v34, 3, v118
                                        ; implicit-def: $vgpr118
	v_and_or_b32 v117, v84, 7, v34
; %bb.6480:                             ;   in Loop: Header=BB2_6317 Depth=2
	s_and_not1_saveexec_b32 s10, s10
; %bb.6481:                             ;   in Loop: Header=BB2_6317 Depth=2
	v_mov_b32_e32 v117, v118
; %bb.6482:                             ;   in Loop: Header=BB2_6317 Depth=2
	s_or_b32 exec_lo, exec_lo, s10
.LBB2_6483:                             ;   in Loop: Header=BB2_6317 Depth=2
	s_delay_alu instid0(SALU_CYCLE_1)
	s_or_b32 exec_lo, exec_lo, s27
                                        ; implicit-def: $vgpr118
.LBB2_6484:                             ;   in Loop: Header=BB2_6317 Depth=2
	s_and_not1_saveexec_b32 s10, s26
; %bb.6485:                             ;   in Loop: Header=BB2_6317 Depth=2
	v_or_b32_e32 v117, 0x7e, v118
; %bb.6486:                             ;   in Loop: Header=BB2_6317 Depth=2
	s_or_b32 exec_lo, exec_lo, s10
                                        ; implicit-def: $vgpr85
.LBB2_6487:                             ;   in Loop: Header=BB2_6317 Depth=2
	s_and_not1_saveexec_b32 s10, s11
; %bb.6488:                             ;   in Loop: Header=BB2_6317 Depth=2
	v_or_b32_e32 v117, 0x7f, v85
; %bb.6489:                             ;   in Loop: Header=BB2_6317 Depth=2
	s_or_b32 exec_lo, exec_lo, s10
	flat_load_u8 v84, v[12:13] offset:192 th:TH_LOAD_NT
	v_mov_b32_e32 v34, 0
	s_mov_b32 s10, exec_lo
	s_wait_loadcnt_dscnt 0x0
	v_cmpx_ne_u16_e32 0, v84
	s_cbranch_execz .LBB2_6497
; %bb.6490:                             ;   in Loop: Header=BB2_6317 Depth=2
	v_bfrev_b32_e32 v34, 1
	s_mov_b32 s11, exec_lo
	v_cmpx_ne_u16_e32 0x80, v84
	s_cbranch_execz .LBB2_6496
; %bb.6491:                             ;   in Loop: Header=BB2_6317 Depth=2
	v_and_b32_e32 v85, 0xffff, v84
	v_mov_b32_e32 v34, 0x7f800001
	s_mov_b32 s26, exec_lo
	s_delay_alu instid0(VALU_DEP_2) | instskip(NEXT) | instid1(VALU_DEP_1)
	v_and_b32_e32 v86, 0x7f, v85
	v_cmpx_ne_u32_e32 0x7f, v86
	s_cbranch_execz .LBB2_6495
; %bb.6492:                             ;   in Loop: Header=BB2_6317 Depth=2
	v_dual_lshrrev_b32 v85, 3, v86 :: v_dual_bitop2_b32 v34, 7, v85 bitop3:0x40
	s_mov_b32 s27, exec_lo
	v_cmpx_gt_u32_e32 8, v86
; %bb.6493:                             ;   in Loop: Header=BB2_6317 Depth=2
	s_delay_alu instid0(VALU_DEP_2) | instskip(NEXT) | instid1(VALU_DEP_1)
	v_clz_i32_u32_e32 v85, v34
	v_min_u32_e32 v85, 32, v85
	s_delay_alu instid0(VALU_DEP_1) | instskip(NEXT) | instid1(VALU_DEP_1)
	v_subrev_nc_u32_e32 v86, 28, v85
	v_lshlrev_b64_e32 v[86:87], v86, v[34:35]
	s_delay_alu instid0(VALU_DEP_1)
	v_dual_sub_nc_u32 v85, 29, v85 :: v_dual_bitop2_b32 v34, 7, v86 bitop3:0x40
; %bb.6494:                             ;   in Loop: Header=BB2_6317 Depth=2
	s_or_b32 exec_lo, exec_lo, s27
	s_delay_alu instid0(VALU_DEP_1) | instskip(NEXT) | instid1(VALU_DEP_2)
	v_dual_lshlrev_b32 v84, 24, v84 :: v_dual_lshlrev_b32 v34, 20, v34
	v_lshl_add_u32 v85, v85, 23, 0x3c000000
	s_delay_alu instid0(VALU_DEP_2) | instskip(NEXT) | instid1(VALU_DEP_1)
	v_and_b32_e32 v84, 0x80000000, v84
	v_or3_b32 v34, v34, v84, v85
.LBB2_6495:                             ;   in Loop: Header=BB2_6317 Depth=2
	s_or_b32 exec_lo, exec_lo, s26
.LBB2_6496:                             ;   in Loop: Header=BB2_6317 Depth=2
	s_delay_alu instid0(SALU_CYCLE_1)
	s_or_b32 exec_lo, exec_lo, s11
.LBB2_6497:                             ;   in Loop: Header=BB2_6317 Depth=2
	s_delay_alu instid0(SALU_CYCLE_1) | instskip(NEXT) | instid1(VALU_DEP_1)
	s_or_b32 exec_lo, exec_lo, s10
	v_mul_f32_e32 v84, s25, v34
                                        ; implicit-def: $vgpr86
	s_mov_b32 s10, exec_lo
	s_delay_alu instid0(VALU_DEP_1) | instskip(SKIP_1) | instid1(VALU_DEP_2)
	v_and_b32_e32 v34, 0x7f800000, v84
	v_lshrrev_b32_e32 v85, 24, v84
	v_cmpx_ne_u64_e32 0x7f800000, v[34:35]
	s_xor_b32 s11, exec_lo, s10
	s_cbranch_execz .LBB2_6515
; %bb.6498:                             ;   in Loop: Header=BB2_6317 Depth=2
	v_and_b32_e32 v34, 0x7fffffff, v84
	v_and_b32_e32 v118, 0x80, v85
                                        ; implicit-def: $vgpr86
	s_mov_b32 s10, exec_lo
	s_delay_alu instid0(VALU_DEP_2)
	v_cmpx_gt_u64_e32 0x43e00001, v[34:35]
	s_xor_b32 s26, exec_lo, s10
	s_cbranch_execz .LBB2_6512
; %bb.6499:                             ;   in Loop: Header=BB2_6317 Depth=2
	v_mov_b32_e32 v86, 0
	s_mov_b32 s27, exec_lo
	v_cmpx_ne_u32_e32 0, v84
	s_cbranch_execz .LBB2_6511
; %bb.6500:                             ;   in Loop: Header=BB2_6317 Depth=2
	v_bfe_u32 v119, v84, 23, 8
	s_delay_alu instid0(VALU_DEP_1) | instskip(SKIP_1) | instid1(VALU_DEP_2)
	v_sub_nc_u32_e32 v34, 0x79, v119
	v_cmp_gt_u32_e32 vcc_lo, 0x7a, v119
	v_cndmask_b32_e32 v34, 0, v34, vcc_lo
	v_cmp_eq_u32_e32 vcc_lo, 0, v119
	s_delay_alu instid0(VALU_DEP_2) | instskip(SKIP_1) | instid1(VALU_DEP_2)
	v_cndmask_b32_e64 v40, v34, 0x78, vcc_lo
	v_and_b32_e32 v34, 0x7fffff, v84
	v_add_nc_u32_e32 v84, 20, v40
	s_delay_alu instid0(VALU_DEP_2) | instskip(SKIP_1) | instid1(VALU_DEP_3)
	v_or_b32_e32 v86, 0x800000, v34
	v_add_nc_u32_e32 v87, 19, v40
	v_lshlrev_b64_e64 v[84:85], v84, -1
	s_delay_alu instid0(VALU_DEP_3) | instskip(NEXT) | instid1(VALU_DEP_3)
	v_cndmask_b32_e32 v34, v86, v34, vcc_lo
	v_lshlrev_b64_e64 v[86:87], v87, 1
	s_delay_alu instid0(VALU_DEP_3) | instskip(NEXT) | instid1(VALU_DEP_3)
	v_bfi_b32 v43, v85, 0, 0
	v_bfi_b32 v42, v84, 0, v34
	v_lshrrev_b64 v[84:85], v40, v[34:35]
	s_delay_alu instid0(VALU_DEP_2) | instskip(NEXT) | instid1(VALU_DEP_2)
	v_cmp_eq_u64_e64 s10, v[42:43], v[86:87]
	v_mov_b64_e32 v[86:87], v[84:85]
	s_and_saveexec_b32 s28, s10
; %bb.6501:                             ;   in Loop: Header=BB2_6317 Depth=2
	v_bfe_u32 v34, v84, 20, 1
	s_delay_alu instid0(VALU_DEP_1) | instskip(NEXT) | instid1(VALU_DEP_1)
	v_add_nc_u64_e32 v[86:87], v[84:85], v[34:35]
	v_add_nc_u64_e32 v[86:87], -1, v[86:87]
; %bb.6502:                             ;   in Loop: Header=BB2_6317 Depth=2
	s_or_b32 exec_lo, exec_lo, s28
	v_add_nc_u32_e32 v34, 0xffffff81, v119
	v_lshrrev_b32_e32 v85, 23, v84
	s_mov_b32 s10, exec_lo
                                        ; implicit-def: $vgpr87
	s_delay_alu instid0(VALU_DEP_2) | instskip(NEXT) | instid1(VALU_DEP_1)
	v_cndmask_b32_e64 v34, v34, 0xffffff82, vcc_lo
	v_add3_u32 v119, v40, v34, v85
	v_and_b32_e32 v34, 0xfffff, v86
	s_delay_alu instid0(VALU_DEP_1) | instskip(NEXT) | instid1(VALU_DEP_1)
	v_dual_add_nc_u32 v86, 6, v119 :: v_dual_add_nc_u32 v34, v34, v84
                                        ; implicit-def: $vgpr84_vgpr85
	v_cmpx_ne_u32_e32 0, v86
	s_xor_b32 s10, exec_lo, s10
; %bb.6503:                             ;   in Loop: Header=BB2_6317 Depth=2
	s_delay_alu instid0(VALU_DEP_2) | instskip(SKIP_1) | instid1(VALU_DEP_1)
	v_cmp_lt_u64_e32 vcc_lo, 0xffffff, v[34:35]
	v_add_nc_u32_e32 v84, 7, v119
	v_cndmask_b32_e32 v87, v86, v84, vcc_lo
	v_cndmask_b32_e64 v84, 0, 1, vcc_lo
	s_delay_alu instid0(VALU_DEP_1)
	v_lshrrev_b64 v[84:85], v84, v[34:35]
; %bb.6504:                             ;   in Loop: Header=BB2_6317 Depth=2
	s_and_not1_saveexec_b32 s10, s10
; %bb.6505:                             ;   in Loop: Header=BB2_6317 Depth=2
	v_mov_b64_e32 v[84:85], v[34:35]
	v_bfe_u32 v87, v34, 23, 1
; %bb.6506:                             ;   in Loop: Header=BB2_6317 Depth=2
	s_or_b32 exec_lo, exec_lo, s10
	s_delay_alu instid0(VALU_DEP_2) | instskip(NEXT) | instid1(VALU_DEP_2)
	v_lshrrev_b64 v[84:85], 20, v[84:85]
	v_cmp_gt_i32_e32 vcc_lo, 16, v87
	v_cmp_ne_u32_e64 s10, 0, v87
                                        ; implicit-def: $vgpr86
	s_delay_alu instid0(VALU_DEP_3) | instskip(NEXT) | instid1(VALU_DEP_1)
	v_dual_cndmask_b32 v85, 0, v85 :: v_dual_cndmask_b32 v84, 7, v84
	v_cmp_ne_u64_e32 vcc_lo, 0, v[84:85]
	s_or_b32 s10, s10, vcc_lo
	s_delay_alu instid0(SALU_CYCLE_1) | instskip(NEXT) | instid1(SALU_CYCLE_1)
	s_and_saveexec_b32 s28, s10
	s_xor_b32 s10, exec_lo, s28
; %bb.6507:                             ;   in Loop: Header=BB2_6317 Depth=2
	v_min_i32_e32 v34, 15, v87
	s_delay_alu instid0(VALU_DEP_1) | instskip(NEXT) | instid1(VALU_DEP_1)
	v_lshl_or_b32 v34, v34, 3, v118
                                        ; implicit-def: $vgpr118
	v_and_or_b32 v86, v84, 7, v34
; %bb.6508:                             ;   in Loop: Header=BB2_6317 Depth=2
	s_and_not1_saveexec_b32 s10, s10
; %bb.6509:                             ;   in Loop: Header=BB2_6317 Depth=2
	v_mov_b32_e32 v86, v118
; %bb.6510:                             ;   in Loop: Header=BB2_6317 Depth=2
	s_or_b32 exec_lo, exec_lo, s10
.LBB2_6511:                             ;   in Loop: Header=BB2_6317 Depth=2
	s_delay_alu instid0(SALU_CYCLE_1)
	s_or_b32 exec_lo, exec_lo, s27
                                        ; implicit-def: $vgpr118
.LBB2_6512:                             ;   in Loop: Header=BB2_6317 Depth=2
	s_and_not1_saveexec_b32 s10, s26
; %bb.6513:                             ;   in Loop: Header=BB2_6317 Depth=2
	v_or_b32_e32 v86, 0x7e, v118
; %bb.6514:                             ;   in Loop: Header=BB2_6317 Depth=2
	s_or_b32 exec_lo, exec_lo, s10
                                        ; implicit-def: $vgpr85
.LBB2_6515:                             ;   in Loop: Header=BB2_6317 Depth=2
	s_and_not1_saveexec_b32 s10, s11
; %bb.6516:                             ;   in Loop: Header=BB2_6317 Depth=2
	v_or_b32_e32 v86, 0x7f, v85
; %bb.6517:                             ;   in Loop: Header=BB2_6317 Depth=2
	s_or_b32 exec_lo, exec_lo, s10
	flat_load_u8 v12, v[12:13] offset:224 th:TH_LOAD_NT
	s_wait_xcnt 0x0
	v_mov_b32_e32 v13, 0
	s_mov_b32 s10, exec_lo
	s_wait_loadcnt_dscnt 0x0
	v_cmpx_ne_u16_e32 0, v12
	s_cbranch_execz .LBB2_6525
; %bb.6518:                             ;   in Loop: Header=BB2_6317 Depth=2
	v_bfrev_b32_e32 v13, 1
	s_mov_b32 s11, exec_lo
	v_cmpx_ne_u16_e32 0x80, v12
	s_cbranch_execz .LBB2_6524
; %bb.6519:                             ;   in Loop: Header=BB2_6317 Depth=2
	v_and_b32_e32 v34, 0xffff, v12
	v_mov_b32_e32 v13, 0x7f800001
	s_mov_b32 s26, exec_lo
	s_delay_alu instid0(VALU_DEP_2) | instskip(NEXT) | instid1(VALU_DEP_1)
	v_and_b32_e32 v84, 0x7f, v34
	v_cmpx_ne_u32_e32 0x7f, v84
	s_cbranch_execz .LBB2_6523
; %bb.6520:                             ;   in Loop: Header=BB2_6317 Depth=2
	v_dual_lshrrev_b32 v13, 3, v84 :: v_dual_bitop2_b32 v34, 7, v34 bitop3:0x40
	s_mov_b32 s27, exec_lo
	v_cmpx_gt_u32_e32 8, v84
; %bb.6521:                             ;   in Loop: Header=BB2_6317 Depth=2
	s_delay_alu instid0(VALU_DEP_2) | instskip(NEXT) | instid1(VALU_DEP_1)
	v_clz_i32_u32_e32 v13, v34
	v_min_u32_e32 v13, 32, v13
	s_delay_alu instid0(VALU_DEP_1) | instskip(NEXT) | instid1(VALU_DEP_1)
	v_subrev_nc_u32_e32 v84, 28, v13
	v_lshlrev_b64_e32 v[84:85], v84, v[34:35]
	s_delay_alu instid0(VALU_DEP_1)
	v_dual_sub_nc_u32 v13, 29, v13 :: v_dual_bitop2_b32 v34, 7, v84 bitop3:0x40
; %bb.6522:                             ;   in Loop: Header=BB2_6317 Depth=2
	s_or_b32 exec_lo, exec_lo, s27
	s_delay_alu instid0(VALU_DEP_1) | instskip(NEXT) | instid1(VALU_DEP_2)
	v_dual_lshlrev_b32 v12, 24, v12 :: v_dual_lshlrev_b32 v34, 20, v34
	v_lshl_add_u32 v13, v13, 23, 0x3c000000
	s_delay_alu instid0(VALU_DEP_2) | instskip(NEXT) | instid1(VALU_DEP_1)
	v_and_b32_e32 v12, 0x80000000, v12
	v_or3_b32 v13, v34, v12, v13
.LBB2_6523:                             ;   in Loop: Header=BB2_6317 Depth=2
	s_or_b32 exec_lo, exec_lo, s26
.LBB2_6524:                             ;   in Loop: Header=BB2_6317 Depth=2
	s_delay_alu instid0(SALU_CYCLE_1)
	s_or_b32 exec_lo, exec_lo, s11
.LBB2_6525:                             ;   in Loop: Header=BB2_6317 Depth=2
	s_delay_alu instid0(SALU_CYCLE_1) | instskip(NEXT) | instid1(VALU_DEP_1)
	s_or_b32 exec_lo, exec_lo, s10
	v_mul_f32_e32 v12, s25, v13
                                        ; implicit-def: $vgpr13
	s_mov_b32 s10, exec_lo
	s_delay_alu instid0(VALU_DEP_1) | instskip(SKIP_1) | instid1(VALU_DEP_2)
	v_and_b32_e32 v34, 0x7f800000, v12
	v_lshrrev_b32_e32 v84, 24, v12
	v_cmpx_ne_u64_e32 0x7f800000, v[34:35]
	s_xor_b32 s11, exec_lo, s10
	s_cbranch_execz .LBB2_6543
; %bb.6526:                             ;   in Loop: Header=BB2_6317 Depth=2
	v_and_b32_e32 v34, 0x7fffffff, v12
	v_and_b32_e32 v87, 0x80, v84
                                        ; implicit-def: $vgpr13
	s_mov_b32 s10, exec_lo
	s_delay_alu instid0(VALU_DEP_2)
	v_cmpx_gt_u64_e32 0x43e00001, v[34:35]
	s_xor_b32 s25, exec_lo, s10
	s_cbranch_execz .LBB2_6540
; %bb.6527:                             ;   in Loop: Header=BB2_6317 Depth=2
	v_mov_b32_e32 v13, 0
	s_mov_b32 s26, exec_lo
	v_cmpx_ne_u32_e32 0, v12
	s_cbranch_execz .LBB2_6539
; %bb.6528:                             ;   in Loop: Header=BB2_6317 Depth=2
	v_bfe_u32 v118, v12, 23, 8
	v_and_b32_e32 v34, 0x7fffff, v12
	s_delay_alu instid0(VALU_DEP_2) | instskip(SKIP_1) | instid1(VALU_DEP_3)
	v_sub_nc_u32_e32 v13, 0x79, v118
	v_cmp_gt_u32_e32 vcc_lo, 0x7a, v118
	v_or_b32_e32 v84, 0x800000, v34
	s_delay_alu instid0(VALU_DEP_3) | instskip(SKIP_1) | instid1(VALU_DEP_2)
	v_cndmask_b32_e32 v13, 0, v13, vcc_lo
	v_cmp_eq_u32_e32 vcc_lo, 0, v118
	v_cndmask_b32_e64 v119, v13, 0x78, vcc_lo
	s_delay_alu instid0(VALU_DEP_1) | instskip(SKIP_1) | instid1(VALU_DEP_2)
	v_dual_cndmask_b32 v34, v84, v34 :: v_dual_add_nc_u32 v85, 19, v119
	v_add_nc_u32_e32 v12, 20, v119
	v_lshlrev_b64_e64 v[84:85], v85, 1
	s_delay_alu instid0(VALU_DEP_2) | instskip(NEXT) | instid1(VALU_DEP_1)
	v_lshlrev_b64_e64 v[12:13], v12, -1
	v_bfi_b32 v41, v13, 0, 0
	s_delay_alu instid0(VALU_DEP_2) | instskip(SKIP_1) | instid1(VALU_DEP_2)
	v_bfi_b32 v40, v12, 0, v34
	v_lshrrev_b64 v[12:13], v119, v[34:35]
	v_cmp_eq_u64_e64 s10, v[40:41], v[84:85]
	s_delay_alu instid0(VALU_DEP_2)
	v_mov_b64_e32 v[84:85], v[12:13]
	s_and_saveexec_b32 s27, s10
; %bb.6529:                             ;   in Loop: Header=BB2_6317 Depth=2
	v_bfe_u32 v34, v12, 20, 1
	s_delay_alu instid0(VALU_DEP_1) | instskip(NEXT) | instid1(VALU_DEP_1)
	v_add_nc_u64_e32 v[84:85], v[12:13], v[34:35]
	v_add_nc_u64_e32 v[84:85], -1, v[84:85]
; %bb.6530:                             ;   in Loop: Header=BB2_6317 Depth=2
	s_or_b32 exec_lo, exec_lo, s27
	v_add_nc_u32_e32 v13, 0xffffff81, v118
	v_lshrrev_b32_e32 v34, 23, v12
	s_mov_b32 s10, exec_lo
	s_delay_alu instid0(VALU_DEP_2) | instskip(NEXT) | instid1(VALU_DEP_1)
	v_cndmask_b32_e64 v13, v13, 0xffffff82, vcc_lo
	v_add3_u32 v85, v119, v13, v34
	v_and_b32_e32 v13, 0xfffff, v84
                                        ; implicit-def: $vgpr84
	s_delay_alu instid0(VALU_DEP_1) | instskip(NEXT) | instid1(VALU_DEP_1)
	v_dual_add_nc_u32 v118, 6, v85 :: v_dual_add_nc_u32 v34, v13, v12
                                        ; implicit-def: $vgpr12_vgpr13
	v_cmpx_ne_u32_e32 0, v118
	s_xor_b32 s10, exec_lo, s10
; %bb.6531:                             ;   in Loop: Header=BB2_6317 Depth=2
	s_delay_alu instid0(VALU_DEP_2) | instskip(SKIP_1) | instid1(VALU_DEP_1)
	v_cmp_lt_u64_e32 vcc_lo, 0xffffff, v[34:35]
	v_add_nc_u32_e32 v12, 7, v85
	v_cndmask_b32_e32 v84, v118, v12, vcc_lo
	v_cndmask_b32_e64 v12, 0, 1, vcc_lo
	s_delay_alu instid0(VALU_DEP_1)
	v_lshrrev_b64 v[12:13], v12, v[34:35]
; %bb.6532:                             ;   in Loop: Header=BB2_6317 Depth=2
	s_and_not1_saveexec_b32 s10, s10
; %bb.6533:                             ;   in Loop: Header=BB2_6317 Depth=2
	v_mov_b64_e32 v[12:13], v[34:35]
	v_bfe_u32 v84, v34, 23, 1
; %bb.6534:                             ;   in Loop: Header=BB2_6317 Depth=2
	s_or_b32 exec_lo, exec_lo, s10
	s_delay_alu instid0(VALU_DEP_2) | instskip(NEXT) | instid1(VALU_DEP_2)
	v_lshrrev_b64 v[12:13], 20, v[12:13]
	v_cmp_gt_i32_e32 vcc_lo, 16, v84
	v_cmp_ne_u32_e64 s10, 0, v84
	s_delay_alu instid0(VALU_DEP_3) | instskip(NEXT) | instid1(VALU_DEP_1)
	v_dual_cndmask_b32 v13, 0, v13 :: v_dual_cndmask_b32 v12, 7, v12
	v_cmp_ne_u64_e32 vcc_lo, 0, v[12:13]
                                        ; implicit-def: $vgpr13
	s_or_b32 s10, s10, vcc_lo
	s_delay_alu instid0(SALU_CYCLE_1) | instskip(NEXT) | instid1(SALU_CYCLE_1)
	s_and_saveexec_b32 s27, s10
	s_xor_b32 s10, exec_lo, s27
; %bb.6535:                             ;   in Loop: Header=BB2_6317 Depth=2
	v_min_i32_e32 v13, 15, v84
	s_delay_alu instid0(VALU_DEP_1) | instskip(NEXT) | instid1(VALU_DEP_1)
	v_lshl_or_b32 v13, v13, 3, v87
                                        ; implicit-def: $vgpr87
	v_and_or_b32 v13, v12, 7, v13
; %bb.6536:                             ;   in Loop: Header=BB2_6317 Depth=2
	s_and_not1_saveexec_b32 s10, s10
; %bb.6537:                             ;   in Loop: Header=BB2_6317 Depth=2
	v_mov_b32_e32 v13, v87
; %bb.6538:                             ;   in Loop: Header=BB2_6317 Depth=2
	s_or_b32 exec_lo, exec_lo, s10
.LBB2_6539:                             ;   in Loop: Header=BB2_6317 Depth=2
	s_delay_alu instid0(SALU_CYCLE_1)
	s_or_b32 exec_lo, exec_lo, s26
                                        ; implicit-def: $vgpr87
.LBB2_6540:                             ;   in Loop: Header=BB2_6317 Depth=2
	s_and_not1_saveexec_b32 s10, s25
; %bb.6541:                             ;   in Loop: Header=BB2_6317 Depth=2
	v_or_b32_e32 v13, 0x7e, v87
; %bb.6542:                             ;   in Loop: Header=BB2_6317 Depth=2
	s_or_b32 exec_lo, exec_lo, s10
                                        ; implicit-def: $vgpr84
.LBB2_6543:                             ;   in Loop: Header=BB2_6317 Depth=2
	s_and_not1_saveexec_b32 s10, s11
	s_cbranch_execz .LBB2_6316
; %bb.6544:                             ;   in Loop: Header=BB2_6317 Depth=2
	v_or_b32_e32 v13, 0x7f, v84
	s_branch .LBB2_6316
.LBB2_6545:                             ;   in Loop: Header=BB2_5087 Depth=1
	s_or_b32 exec_lo, exec_lo, s24
.LBB2_6546:                             ;   in Loop: Header=BB2_5087 Depth=1
	s_delay_alu instid0(SALU_CYCLE_1) | instskip(SKIP_1) | instid1(VALU_DEP_1)
	s_or_b32 exec_lo, exec_lo, s23
	v_and_b32_e32 v12, 0xffffff00, v97
	v_cmp_ne_u32_e32 vcc_lo, v97, v12
	s_and_b32 exec_lo, exec_lo, vcc_lo
	s_cbranch_execz .LBB2_6582
; %bb.6547:                             ;   in Loop: Header=BB2_5087 Depth=1
	v_lshlrev_b32_e32 v10, 5, v71
	s_delay_alu instid0(VALU_DEP_1) | instskip(NEXT) | instid1(VALU_DEP_1)
	v_dual_lshlrev_b32 v11, 5, v99 :: v_dual_sub_nc_u32 v10, v98, v10
	v_sub_nc_u32_e32 v13, v10, v11
	v_and_b32_e32 v10, 0xff, v97
	s_delay_alu instid0(VALU_DEP_1) | instskip(NEXT) | instid1(VALU_DEP_1)
	v_sub_nc_u32_e32 v71, v10, v13
	v_cmp_lt_i32_e32 vcc_lo, 0, v71
	s_and_b32 exec_lo, exec_lo, vcc_lo
	s_cbranch_execz .LBB2_6582
; %bb.6548:                             ;   in Loop: Header=BB2_5087 Depth=1
	s_trap 2
	ds_load_b64 v[10:11], v0
	v_add3_u32 v12, v12, v96, v13
	s_mov_b32 s23, 0
	s_delay_alu instid0(VALU_DEP_1)
	v_ashrrev_i32_e32 v13, 31, v12
	s_branch .LBB2_6550
.LBB2_6549:                             ;   in Loop: Header=BB2_6550 Depth=2
	s_or_b32 exec_lo, exec_lo, s10
	v_sub_nc_u32_e32 v71, v71, v52
	v_add_nc_u64_e32 v[12:13], v[12:13], v[52:53]
	flat_store_b8 v[80:81], v34 th:TH_STORE_NT
	v_cmp_gt_i32_e32 vcc_lo, 1, v71
	s_or_b32 s23, vcc_lo, s23
	s_wait_xcnt 0x0
	s_and_not1_b32 exec_lo, exec_lo, s23
	s_cbranch_execz .LBB2_6582
.LBB2_6550:                             ;   Parent Loop BB2_5087 Depth=1
                                        ; =>  This Inner Loop Header: Depth=2
	s_trap 2
	ds_load_b64 v[80:81], v0
	s_mov_b32 s24, 0
	s_wait_dscnt 0x0
	v_and_b32_e32 v34, 0xff, v80
	v_readfirstlane_b32 s10, v80
	v_readfirstlane_b32 s11, v81
	s_delay_alu instid0(VALU_DEP_3)
	v_cmp_eq_u32_e32 vcc_lo, 0, v34
	s_cbranch_vccnz .LBB2_6554
; %bb.6551:                             ;   in Loop: Header=BB2_6550 Depth=2
	v_cmp_eq_u32_e32 vcc_lo, 0x80, v34
	s_brev_b32 s24, 1
	s_cbranch_vccnz .LBB2_6554
; %bb.6552:                             ;   in Loop: Header=BB2_6550 Depth=2
	s_and_b32 s25, s10, 0x7f
	s_mov_b32 s24, 0x7f800001
	s_cmp_eq_u32 s25, 0x7f
	s_cbranch_scc1 .LBB2_6554
; %bb.6553:                             ;   in Loop: Header=BB2_6550 Depth=2
	s_and_b32 s24, s10, 7
	s_lshr_b32 s26, s25, 3
	s_clz_i32_u32 s24, s24
	s_delay_alu instid0(SALU_CYCLE_1) | instskip(NEXT) | instid1(SALU_CYCLE_1)
	s_min_u32 s24, s24, 32
	s_sub_co_i32 s27, s24, 28
	s_sub_co_i32 s24, 29, s24
	s_cmp_lt_u32 s25, 8
	s_cselect_b32 s25, s27, 0
	s_cselect_b32 s26, s24, s26
	s_lshl_b64 s[24:25], s[10:11], s25
	s_lshl_b32 s10, s10, 24
	s_lshl_b32 s11, s24, 20
	;; [unrolled: 1-line block ×3, first 2 shown]
	s_and_b32 s11, s11, 0x700000
	s_and_b32 s10, s10, 0x80000000
	s_add_co_i32 s24, s24, 0x3c000000
	s_or_b32 s10, s11, s10
	s_delay_alu instid0(SALU_CYCLE_1)
	s_or_b32 s24, s24, s10
.LBB2_6554:                             ;   in Loop: Header=BB2_6550 Depth=2
	v_add_nc_u64_e32 v[80:81], v[10:11], v[12:13]
	v_mov_b32_e32 v34, 0
	s_mov_b32 s10, exec_lo
	flat_load_u8 v82, v[80:81] th:TH_LOAD_NT
	s_wait_loadcnt_dscnt 0x0
	v_cmpx_ne_u16_e32 0, v82
	s_cbranch_execz .LBB2_6562
; %bb.6555:                             ;   in Loop: Header=BB2_6550 Depth=2
	v_bfrev_b32_e32 v34, 1
	s_mov_b32 s11, exec_lo
	v_cmpx_ne_u16_e32 0x80, v82
	s_cbranch_execz .LBB2_6561
; %bb.6556:                             ;   in Loop: Header=BB2_6550 Depth=2
	v_and_b32_e32 v83, 0xffff, v82
	v_mov_b32_e32 v34, 0x7f800001
	s_mov_b32 s25, exec_lo
	s_delay_alu instid0(VALU_DEP_2) | instskip(NEXT) | instid1(VALU_DEP_1)
	v_and_b32_e32 v84, 0x7f, v83
	v_cmpx_ne_u32_e32 0x7f, v84
	s_cbranch_execz .LBB2_6560
; %bb.6557:                             ;   in Loop: Header=BB2_6550 Depth=2
	v_dual_lshrrev_b32 v83, 3, v84 :: v_dual_bitop2_b32 v34, 7, v83 bitop3:0x40
	s_mov_b32 s26, exec_lo
	v_cmpx_gt_u32_e32 8, v84
; %bb.6558:                             ;   in Loop: Header=BB2_6550 Depth=2
	s_delay_alu instid0(VALU_DEP_2) | instskip(NEXT) | instid1(VALU_DEP_1)
	v_clz_i32_u32_e32 v83, v34
	v_min_u32_e32 v83, 32, v83
	s_delay_alu instid0(VALU_DEP_1) | instskip(NEXT) | instid1(VALU_DEP_1)
	v_subrev_nc_u32_e32 v84, 28, v83
	v_lshlrev_b64_e32 v[84:85], v84, v[34:35]
	s_delay_alu instid0(VALU_DEP_1)
	v_dual_sub_nc_u32 v83, 29, v83 :: v_dual_bitop2_b32 v34, 7, v84 bitop3:0x40
; %bb.6559:                             ;   in Loop: Header=BB2_6550 Depth=2
	s_or_b32 exec_lo, exec_lo, s26
	v_lshlrev_b32_e32 v82, 24, v82
	s_delay_alu instid0(VALU_DEP_2) | instskip(NEXT) | instid1(VALU_DEP_3)
	v_lshlrev_b32_e32 v34, 20, v34
	v_lshl_add_u32 v83, v83, 23, 0x3c000000
	s_delay_alu instid0(VALU_DEP_3) | instskip(NEXT) | instid1(VALU_DEP_1)
	v_and_b32_e32 v82, 0x80000000, v82
	v_or3_b32 v34, v34, v82, v83
.LBB2_6560:                             ;   in Loop: Header=BB2_6550 Depth=2
	s_or_b32 exec_lo, exec_lo, s25
.LBB2_6561:                             ;   in Loop: Header=BB2_6550 Depth=2
	s_delay_alu instid0(SALU_CYCLE_1)
	s_or_b32 exec_lo, exec_lo, s11
.LBB2_6562:                             ;   in Loop: Header=BB2_6550 Depth=2
	s_delay_alu instid0(SALU_CYCLE_1) | instskip(NEXT) | instid1(VALU_DEP_1)
	s_or_b32 exec_lo, exec_lo, s10
	v_mul_f32_e32 v82, s24, v34
	s_delay_alu instid0(VALU_DEP_1) | instskip(SKIP_1) | instid1(VALU_DEP_2)
	v_and_b32_e32 v34, 0x7f800000, v82
	v_lshrrev_b32_e32 v83, 24, v82
	v_cmp_ne_u64_e32 vcc_lo, 0x7f800000, v[34:35]
                                        ; implicit-def: $vgpr34
	s_and_saveexec_b32 s10, vcc_lo
	s_delay_alu instid0(SALU_CYCLE_1)
	s_xor_b32 s11, exec_lo, s10
	s_cbranch_execz .LBB2_6580
; %bb.6563:                             ;   in Loop: Header=BB2_6550 Depth=2
	v_and_b32_e32 v34, 0x7fffffff, v82
	v_and_b32_e32 v86, 0x80, v83
	s_delay_alu instid0(VALU_DEP_2) | instskip(SKIP_1) | instid1(SALU_CYCLE_1)
	v_cmp_gt_u64_e32 vcc_lo, 0x43e00001, v[34:35]
                                        ; implicit-def: $vgpr34
	s_and_saveexec_b32 s10, vcc_lo
	s_xor_b32 s24, exec_lo, s10
	s_cbranch_execz .LBB2_6577
; %bb.6564:                             ;   in Loop: Header=BB2_6550 Depth=2
	v_mov_b32_e32 v34, 0
	s_mov_b32 s25, exec_lo
	v_cmpx_ne_u32_e32 0, v82
	s_cbranch_execz .LBB2_6576
; %bb.6565:                             ;   in Loop: Header=BB2_6550 Depth=2
	v_bfe_u32 v87, v82, 23, 8
	s_delay_alu instid0(VALU_DEP_1) | instskip(SKIP_1) | instid1(VALU_DEP_2)
	v_sub_nc_u32_e32 v34, 0x79, v87
	v_cmp_gt_u32_e32 vcc_lo, 0x7a, v87
	v_cndmask_b32_e32 v34, 0, v34, vcc_lo
	v_cmp_eq_u32_e32 vcc_lo, 0, v87
	s_delay_alu instid0(VALU_DEP_2) | instskip(SKIP_1) | instid1(VALU_DEP_2)
	v_cndmask_b32_e64 v96, v34, 0x78, vcc_lo
	v_and_b32_e32 v34, 0x7fffff, v82
	v_add_nc_u32_e32 v82, 20, v96
	s_delay_alu instid0(VALU_DEP_2) | instskip(SKIP_1) | instid1(VALU_DEP_3)
	v_or_b32_e32 v84, 0x800000, v34
	v_add_nc_u32_e32 v85, 19, v96
	v_lshlrev_b64_e64 v[82:83], v82, -1
	s_delay_alu instid0(VALU_DEP_3) | instskip(NEXT) | instid1(VALU_DEP_3)
	v_cndmask_b32_e32 v34, v84, v34, vcc_lo
	v_lshlrev_b64_e64 v[84:85], v85, 1
	s_delay_alu instid0(VALU_DEP_3) | instskip(NEXT) | instid1(VALU_DEP_3)
	v_bfi_b32 v99, v83, 0, 0
	v_bfi_b32 v98, v82, 0, v34
	v_lshrrev_b64 v[82:83], v96, v[34:35]
	s_delay_alu instid0(VALU_DEP_2) | instskip(NEXT) | instid1(VALU_DEP_2)
	v_cmp_eq_u64_e64 s10, v[98:99], v[84:85]
	v_mov_b64_e32 v[84:85], v[82:83]
	s_and_saveexec_b32 s26, s10
; %bb.6566:                             ;   in Loop: Header=BB2_6550 Depth=2
	v_bfe_u32 v34, v82, 20, 1
	s_delay_alu instid0(VALU_DEP_1) | instskip(NEXT) | instid1(VALU_DEP_1)
	v_add_nc_u64_e32 v[84:85], v[82:83], v[34:35]
	v_add_nc_u64_e32 v[84:85], -1, v[84:85]
; %bb.6567:                             ;   in Loop: Header=BB2_6550 Depth=2
	s_or_b32 exec_lo, exec_lo, s26
	v_add_nc_u32_e32 v34, 0xffffff81, v87
	v_lshrrev_b32_e32 v83, 23, v82
	s_mov_b32 s10, exec_lo
	s_delay_alu instid0(VALU_DEP_2) | instskip(NEXT) | instid1(VALU_DEP_1)
	v_cndmask_b32_e64 v34, v34, 0xffffff82, vcc_lo
	v_add3_u32 v85, v96, v34, v83
	v_and_b32_e32 v34, 0xfffff, v84
                                        ; implicit-def: $vgpr84
	s_delay_alu instid0(VALU_DEP_1) | instskip(NEXT) | instid1(VALU_DEP_1)
	v_dual_add_nc_u32 v87, 6, v85 :: v_dual_add_nc_u32 v34, v34, v82
                                        ; implicit-def: $vgpr82_vgpr83
	v_cmpx_ne_u32_e32 0, v87
	s_xor_b32 s10, exec_lo, s10
; %bb.6568:                             ;   in Loop: Header=BB2_6550 Depth=2
	s_delay_alu instid0(VALU_DEP_2) | instskip(SKIP_1) | instid1(VALU_DEP_1)
	v_cmp_lt_u64_e32 vcc_lo, 0xffffff, v[34:35]
	v_add_nc_u32_e32 v82, 7, v85
	v_cndmask_b32_e32 v84, v87, v82, vcc_lo
	v_cndmask_b32_e64 v82, 0, 1, vcc_lo
	s_delay_alu instid0(VALU_DEP_1)
	v_lshrrev_b64 v[82:83], v82, v[34:35]
; %bb.6569:                             ;   in Loop: Header=BB2_6550 Depth=2
	s_and_not1_saveexec_b32 s10, s10
; %bb.6570:                             ;   in Loop: Header=BB2_6550 Depth=2
	v_mov_b64_e32 v[82:83], v[34:35]
	v_bfe_u32 v84, v34, 23, 1
; %bb.6571:                             ;   in Loop: Header=BB2_6550 Depth=2
	s_or_b32 exec_lo, exec_lo, s10
	s_delay_alu instid0(VALU_DEP_2) | instskip(NEXT) | instid1(VALU_DEP_2)
	v_lshrrev_b64 v[82:83], 20, v[82:83]
	v_cmp_gt_i32_e32 vcc_lo, 16, v84
	v_cmp_ne_u32_e64 s10, 0, v84
                                        ; implicit-def: $vgpr34
	s_delay_alu instid0(VALU_DEP_3) | instskip(NEXT) | instid1(VALU_DEP_1)
	v_dual_cndmask_b32 v83, 0, v83 :: v_dual_cndmask_b32 v82, 7, v82
	v_cmp_ne_u64_e32 vcc_lo, 0, v[82:83]
	s_or_b32 s10, s10, vcc_lo
	s_delay_alu instid0(SALU_CYCLE_1) | instskip(NEXT) | instid1(SALU_CYCLE_1)
	s_and_saveexec_b32 s26, s10
	s_xor_b32 s10, exec_lo, s26
; %bb.6572:                             ;   in Loop: Header=BB2_6550 Depth=2
	v_min_i32_e32 v34, 15, v84
	s_delay_alu instid0(VALU_DEP_1) | instskip(NEXT) | instid1(VALU_DEP_1)
	v_lshl_or_b32 v34, v34, 3, v86
                                        ; implicit-def: $vgpr86
	v_and_or_b32 v34, v82, 7, v34
; %bb.6573:                             ;   in Loop: Header=BB2_6550 Depth=2
	s_and_not1_saveexec_b32 s10, s10
; %bb.6574:                             ;   in Loop: Header=BB2_6550 Depth=2
	v_mov_b32_e32 v34, v86
; %bb.6575:                             ;   in Loop: Header=BB2_6550 Depth=2
	s_or_b32 exec_lo, exec_lo, s10
.LBB2_6576:                             ;   in Loop: Header=BB2_6550 Depth=2
	s_delay_alu instid0(SALU_CYCLE_1)
	s_or_b32 exec_lo, exec_lo, s25
                                        ; implicit-def: $vgpr86
.LBB2_6577:                             ;   in Loop: Header=BB2_6550 Depth=2
	s_and_not1_saveexec_b32 s10, s24
; %bb.6578:                             ;   in Loop: Header=BB2_6550 Depth=2
	v_or_b32_e32 v34, 0x7e, v86
; %bb.6579:                             ;   in Loop: Header=BB2_6550 Depth=2
	s_or_b32 exec_lo, exec_lo, s10
                                        ; implicit-def: $vgpr83
.LBB2_6580:                             ;   in Loop: Header=BB2_6550 Depth=2
	s_and_not1_saveexec_b32 s10, s11
	s_cbranch_execz .LBB2_6549
; %bb.6581:                             ;   in Loop: Header=BB2_6550 Depth=2
	v_or_b32_e32 v34, 0x7f, v83
	s_branch .LBB2_6549
.LBB2_6582:                             ;   in Loop: Header=BB2_5087 Depth=1
	s_or_b32 exec_lo, exec_lo, s22
	v_cmp_ne_u32_e64 s10, 0, v69
	s_and_saveexec_b32 s11, s2
	s_cbranch_execz .LBB2_6601
.LBB2_6583:                             ;   in Loop: Header=BB2_5087 Depth=1
	s_and_saveexec_b32 s22, s3
	s_delay_alu instid0(SALU_CYCLE_1)
	s_xor_b32 s22, exec_lo, s22
	s_cbranch_execz .LBB2_6598
; %bb.6584:                             ;   in Loop: Header=BB2_5087 Depth=1
	s_and_saveexec_b32 s23, s4
	s_cbranch_execz .LBB2_6597
; %bb.6585:                             ;   in Loop: Header=BB2_5087 Depth=1
	s_mov_b32 s25, exec_lo
	s_mov_b32 s24, exec_lo
	v_mbcnt_lo_u32_b32 v10, s25, 0
	global_wb scope:SCOPE_DEV
	s_wait_storecnt 0x0
	s_wait_loadcnt_dscnt 0x0
	global_inv scope:SCOPE_DEV
	v_cmpx_eq_u32_e32 0, v10
	s_cbranch_execz .LBB2_6587
; %bb.6586:                             ;   in Loop: Header=BB2_5087 Depth=1
	s_bcnt1_i32_b32 s25, s25
	s_delay_alu instid0(SALU_CYCLE_1)
	v_mov_b32_e32 v34, s25
	s_wait_loadcnt 0x0
	ds_add_u64 v0, v[34:35]
	s_trap 2
.LBB2_6587:                             ;   in Loop: Header=BB2_5087 Depth=1
	s_or_b32 exec_lo, exec_lo, s24
	s_trap 2
	ds_load_b64 v[10:11], v0
	s_wait_dscnt 0x0
	v_add_nc_u64_e32 v[24:25], v[24:25], v[36:37]
	s_mov_b32 s24, exec_lo
	s_delay_alu instid0(VALU_DEP_1)
	v_cmpx_lt_u64_e64 v[10:11], v[24:25]
	s_cbranch_execz .LBB2_6596
; %bb.6588:                             ;   in Loop: Header=BB2_5087 Depth=1
	s_mov_b32 s25, 0
	s_mov_b32 s28, 0
                                        ; implicit-def: $sgpr26
                                        ; implicit-def: $sgpr27
	s_branch .LBB2_6590
.LBB2_6589:                             ;   in Loop: Header=BB2_6590 Depth=2
	s_or_b32 exec_lo, exec_lo, s40
	s_delay_alu instid0(SALU_CYCLE_1) | instskip(NEXT) | instid1(SALU_CYCLE_1)
	s_and_b32 s29, exec_lo, s41
	s_or_b32 s25, s29, s25
	s_and_not1_b32 s26, s26, exec_lo
	s_and_b32 s29, s27, exec_lo
	s_delay_alu instid0(SALU_CYCLE_1)
	s_or_b32 s26, s26, s29
	s_and_not1_b32 exec_lo, exec_lo, s25
	s_cbranch_execz .LBB2_6594
.LBB2_6590:                             ;   Parent Loop BB2_5087 Depth=1
                                        ; =>  This Inner Loop Header: Depth=2
	s_add_co_i32 s28, s28, 1
	s_delay_alu instid0(SALU_CYCLE_1) | instskip(SKIP_1) | instid1(SALU_CYCLE_1)
	s_cmp_lg_u32 s28, 0x2710
	s_cselect_b32 s29, -1, 0
	s_and_b32 vcc_lo, exec_lo, s29
	s_cbranch_vccz .LBB2_6592
; %bb.6591:                             ;   in Loop: Header=BB2_6590 Depth=2
	s_mov_b32 s41, -1
	s_or_b32 s27, s27, exec_lo
	s_and_saveexec_b32 s40, s29
	s_cbranch_execz .LBB2_6589
	s_branch .LBB2_6593
.LBB2_6592:                             ;   in Loop: Header=BB2_6590 Depth=2
	s_trap 2
	ds_load_b64 v[10:11], v0
	s_and_not1_b32 s29, s29, exec_lo
	s_mov_b32 s28, 0
	s_wait_loadcnt_dscnt 0x0
	flat_load_b32 v10, v[10:11] scope:SCOPE_SYS
	s_wait_loadcnt_dscnt 0x0
	global_inv scope:SCOPE_SYS
	v_cmp_eq_u32_e32 vcc_lo, 0, v10
	s_and_b32 s40, vcc_lo, exec_lo
	s_delay_alu instid0(SALU_CYCLE_1)
	s_or_b32 s29, s29, s40
	s_mov_b32 s41, -1
	s_or_b32 s27, s27, exec_lo
	s_and_saveexec_b32 s40, s29
	s_cbranch_execz .LBB2_6589
.LBB2_6593:                             ;   in Loop: Header=BB2_6590 Depth=2
	s_sleep 1
	s_trap 2
	ds_load_b64 v[10:11], v0
	s_wait_dscnt 0x0
	s_and_not1_b32 s27, s27, exec_lo
	v_cmp_ge_u64_e32 vcc_lo, v[10:11], v[24:25]
	s_or_not1_b32 s41, vcc_lo, exec_lo
	s_branch .LBB2_6589
.LBB2_6594:                             ;   in Loop: Header=BB2_5087 Depth=1
	s_or_b32 exec_lo, exec_lo, s25
	s_and_saveexec_b32 s25, s26
	s_delay_alu instid0(SALU_CYCLE_1)
	s_xor_b32 s25, exec_lo, s25
	s_cbranch_execz .LBB2_6596
; %bb.6595:                             ;   in Loop: Header=BB2_5087 Depth=1
	ds_store_b32 v0, v101
	s_trap 2
.LBB2_6596:                             ;   in Loop: Header=BB2_5087 Depth=1
	s_or_b32 exec_lo, exec_lo, s24
	;;#ASMSTART
	s_wakeup
	;;#ASMEND
.LBB2_6597:                             ;   in Loop: Header=BB2_5087 Depth=1
	s_or_b32 exec_lo, exec_lo, s23
.LBB2_6598:                             ;   in Loop: Header=BB2_5087 Depth=1
	s_and_not1_saveexec_b32 s22, s22
	s_cbranch_execz .LBB2_6600
; %bb.6599:                             ;   in Loop: Header=BB2_5087 Depth=1
	global_wb scope:SCOPE_DEV
	s_wait_storecnt 0x0
	s_wait_loadcnt_dscnt 0x0
	global_inv scope:SCOPE_DEV
	s_barrier_signal -1
	s_barrier_wait -1
.LBB2_6600:                             ;   in Loop: Header=BB2_5087 Depth=1
	s_or_b32 exec_lo, exec_lo, s22
.LBB2_6601:                             ;   in Loop: Header=BB2_5087 Depth=1
	s_delay_alu instid0(SALU_CYCLE_1) | instskip(SKIP_1) | instid1(VALU_DEP_1)
	s_or_b32 exec_lo, exec_lo, s11
	v_and_b32_e32 v10, 16, v102
	v_cmp_ne_u32_e32 vcc_lo, 0, v10
	s_and_b32 s11, vcc_lo, s10
	s_delay_alu instid0(SALU_CYCLE_1)
	s_and_saveexec_b32 s10, s11
	s_cbranch_execz .LBB2_6603
; %bb.6602:                             ;   in Loop: Header=BB2_5087 Depth=1
	global_wb scope:SCOPE_SYS
	s_wait_storecnt 0x0
	s_wait_loadcnt_dscnt 0x0
	global_inv scope:SCOPE_SYS
.LBB2_6603:                             ;   in Loop: Header=BB2_5087 Depth=1
	s_or_b32 exec_lo, exec_lo, s10
	s_delay_alu instid0(SALU_CYCLE_1)
	s_mov_b32 s10, exec_lo
	v_cmpx_ne_u32_e32 0, v10
	s_cbranch_execz .LBB2_6607
; %bb.6604:                             ;   in Loop: Header=BB2_5087 Depth=1
	s_and_saveexec_b32 s11, s7
	s_cbranch_execz .LBB2_6606
; %bb.6605:                             ;   in Loop: Header=BB2_5087 Depth=1
	global_wb scope:SCOPE_SYS
	s_wait_storecnt 0x0
	s_wait_loadcnt_dscnt 0x0
	flat_store_b32 v[32:33], v101 scope:SCOPE_SYS
.LBB2_6606:                             ;   in Loop: Header=BB2_5087 Depth=1
	s_wait_xcnt 0x0
	s_or_b32 exec_lo, exec_lo, s11
	v_add_nc_u64_e32 v[8:9], 1, v[8:9]
	global_wb scope:SCOPE_SYS
	s_wait_storecnt 0x0
	s_wait_loadcnt_dscnt 0x0
	flat_store_b64 v[18:19], v[8:9] scope:SCOPE_SYS
.LBB2_6607:                             ;   in Loop: Header=BB2_5087 Depth=1
	s_wait_xcnt 0x0
	s_or_b32 exec_lo, exec_lo, s10
	v_mov_b32_e32 v10, v70
.LBB2_6608:                             ;   in Loop: Header=BB2_5087 Depth=1
	s_or_b32 exec_lo, exec_lo, s21
	s_and_saveexec_b32 s11, s20
	s_cbranch_execz .LBB2_5086
; %bb.6609:                             ;   in Loop: Header=BB2_5087 Depth=1
	s_delay_alu instid0(VALU_DEP_1) | instskip(SKIP_2) | instid1(VALU_DEP_2)
	v_sub_nc_u32_e32 v10, v68, v10
	v_and_b32_e32 v11, 8, v102
	s_mov_b32 s20, exec_lo
	v_min_i32_e32 v10, v70, v10
	s_delay_alu instid0(VALU_DEP_2)
	v_cmpx_ne_u32_e32 0, v11
	s_cbranch_execz .LBB2_6631
; %bb.6610:                             ;   in Loop: Header=BB2_5087 Depth=1
	s_wait_loadcnt 0x0
	v_add_nc_u64_e32 v[68:69], 8, v[26:27]
	v_add_nc_u64_e32 v[12:13], 1, v[8:9]
	s_mov_b32 s21, exec_lo
	s_delay_alu instid0(VALU_DEP_1)
	v_cmpx_lt_u64_e64 v[68:69], v[12:13]
	s_cbranch_execz .LBB2_6622
; %bb.6611:                             ;   in Loop: Header=BB2_5087 Depth=1
	v_and_b32_e32 v9, 64, v102
	s_mov_b32 s22, 0
	s_mov_b32 s26, 0
                                        ; implicit-def: $sgpr23
                                        ; implicit-def: $sgpr24
                                        ; implicit-def: $sgpr25
	s_delay_alu instid0(VALU_DEP_1)
	v_cmp_eq_u32_e32 vcc_lo, 0, v9
	s_branch .LBB2_6614
.LBB2_6612:                             ;   in Loop: Header=BB2_6614 Depth=2
	s_or_b32 exec_lo, exec_lo, s41
	s_delay_alu instid0(SALU_CYCLE_1)
	s_and_not1_b32 s10, s25, exec_lo
	s_and_b32 s25, s29, exec_lo
	s_and_not1_b32 s24, s24, exec_lo
	s_and_b32 s28, s28, exec_lo
	s_or_b32 s25, s10, s25
	s_or_b32 s24, s24, s28
.LBB2_6613:                             ;   in Loop: Header=BB2_6614 Depth=2
	s_or_b32 exec_lo, exec_lo, s27
	s_delay_alu instid0(SALU_CYCLE_1) | instskip(NEXT) | instid1(SALU_CYCLE_1)
	s_and_b32 s10, exec_lo, s24
	s_or_b32 s22, s10, s22
	s_and_not1_b32 s10, s23, exec_lo
	s_and_b32 s23, s25, exec_lo
	s_delay_alu instid0(SALU_CYCLE_1)
	s_or_b32 s23, s10, s23
	s_and_not1_b32 exec_lo, exec_lo, s22
	s_cbranch_execz .LBB2_6619
.LBB2_6614:                             ;   Parent Loop BB2_5087 Depth=1
                                        ; =>  This Inner Loop Header: Depth=2
	s_sleep 1
	s_wait_loadcnt_dscnt 0x0
	flat_load_b64 v[26:27], v[18:19] scope:SCOPE_SYS
	s_or_b32 s25, s25, exec_lo
	s_or_b32 s24, s24, exec_lo
                                        ; implicit-def: $vgpr9
	s_wait_xcnt 0x0
	s_and_saveexec_b32 s27, vcc_lo
	s_cbranch_execz .LBB2_6613
; %bb.6615:                             ;   in Loop: Header=BB2_6614 Depth=2
	s_cmp_lt_i32 s26, 0x270f
	s_mov_b32 s28, -1
	s_cselect_b32 s40, -1, 0
	s_cmp_gt_i32 s26, 0x270e
	s_cbranch_scc0 .LBB2_6617
; %bb.6616:                             ;   in Loop: Header=BB2_6614 Depth=2
	s_trap 2
	ds_load_b64 v[68:69], v0
	s_and_not1_b32 s26, s40, exec_lo
	s_mov_b32 s29, 0
	s_wait_storecnt 0x0
	s_wait_loadcnt_dscnt 0x0
	flat_load_b32 v9, v[68:69] scope:SCOPE_SYS
	s_wait_loadcnt_dscnt 0x0
	global_inv scope:SCOPE_SYS
	v_cmp_eq_u32_e64 s10, 0, v9
	s_and_b32 s10, s10, exec_lo
	s_delay_alu instid0(SALU_CYCLE_1)
	s_or_b32 s40, s26, s10
	s_mov_b32 s26, 0
	s_and_saveexec_b32 s41, s40
	s_cbranch_execz .LBB2_6612
	s_branch .LBB2_6618
.LBB2_6617:                             ;   in Loop: Header=BB2_6614 Depth=2
	s_add_co_i32 s26, s26, 1
	s_mov_b32 s29, -1
                                        ; implicit-def: $vgpr9
	s_and_saveexec_b32 s41, s40
	s_cbranch_execz .LBB2_6612
.LBB2_6618:                             ;   in Loop: Header=BB2_6614 Depth=2
	s_wait_loadcnt_dscnt 0x0
	v_add_nc_u64_e32 v[68:69], 8, v[26:27]
	s_or_b32 s29, s29, exec_lo
	s_delay_alu instid0(VALU_DEP_1)
	v_cmp_ge_u64_e64 s10, v[68:69], v[12:13]
	s_or_not1_b32 s28, s10, exec_lo
	s_branch .LBB2_6612
.LBB2_6619:                             ;   in Loop: Header=BB2_5087 Depth=1
	s_or_b32 exec_lo, exec_lo, s22
	s_xor_b32 s10, s23, -1
	s_delay_alu instid0(SALU_CYCLE_1) | instskip(NEXT) | instid1(SALU_CYCLE_1)
	s_and_saveexec_b32 s22, s10
	s_xor_b32 s10, exec_lo, s22
	s_cbranch_execz .LBB2_6621
; %bb.6620:                             ;   in Loop: Header=BB2_5087 Depth=1
	v_or_b32_e32 v102, 64, v102
	s_wait_storecnt 0x0
	s_wait_loadcnt_dscnt 0x0
	ds_store_b32 v0, v9
	s_trap 2
.LBB2_6621:                             ;   in Loop: Header=BB2_5087 Depth=1
	s_or_b32 exec_lo, exec_lo, s10
.LBB2_6622:                             ;   in Loop: Header=BB2_5087 Depth=1
	s_delay_alu instid0(SALU_CYCLE_1) | instskip(SKIP_4) | instid1(VALU_DEP_2)
	s_or_b32 exec_lo, exec_lo, s21
	v_and_b32_e32 v9, 0x100, v102
	v_and_b32_e32 v34, 7, v8
	s_mov_b32 s10, -1
	;;#ASMSTART
	s_wakeup
	;;#ASMEND
	v_cmp_ne_u32_e32 vcc_lo, 0, v9
                                        ; implicit-def: $vgpr8_vgpr9
	s_and_saveexec_b32 s21, vcc_lo
	s_cbranch_execz .LBB2_6626
; %bb.6623:                             ;   in Loop: Header=BB2_5087 Depth=1
	v_mad_nc_u64_u32 v[68:69], v34, 24, v[6:7]
	v_ashrrev_i32_e32 v11, 31, v10
	s_clause 0x1
	flat_load_b32 v8, v[68:69]
	flat_store_b64 v[68:69], v[10:11] offset:8
	s_wait_loadcnt_dscnt 0x1
	v_cmp_eq_u32_e64 s10, 1, v8
	v_cmp_ne_u32_e32 vcc_lo, 1, v8
                                        ; implicit-def: $vgpr8_vgpr9
	s_wait_xcnt 0x0
	s_and_saveexec_b32 s22, s10
	s_cbranch_execz .LBB2_6625
; %bb.6624:                             ;   in Loop: Header=BB2_5087 Depth=1
	flat_load_b32 v8, v[68:69] offset:4 scope:SCOPE_SYS
	s_wait_loadcnt_dscnt 0x0
	v_ashrrev_i32_e32 v9, 31, v8
.LBB2_6625:                             ;   in Loop: Header=BB2_5087 Depth=1
	s_wait_xcnt 0x0
	s_or_b32 exec_lo, exec_lo, s22
	s_delay_alu instid0(SALU_CYCLE_1)
	s_or_not1_b32 s10, vcc_lo, exec_lo
.LBB2_6626:                             ;   in Loop: Header=BB2_5087 Depth=1
	s_or_b32 exec_lo, exec_lo, s21
	s_and_saveexec_b32 s21, s10
; %bb.6627:                             ;   in Loop: Header=BB2_5087 Depth=1
	v_mul_u64_e32 v[8:9], v[34:35], v[20:21]
; %bb.6628:                             ;   in Loop: Header=BB2_5087 Depth=1
	s_or_b32 exec_lo, exec_lo, s21
	s_delay_alu instid0(VALU_DEP_1)
	v_add_nc_u64_e32 v[8:9], v[22:23], v[8:9]
	v_and_b32_e32 v11, 0x2000, v102
	s_mov_b32 s10, exec_lo
	ds_store_b64 v0, v[8:9] offset:784
	v_cmpx_ne_u32_e32 0, v11
	s_cbranch_execz .LBB2_6630
; %bb.6629:                             ;   in Loop: Header=BB2_5087 Depth=1
	ds_load_b64 v[8:9], v0 offset:872
	s_wait_dscnt 0x0
	v_add_nc_u64_e32 v[8:9], 1, v[8:9]
	ds_store_b64 v0, v[8:9] offset:872
.LBB2_6630:                             ;   in Loop: Header=BB2_5087 Depth=1
	s_or_b32 exec_lo, exec_lo, s10
	v_mov_b64_e32 v[8:9], v[12:13]
.LBB2_6631:                             ;   in Loop: Header=BB2_5087 Depth=1
	s_or_b32 exec_lo, exec_lo, s20
	s_and_saveexec_b32 s10, s2
	s_cbranch_execz .LBB2_6650
; %bb.6632:                             ;   in Loop: Header=BB2_5087 Depth=1
	s_and_saveexec_b32 s20, s3
	s_delay_alu instid0(SALU_CYCLE_1)
	s_xor_b32 s20, exec_lo, s20
	s_cbranch_execz .LBB2_6647
; %bb.6633:                             ;   in Loop: Header=BB2_5087 Depth=1
	s_and_saveexec_b32 s21, s4
	s_cbranch_execz .LBB2_6646
; %bb.6634:                             ;   in Loop: Header=BB2_5087 Depth=1
	s_mov_b32 s23, exec_lo
	s_mov_b32 s22, exec_lo
	v_mbcnt_lo_u32_b32 v11, s23, 0
	global_wb scope:SCOPE_DEV
	s_wait_storecnt 0x0
	s_wait_loadcnt_dscnt 0x0
	global_inv scope:SCOPE_DEV
	v_cmpx_eq_u32_e32 0, v11
	s_cbranch_execz .LBB2_6636
; %bb.6635:                             ;   in Loop: Header=BB2_5087 Depth=1
	s_bcnt1_i32_b32 s23, s23
	s_delay_alu instid0(SALU_CYCLE_1)
	v_mov_b32_e32 v34, s23
	s_wait_loadcnt 0x0
	ds_add_u64 v0, v[34:35]
	s_trap 2
.LBB2_6636:                             ;   in Loop: Header=BB2_5087 Depth=1
	s_or_b32 exec_lo, exec_lo, s22
	s_trap 2
	ds_load_b64 v[12:13], v0
	s_wait_dscnt 0x0
	v_add_nc_u64_e32 v[24:25], v[24:25], v[36:37]
	s_mov_b32 s22, exec_lo
	s_delay_alu instid0(VALU_DEP_1)
	v_cmpx_lt_u64_e64 v[12:13], v[24:25]
	s_cbranch_execz .LBB2_6645
; %bb.6637:                             ;   in Loop: Header=BB2_5087 Depth=1
	s_mov_b32 s23, 0
	s_mov_b32 s26, 0
                                        ; implicit-def: $sgpr24
                                        ; implicit-def: $sgpr25
	s_branch .LBB2_6639
.LBB2_6638:                             ;   in Loop: Header=BB2_6639 Depth=2
	s_or_b32 exec_lo, exec_lo, s28
	s_delay_alu instid0(SALU_CYCLE_1) | instskip(NEXT) | instid1(SALU_CYCLE_1)
	s_and_b32 s27, exec_lo, s29
	s_or_b32 s23, s27, s23
	s_and_not1_b32 s24, s24, exec_lo
	s_and_b32 s27, s25, exec_lo
	s_delay_alu instid0(SALU_CYCLE_1)
	s_or_b32 s24, s24, s27
	s_and_not1_b32 exec_lo, exec_lo, s23
	s_cbranch_execz .LBB2_6643
.LBB2_6639:                             ;   Parent Loop BB2_5087 Depth=1
                                        ; =>  This Inner Loop Header: Depth=2
	s_add_co_i32 s26, s26, 1
	s_delay_alu instid0(SALU_CYCLE_1) | instskip(SKIP_1) | instid1(SALU_CYCLE_1)
	s_cmp_lg_u32 s26, 0x2710
	s_cselect_b32 s27, -1, 0
	s_and_b32 vcc_lo, exec_lo, s27
	s_cbranch_vccz .LBB2_6641
; %bb.6640:                             ;   in Loop: Header=BB2_6639 Depth=2
	s_mov_b32 s29, -1
	s_or_b32 s25, s25, exec_lo
	s_and_saveexec_b32 s28, s27
	s_cbranch_execz .LBB2_6638
	s_branch .LBB2_6642
.LBB2_6641:                             ;   in Loop: Header=BB2_6639 Depth=2
	s_trap 2
	ds_load_b64 v[12:13], v0
	s_and_not1_b32 s27, s27, exec_lo
	s_mov_b32 s26, 0
	s_wait_loadcnt_dscnt 0x0
	flat_load_b32 v11, v[12:13] scope:SCOPE_SYS
	s_wait_loadcnt_dscnt 0x0
	global_inv scope:SCOPE_SYS
	v_cmp_eq_u32_e32 vcc_lo, 0, v11
	s_and_b32 s28, vcc_lo, exec_lo
	s_delay_alu instid0(SALU_CYCLE_1)
	s_or_b32 s27, s27, s28
	s_mov_b32 s29, -1
	s_or_b32 s25, s25, exec_lo
	s_and_saveexec_b32 s28, s27
	s_cbranch_execz .LBB2_6638
.LBB2_6642:                             ;   in Loop: Header=BB2_6639 Depth=2
	s_sleep 1
	s_trap 2
	ds_load_b64 v[12:13], v0
	s_wait_dscnt 0x0
	s_and_not1_b32 s25, s25, exec_lo
	v_cmp_ge_u64_e32 vcc_lo, v[12:13], v[24:25]
	s_or_not1_b32 s29, vcc_lo, exec_lo
	s_branch .LBB2_6638
.LBB2_6643:                             ;   in Loop: Header=BB2_5087 Depth=1
	s_or_b32 exec_lo, exec_lo, s23
	s_and_saveexec_b32 s23, s24
	s_delay_alu instid0(SALU_CYCLE_1)
	s_xor_b32 s23, exec_lo, s23
	s_cbranch_execz .LBB2_6645
; %bb.6644:                             ;   in Loop: Header=BB2_5087 Depth=1
	ds_store_b32 v0, v101
	s_trap 2
.LBB2_6645:                             ;   in Loop: Header=BB2_5087 Depth=1
	s_or_b32 exec_lo, exec_lo, s22
	;;#ASMSTART
	s_wakeup
	;;#ASMEND
.LBB2_6646:                             ;   in Loop: Header=BB2_5087 Depth=1
	s_or_b32 exec_lo, exec_lo, s21
.LBB2_6647:                             ;   in Loop: Header=BB2_5087 Depth=1
	s_and_not1_saveexec_b32 s20, s20
	s_cbranch_execz .LBB2_6649
; %bb.6648:                             ;   in Loop: Header=BB2_5087 Depth=1
	global_wb scope:SCOPE_DEV
	s_wait_storecnt 0x0
	s_wait_loadcnt_dscnt 0x0
	global_inv scope:SCOPE_DEV
	s_barrier_signal -1
	s_barrier_wait -1
.LBB2_6649:                             ;   in Loop: Header=BB2_5087 Depth=1
	s_or_b32 exec_lo, exec_lo, s20
.LBB2_6650:                             ;   in Loop: Header=BB2_5087 Depth=1
	s_delay_alu instid0(SALU_CYCLE_1)
	s_or_b32 exec_lo, exec_lo, s10
	s_trap 2
	ds_load_b32 v11, v0
	v_cmp_lt_i32_e32 vcc_lo, 0, v10
	s_wait_dscnt 0x0
	v_readfirstlane_b32 s10, v11
	v_and_b32_e32 v11, 16, v102
	s_cmp_eq_u32 s10, 0
	s_delay_alu instid0(VALU_DEP_1) | instskip(SKIP_1) | instid1(SALU_CYCLE_1)
	v_cmp_ne_u32_e64 s10, 0, v11
	s_cselect_b32 s20, -1, 0
	s_and_b32 s20, vcc_lo, s20
	s_delay_alu instid0(SALU_CYCLE_1) | instskip(NEXT) | instid1(SALU_CYCLE_1)
	s_and_b32 s20, s10, s20
	s_and_saveexec_b32 s10, s20
	s_cbranch_execz .LBB2_6652
; %bb.6651:                             ;   in Loop: Header=BB2_5087 Depth=1
	global_wb scope:SCOPE_SYS
	s_wait_loadcnt 0x0
	s_wait_storecnt 0x0
	global_inv scope:SCOPE_SYS
.LBB2_6652:                             ;   in Loop: Header=BB2_5087 Depth=1
	s_or_b32 exec_lo, exec_lo, s10
	s_delay_alu instid0(SALU_CYCLE_1)
	s_mov_b32 s10, exec_lo
	v_cmpx_ne_u32_e32 0, v11
	s_cbranch_execz .LBB2_5085
; %bb.6653:                             ;   in Loop: Header=BB2_5087 Depth=1
	s_and_saveexec_b32 s20, s7
	s_cbranch_execz .LBB2_5084
; %bb.6654:                             ;   in Loop: Header=BB2_5087 Depth=1
	global_wb scope:SCOPE_SYS
	s_wait_loadcnt 0x0
	s_wait_storecnt 0x0
	flat_store_b32 v[32:33], v101 scope:SCOPE_SYS
	s_branch .LBB2_5084
.LBB2_6655:
	s_or_b32 exec_lo, exec_lo, s16
.LBB2_6656:
	s_delay_alu instid0(SALU_CYCLE_1)
	s_or_b32 exec_lo, exec_lo, s15
.LBB2_6657:
	s_delay_alu instid0(SALU_CYCLE_1) | instskip(SKIP_2) | instid1(VALU_DEP_1)
	s_or_b32 exec_lo, exec_lo, s14
	v_and_b32_e32 v0, 0x800, v102
	s_mov_b32 s1, exec_lo
	v_cmpx_eq_u32_e32 0, v0
	s_cbranch_execz .LBB2_6690
; %bb.6658:
	v_and_b32_e32 v0, 48, v102
	s_mov_b32 s0, exec_lo
	s_delay_alu instid0(VALU_DEP_1)
	v_cmpx_ne_u32_e32 0, v0
	s_cbranch_execz .LBB2_6660
; %bb.6659:
	flat_store_b64 v[16:17], v[8:9] offset:104
.LBB2_6660:
	s_wait_xcnt 0x0
	s_or_b32 exec_lo, exec_lo, s0
	v_and_b32_e32 v0, 0x88, v102
	s_mov_b32 s2, exec_lo
	s_delay_alu instid0(VALU_DEP_1)
	v_cmpx_eq_u32_e32 0x88, v0
	s_cbranch_execz .LBB2_6670
; %bb.6661:
	v_add_nc_u32_e32 v0, -1, v8
	s_mov_b32 s3, 0
	s_delay_alu instid0(VALU_DEP_1) | instskip(NEXT) | instid1(VALU_DEP_1)
	v_and_b32_e32 v0, 7, v0
	v_mad_nc_u64_u32 v[4:5], v0, 24, v[6:7]
	v_and_b32_e32 v0, 64, v102
	s_delay_alu instid0(VALU_DEP_1)
	v_cmp_eq_u32_e64 s0, 0, v0
	flat_load_b64 v[6:7], v[4:5] offset:8 scope:SCOPE_SYS
	s_wait_loadcnt_dscnt 0x0
	v_cmp_ne_u64_e32 vcc_lo, -1, v[6:7]
	s_and_b32 s0, vcc_lo, s0
	s_wait_xcnt 0x0
	s_and_b32 exec_lo, exec_lo, s0
	s_cbranch_execz .LBB2_6670
; %bb.6662:
	s_mov_b32 s5, 0
                                        ; implicit-def: $sgpr0
                                        ; implicit-def: $sgpr4
	s_branch .LBB2_6664
.LBB2_6663:                             ;   in Loop: Header=BB2_6664 Depth=1
	s_wait_xcnt 0x0
	s_or_b32 exec_lo, exec_lo, s10
	s_delay_alu instid0(SALU_CYCLE_1) | instskip(NEXT) | instid1(SALU_CYCLE_1)
	s_and_b32 s6, exec_lo, s7
	s_or_b32 s3, s6, s3
	s_and_not1_b32 s0, s0, exec_lo
	s_and_b32 s6, s4, exec_lo
	s_delay_alu instid0(SALU_CYCLE_1)
	s_or_b32 s0, s0, s6
	s_and_not1_b32 exec_lo, exec_lo, s3
	s_cbranch_execz .LBB2_6668
.LBB2_6664:                             ; =>This Inner Loop Header: Depth=1
	s_cmp_lt_i32 s5, 0x270f
	s_cselect_b32 s6, -1, 0
	s_delay_alu instid0(SALU_CYCLE_1)
	s_and_b32 vcc_lo, exec_lo, s6
	s_cbranch_vccnz .LBB2_6666
; %bb.6665:                             ;   in Loop: Header=BB2_6664 Depth=1
	s_trap 2
	ds_load_b64 v[6:7], v0
	s_and_not1_b32 s6, s6, exec_lo
	s_mov_b32 s5, 0
	s_wait_storecnt_dscnt 0x0
	flat_load_b32 v0, v[6:7] scope:SCOPE_SYS
	s_wait_loadcnt_dscnt 0x0
	global_inv scope:SCOPE_SYS
	v_cmp_eq_u32_e32 vcc_lo, 0, v0
	s_and_b32 s7, vcc_lo, exec_lo
	s_delay_alu instid0(SALU_CYCLE_1)
	s_or_b32 s6, s6, s7
	s_mov_b32 s7, -1
	s_or_b32 s4, s4, exec_lo
	s_wait_xcnt 0x0
	s_and_saveexec_b32 s10, s6
	s_cbranch_execz .LBB2_6663
	s_branch .LBB2_6667
.LBB2_6666:                             ;   in Loop: Header=BB2_6664 Depth=1
	s_add_co_i32 s5, s5, 1
                                        ; implicit-def: $vgpr0
	s_mov_b32 s7, -1
	s_or_b32 s4, s4, exec_lo
	s_and_saveexec_b32 s10, s6
	s_cbranch_execz .LBB2_6663
.LBB2_6667:                             ;   in Loop: Header=BB2_6664 Depth=1
	flat_load_b64 v[6:7], v[4:5] offset:8 scope:SCOPE_SYS
	s_wait_loadcnt 0x0
	s_and_not1_b32 s4, s4, exec_lo
	s_wait_dscnt 0x0
	v_cmp_eq_u64_e32 vcc_lo, -1, v[6:7]
	s_or_not1_b32 s7, vcc_lo, exec_lo
	s_branch .LBB2_6663
.LBB2_6668:
	s_or_b32 exec_lo, exec_lo, s3
	s_and_saveexec_b32 s3, s0
	s_delay_alu instid0(SALU_CYCLE_1)
	s_xor_b32 s3, exec_lo, s3
	s_cbranch_execz .LBB2_6670
; %bb.6669:
	s_wait_loadcnt 0x0
	s_wait_storecnt 0x0
	ds_store_b32 v0, v0
	s_trap 2
.LBB2_6670:
	s_or_b32 exec_lo, exec_lo, s2
	v_and_b32_e32 v0, 0x2000, v102
	s_mov_b32 s0, exec_lo
	s_delay_alu instid0(VALU_DEP_1)
	v_cmpx_ne_u32_e32 0, v0
	s_cbranch_execz .LBB2_6672
; %bb.6671:
	s_trap 2
	ds_load_b64 v[4:5], v0
	s_wait_dscnt 0x0
	flat_store_b64 v[2:3], v[4:5] offset:16
.LBB2_6672:
	s_wait_xcnt 0x0
	s_or_b32 exec_lo, exec_lo, s0
	v_cmp_ne_u32_e32 vcc_lo, 32, v1
	s_and_b32 exec_lo, exec_lo, vcc_lo
	s_cbranch_execz .LBB2_6690
; %bb.6673:
	s_mov_b32 s0, exec_lo
	v_cmpx_ne_u32_e64 v1, v103
	s_xor_b32 s0, exec_lo, s0
	s_cbranch_execz .LBB2_6688
; %bb.6674:
	v_and_b32_e32 v0, 31, v31
	s_mov_b32 s2, exec_lo
	s_delay_alu instid0(VALU_DEP_1)
	v_cmpx_eq_u32_e32 0, v0
	s_cbranch_execz .LBB2_6687
; %bb.6675:
	s_mov_b32 s4, exec_lo
	s_mov_b32 s3, exec_lo
	v_mbcnt_lo_u32_b32 v0, s4, 0
	global_wb scope:SCOPE_DEV
	s_wait_storecnt 0x0
	s_wait_loadcnt_dscnt 0x0
	global_inv scope:SCOPE_DEV
	v_cmpx_eq_u32_e32 0, v0
	s_cbranch_execz .LBB2_6677
; %bb.6676:
	s_bcnt1_i32_b32 s4, s4
	s_delay_alu instid0(SALU_CYCLE_1)
	v_dual_mov_b32 v3, 0 :: v_dual_mov_b32 v2, s4
	s_wait_loadcnt 0x0
	ds_add_u64 v0, v[2:3]
	s_trap 2
.LBB2_6677:
	s_or_b32 exec_lo, exec_lo, s3
	s_trap 2
	ds_load_b64 v[2:3], v0
	s_wait_dscnt 0x0
	v_dual_mov_b32 v1, 0 :: v_dual_lshrrev_b32 v0, 5, v1
	s_mov_b32 s3, exec_lo
	s_delay_alu instid0(VALU_DEP_1) | instskip(NEXT) | instid1(VALU_DEP_1)
	v_add_nc_u64_e32 v[0:1], v[24:25], v[0:1]
	v_cmpx_lt_u64_e64 v[2:3], v[0:1]
	s_cbranch_execz .LBB2_6686
; %bb.6678:
	s_mov_b32 s4, 0
	s_mov_b32 s7, 0
                                        ; implicit-def: $sgpr5
                                        ; implicit-def: $sgpr6
	s_branch .LBB2_6680
.LBB2_6679:                             ;   in Loop: Header=BB2_6680 Depth=1
	s_or_b32 exec_lo, exec_lo, s11
	s_delay_alu instid0(SALU_CYCLE_1) | instskip(NEXT) | instid1(SALU_CYCLE_1)
	s_and_b32 s10, exec_lo, s12
	s_or_b32 s4, s10, s4
	s_and_not1_b32 s5, s5, exec_lo
	s_and_b32 s10, s6, exec_lo
	s_delay_alu instid0(SALU_CYCLE_1)
	s_or_b32 s5, s5, s10
	s_and_not1_b32 exec_lo, exec_lo, s4
	s_cbranch_execz .LBB2_6684
.LBB2_6680:                             ; =>This Inner Loop Header: Depth=1
	s_add_co_i32 s7, s7, 1
	s_delay_alu instid0(SALU_CYCLE_1) | instskip(SKIP_1) | instid1(SALU_CYCLE_1)
	s_cmp_lg_u32 s7, 0x2710
	s_cselect_b32 s10, -1, 0
	s_and_b32 vcc_lo, exec_lo, s10
	s_cbranch_vccz .LBB2_6682
; %bb.6681:                             ;   in Loop: Header=BB2_6680 Depth=1
	s_mov_b32 s12, -1
	s_or_b32 s6, s6, exec_lo
	s_and_saveexec_b32 s11, s10
	s_cbranch_execz .LBB2_6679
	s_branch .LBB2_6683
.LBB2_6682:                             ;   in Loop: Header=BB2_6680 Depth=1
	s_trap 2
	ds_load_b64 v[2:3], v0
	s_and_not1_b32 s10, s10, exec_lo
	s_mov_b32 s7, 0
	s_wait_loadcnt_dscnt 0x0
	flat_load_b32 v2, v[2:3] scope:SCOPE_SYS
	s_wait_loadcnt_dscnt 0x0
	global_inv scope:SCOPE_SYS
	v_cmp_eq_u32_e32 vcc_lo, 0, v2
	s_and_b32 s11, vcc_lo, exec_lo
	s_delay_alu instid0(SALU_CYCLE_1)
	s_or_b32 s10, s10, s11
	s_mov_b32 s12, -1
	s_or_b32 s6, s6, exec_lo
	s_and_saveexec_b32 s11, s10
	s_cbranch_execz .LBB2_6679
.LBB2_6683:                             ;   in Loop: Header=BB2_6680 Depth=1
	s_sleep 1
	s_trap 2
	ds_load_b64 v[2:3], v0
	s_wait_dscnt 0x0
	s_and_not1_b32 s6, s6, exec_lo
	v_cmp_ge_u64_e32 vcc_lo, v[2:3], v[0:1]
	s_or_not1_b32 s12, vcc_lo, exec_lo
	s_branch .LBB2_6679
.LBB2_6684:
	s_or_b32 exec_lo, exec_lo, s4
	s_and_saveexec_b32 s4, s5
	s_delay_alu instid0(SALU_CYCLE_1)
	s_xor_b32 s4, exec_lo, s4
	s_cbranch_execz .LBB2_6686
; %bb.6685:
	v_mov_b32_e32 v0, 1
	ds_store_b32 v0, v0
	s_trap 2
.LBB2_6686:
	s_or_b32 exec_lo, exec_lo, s3
	;;#ASMSTART
	s_wakeup
	;;#ASMEND
.LBB2_6687:
	s_or_b32 exec_lo, exec_lo, s2
.LBB2_6688:
	s_and_not1_saveexec_b32 s0, s0
	s_cbranch_execz .LBB2_6690
; %bb.6689:
	global_wb scope:SCOPE_DEV
	s_wait_storecnt 0x0
	s_wait_loadcnt_dscnt 0x0
	global_inv scope:SCOPE_DEV
	s_barrier_signal -1
	s_barrier_wait -1
.LBB2_6690:
	s_or_b32 exec_lo, exec_lo, s1
.LBB2_6691:
	s_and_not1_saveexec_b32 s21, s18
	s_cbranch_execz .LBB2_6693
; %bb.6692:
	s_get_pc_i64 s[0:1]
	s_add_nc_u64 s[0:1], s[0:1], __PRETTY_FUNCTION__._ZN10PrimitivesI14__hip_fp8_e4m313FuncPreMulSumIS0_E12FanSymmetricILi1EELi0E11ProtoSimpleILi1ELi1ELi0ELi1ELi0ELi0EELi0ELb0ELi0ELi0ELi0EEC2EiiPKiS9_PKvPvmhhhP15ncclDevWorkCollP14ncclDevWorkP2pii@rel64+4
	s_get_pc_i64 s[2:3]
	s_add_nc_u64 s[2:3], s[2:3], __assert_fail@rel64+4
	v_dual_mov_b32 v0, s0 :: v_dual_mov_b32 v1, s1
	s_swap_pc_i64 s[30:31], s[2:3]
	; divergent unreachable
.LBB2_6693:
	s_or_b32 exec_lo, exec_lo, s21
	s_clause 0x17
	scratch_load_b32 v79, off, s33
	scratch_load_b32 v78, off, s33 offset:4
	scratch_load_b32 v77, off, s33 offset:8
	scratch_load_b32 v76, off, s33 offset:12
	scratch_load_b32 v75, off, s33 offset:16
	scratch_load_b32 v74, off, s33 offset:20
	scratch_load_b32 v73, off, s33 offset:24
	scratch_load_b32 v72, off, s33 offset:28
	scratch_load_b32 v63, off, s33 offset:32
	scratch_load_b32 v62, off, s33 offset:36
	scratch_load_b32 v61, off, s33 offset:40
	scratch_load_b32 v60, off, s33 offset:44
	scratch_load_b32 v59, off, s33 offset:48
	scratch_load_b32 v58, off, s33 offset:52
	scratch_load_b32 v57, off, s33 offset:56
	scratch_load_b32 v56, off, s33 offset:60
	scratch_load_b32 v47, off, s33 offset:64
	scratch_load_b32 v46, off, s33 offset:68
	scratch_load_b32 v45, off, s33 offset:72
	scratch_load_b32 v44, off, s33 offset:76
	scratch_load_b32 v43, off, s33 offset:80
	scratch_load_b32 v42, off, s33 offset:84
	scratch_load_b32 v41, off, s33 offset:88
	scratch_load_b32 v40, off, s33 offset:92
	v_readlane_b32 s30, v88, 0
	v_readlane_b32 s31, v88, 1
	s_mov_b32 s32, s33
	s_wait_xcnt 0x0
	s_or_saveexec_b32 s0, -1
	scratch_load_b32 v88, off, s33 offset:96 ; 4-byte Folded Reload
	s_wait_xcnt 0x0
	s_mov_b32 exec_lo, s0
	s_mov_b32 s33, s47
	s_wait_loadcnt_dscnt 0x0
	s_set_pc_i64 s[30:31]
.Lfunc_end2:
	.size	_ZN12_GLOBAL__N_17runRingI14__hip_fp8_e4m313FuncPreMulSumIS1_E11ProtoSimpleILi1ELi1ELi0ELi1ELi0ELi0EELi0ELi1ELi0EEEviiP15ncclDevWorkColl, .Lfunc_end2-_ZN12_GLOBAL__N_17runRingI14__hip_fp8_e4m313FuncPreMulSumIS1_E11ProtoSimpleILi1ELi1ELi0ELi1ELi0ELi0EELi0ELi1ELi0EEEviiP15ncclDevWorkColl
                                        ; -- End function
	.set .L_ZN12_GLOBAL__N_17runRingI14__hip_fp8_e4m313FuncPreMulSumIS1_E11ProtoSimpleILi1ELi1ELi0ELi1ELi0ELi0EELi0ELi1ELi0EEEviiP15ncclDevWorkColl.num_vgpr, max(120, .L__assert_fail.num_vgpr)
	.set .L_ZN12_GLOBAL__N_17runRingI14__hip_fp8_e4m313FuncPreMulSumIS1_E11ProtoSimpleILi1ELi1ELi0ELi1ELi0ELi0EELi0ELi1ELi0EEEviiP15ncclDevWorkColl.num_agpr, max(0, .L__assert_fail.num_agpr)
	.set .L_ZN12_GLOBAL__N_17runRingI14__hip_fp8_e4m313FuncPreMulSumIS1_E11ProtoSimpleILi1ELi1ELi0ELi1ELi0ELi0EELi0ELi1ELi0EEEviiP15ncclDevWorkColl.numbered_sgpr, max(48, .L__assert_fail.numbered_sgpr)
	.set .L_ZN12_GLOBAL__N_17runRingI14__hip_fp8_e4m313FuncPreMulSumIS1_E11ProtoSimpleILi1ELi1ELi0ELi1ELi0ELi0EELi0ELi1ELi0EEEviiP15ncclDevWorkColl.num_named_barrier, max(0, .L__assert_fail.num_named_barrier)
	.set .L_ZN12_GLOBAL__N_17runRingI14__hip_fp8_e4m313FuncPreMulSumIS1_E11ProtoSimpleILi1ELi1ELi0ELi1ELi0ELi0EELi0ELi1ELi0EEEviiP15ncclDevWorkColl.private_seg_size, 112+max(.L__assert_fail.private_seg_size)
	.set .L_ZN12_GLOBAL__N_17runRingI14__hip_fp8_e4m313FuncPreMulSumIS1_E11ProtoSimpleILi1ELi1ELi0ELi1ELi0ELi0EELi0ELi1ELi0EEEviiP15ncclDevWorkColl.uses_vcc, or(1, .L__assert_fail.uses_vcc)
	.set .L_ZN12_GLOBAL__N_17runRingI14__hip_fp8_e4m313FuncPreMulSumIS1_E11ProtoSimpleILi1ELi1ELi0ELi1ELi0ELi0EELi0ELi1ELi0EEEviiP15ncclDevWorkColl.uses_flat_scratch, or(1, .L__assert_fail.uses_flat_scratch)
	.set .L_ZN12_GLOBAL__N_17runRingI14__hip_fp8_e4m313FuncPreMulSumIS1_E11ProtoSimpleILi1ELi1ELi0ELi1ELi0ELi0EELi0ELi1ELi0EEEviiP15ncclDevWorkColl.has_dyn_sized_stack, or(0, .L__assert_fail.has_dyn_sized_stack)
	.set .L_ZN12_GLOBAL__N_17runRingI14__hip_fp8_e4m313FuncPreMulSumIS1_E11ProtoSimpleILi1ELi1ELi0ELi1ELi0ELi0EELi0ELi1ELi0EEEviiP15ncclDevWorkColl.has_recursion, or(1, .L__assert_fail.has_recursion)
	.set .L_ZN12_GLOBAL__N_17runRingI14__hip_fp8_e4m313FuncPreMulSumIS1_E11ProtoSimpleILi1ELi1ELi0ELi1ELi0ELi0EELi0ELi1ELi0EEEviiP15ncclDevWorkColl.has_indirect_call, or(0, .L__assert_fail.has_indirect_call)
	.section	.AMDGPU.csdata,"",@progbits
; Function info:
; codeLenInByte = 213916
; TotalNumSgprs: 50
; NumVgprs: 120
; ScratchSize: 176
; MemoryBound: 1
	.text
	.p2align	2                               ; -- Begin function _Z53ncclDevFunc_Reduce_RING_SIMPLE_PreMulSum_f8e4m3_0_0_1v
	.type	_Z53ncclDevFunc_Reduce_RING_SIMPLE_PreMulSum_f8e4m3_0_0_1v,@function
_Z53ncclDevFunc_Reduce_RING_SIMPLE_PreMulSum_f8e4m3_0_0_1v: ; @_Z53ncclDevFunc_Reduce_RING_SIMPLE_PreMulSum_f8e4m3_0_0_1v
; %bb.0:
	s_wait_loadcnt_dscnt 0x0
	s_wait_kmcnt 0x0
	s_mov_b32 s63, s33
	s_mov_b32 s33, s32
	s_or_saveexec_b32 s0, -1
	scratch_store_b32 off, v42, s33 offset:12 ; 4-byte Folded Spill
	s_wait_xcnt 0x0
	s_mov_b32 exec_lo, s0
	s_add_co_i32 s32, s32, 32
	s_clause 0x2
	scratch_store_b32 off, v40, s33 offset:8
	; meta instruction
	scratch_store_b32 off, v41, s33 offset:4
	; meta instruction
	scratch_store_b32 off, v88, s33
	v_writelane_b32 v42, s30, 0
	v_writelane_b32 v42, s31, 1
	s_trap 2
	ds_load_b32 v0, v0
	s_wait_xcnt 0x2
	v_mov_b32_e32 v40, v31
	s_mov_b32 s58, s12
	s_mov_b64 s[56:57], s[8:9]
	s_mov_b32 s2, exec_lo
	s_wait_xcnt 0x1
	v_and_b32_e32 v41, 0x3ff, v40
	s_wait_dscnt 0x0
	s_wait_xcnt 0x0
	s_delay_alu instid0(VALU_DEP_1)
	v_cmpx_lt_i32_e64 v41, v0
	s_cbranch_execz .LBB3_5
; %bb.1:
	s_load_b32 s0, s[56:57], 0x0
	s_bfe_u32 s1, ttmp6, 0x4000c
	s_and_b32 s3, ttmp6, 15
	s_add_co_i32 s1, s1, 1
	s_getreg_b32 s4, hwreg(HW_REG_IB_STS2, 6, 4)
	s_mul_i32 s1, ttmp9, s1
	v_mov_b32_e32 v2, v41
	s_add_co_i32 s3, s3, s1
	s_cmp_eq_u32 s4, 0
                                        ; implicit-def: $vgpr3
	s_cselect_b32 s1, ttmp9, s3
	s_mov_b32 s3, 0
	s_wait_kmcnt 0x0
	s_cmp_lt_u32 s1, s0
	s_mov_b32 s1, 0
	s_cselect_b32 s0, 12, 18
	s_delay_alu instid0(SALU_CYCLE_1)
	s_add_nc_u64 s[4:5], s[56:57], s[0:1]
	s_load_u16 s0, s[4:5], 0x0
	s_trap 2
	ds_load_b32 v1, v0
	s_wait_dscnt 0x0
	s_wait_kmcnt 0x0
	v_mul_lo_u32 v1, v1, s0
	s_branch .LBB3_3
.LBB3_2:                                ;   in Loop: Header=BB3_3 Depth=1
	s_or_b32 exec_lo, exec_lo, s4
	v_dual_add_nc_u32 v2, s0, v2 :: v_dual_add_nc_u32 v3, v3, v1
	s_delay_alu instid0(VALU_DEP_1) | instskip(SKIP_1) | instid1(SALU_CYCLE_1)
	v_cmp_ge_i32_e32 vcc_lo, v2, v0
	s_or_b32 s3, vcc_lo, s3
	s_and_not1_b32 exec_lo, exec_lo, s3
	s_cbranch_execz .LBB3_5
.LBB3_3:                                ; =>This Inner Loop Header: Depth=1
	ds_load_b32 v4, v3
	s_mov_b32 s4, exec_lo
	s_wait_dscnt 0x0
	v_and_b32_e32 v4, 0x1000000, v4
	s_delay_alu instid0(VALU_DEP_1)
	v_cmpx_ne_u32_e32 0, v4
	s_cbranch_execz .LBB3_2
; %bb.4:                                ;   in Loop: Header=BB3_3 Depth=1
	ds_load_b64 v[4:5], v3 offset:104
	s_wait_dscnt 0x0
	flat_load_u8 v4, v[4:5]
	s_wait_xcnt 0x0
	v_mov_b32_e32 v5, s1
	s_wait_loadcnt_dscnt 0x0
	v_and_b32_e32 v4, 0xffff, v4
	ds_store_b64 v3, v[4:5] offset:104
	s_branch .LBB3_2
.LBB3_5:
	s_or_b32 exec_lo, exec_lo, s2
	s_wait_storecnt_dscnt 0x0
	s_barrier_signal -1
	s_barrier_wait -1
	s_trap 2
	ds_load_b32 v0, v0
	s_wait_dscnt 0x0
	v_cmp_gt_i32_e32 vcc_lo, 1, v0
	s_cbranch_vccnz .LBB3_13
; %bb.6:
	s_mov_b32 s59, 0
	s_get_pc_i64 s[60:61]
	s_add_nc_u64 s[60:61], s[60:61], _ZN12_GLOBAL__N_17runRingI14__hip_fp8_e4m313FuncPreMulSumIS1_E11ProtoSimpleILi1ELi1ELi0ELi1ELi0ELi0EELi0ELi1ELi0EEEviiP15ncclDevWorkColl@rel64+4
	s_branch .LBB3_8
.LBB3_7:                                ;   in Loop: Header=BB3_8 Depth=1
	s_or_b32 exec_lo, exec_lo, s62
	s_trap 2
	ds_load_b32 v0, v0
	s_add_co_i32 s59, s59, 1
	s_wait_dscnt 0x0
	v_cmp_lt_i32_e32 vcc_lo, s59, v0
	s_cbranch_vccz .LBB3_13
.LBB3_8:                                ; =>This Inner Loop Header: Depth=1
	s_trap 2
	ds_load_b32 v0, v0
	s_cmp_eq_u32 s59, 0
	s_cbranch_scc1 .LBB3_11
; %bb.9:                                ;   in Loop: Header=BB3_8 Depth=1
	s_trap 2
	s_wait_dscnt 0x0
	ds_load_b32 v1, v0
	s_wait_dscnt 0x0
	v_xor_b32_e32 v1, v1, v0
	s_delay_alu instid0(VALU_DEP_1) | instskip(NEXT) | instid1(VALU_DEP_1)
	v_and_b32_e32 v1, 0xff0000, v1
	v_cmp_eq_u32_e32 vcc_lo, 0, v1
	s_cbranch_vccnz .LBB3_11
; %bb.10:                               ;   in Loop: Header=BB3_8 Depth=1
	s_barrier_signal -1
	s_barrier_wait -1
	ds_load_b32 v0, v0
.LBB3_11:                               ;   in Loop: Header=BB3_8 Depth=1
	s_wait_dscnt 0x0
	v_lshrrev_b32_e32 v0, 11, v0
	s_mov_b32 s62, exec_lo
	s_delay_alu instid0(VALU_DEP_1) | instskip(NEXT) | instid1(VALU_DEP_1)
	v_and_b32_e32 v1, 0x1fe0, v0
	v_cmpx_lt_u32_e64 v41, v1
	s_cbranch_execz .LBB3_7
; %bb.12:                               ;   in Loop: Header=BB3_8 Depth=1
	s_mov_b64 s[0:1], src_shared_base
	v_dual_mov_b32 v31, v40 :: v_dual_mov_b32 v0, v41
	v_mov_b32_e32 v3, s1
	s_mov_b64 s[8:9], s[56:57]
	s_mov_b32 s12, s58
	s_swap_pc_i64 s[30:31], s[60:61]
	s_branch .LBB3_7
.LBB3_13:
	s_clause 0x2
	scratch_load_b32 v88, off, s33
	scratch_load_b32 v41, off, s33 offset:4
	scratch_load_b32 v40, off, s33 offset:8
	v_readlane_b32 s30, v42, 0
	v_readlane_b32 s31, v42, 1
	s_mov_b32 s32, s33
	s_wait_xcnt 0x0
	s_or_saveexec_b32 s0, -1
	scratch_load_b32 v42, off, s33 offset:12 ; 4-byte Folded Reload
	s_wait_xcnt 0x0
	s_mov_b32 exec_lo, s0
	s_mov_b32 s33, s63
	s_wait_loadcnt 0x0
	s_set_pc_i64 s[30:31]
.Lfunc_end3:
	.size	_Z53ncclDevFunc_Reduce_RING_SIMPLE_PreMulSum_f8e4m3_0_0_1v, .Lfunc_end3-_Z53ncclDevFunc_Reduce_RING_SIMPLE_PreMulSum_f8e4m3_0_0_1v
                                        ; -- End function
	.set .L_Z53ncclDevFunc_Reduce_RING_SIMPLE_PreMulSum_f8e4m3_0_0_1v.num_vgpr, max(89, .L_ZN12_GLOBAL__N_17runRingI14__hip_fp8_e4m313FuncPreMulSumIS1_E11ProtoSimpleILi1ELi1ELi0ELi1ELi0ELi0EELi0ELi1ELi0EEEviiP15ncclDevWorkColl.num_vgpr)
	.set .L_Z53ncclDevFunc_Reduce_RING_SIMPLE_PreMulSum_f8e4m3_0_0_1v.num_agpr, max(0, .L_ZN12_GLOBAL__N_17runRingI14__hip_fp8_e4m313FuncPreMulSumIS1_E11ProtoSimpleILi1ELi1ELi0ELi1ELi0ELi0EELi0ELi1ELi0EEEviiP15ncclDevWorkColl.num_agpr)
	.set .L_Z53ncclDevFunc_Reduce_RING_SIMPLE_PreMulSum_f8e4m3_0_0_1v.numbered_sgpr, max(64, .L_ZN12_GLOBAL__N_17runRingI14__hip_fp8_e4m313FuncPreMulSumIS1_E11ProtoSimpleILi1ELi1ELi0ELi1ELi0ELi0EELi0ELi1ELi0EEEviiP15ncclDevWorkColl.numbered_sgpr)
	.set .L_Z53ncclDevFunc_Reduce_RING_SIMPLE_PreMulSum_f8e4m3_0_0_1v.num_named_barrier, max(0, .L_ZN12_GLOBAL__N_17runRingI14__hip_fp8_e4m313FuncPreMulSumIS1_E11ProtoSimpleILi1ELi1ELi0ELi1ELi0ELi0EELi0ELi1ELi0EEEviiP15ncclDevWorkColl.num_named_barrier)
	.set .L_Z53ncclDevFunc_Reduce_RING_SIMPLE_PreMulSum_f8e4m3_0_0_1v.private_seg_size, 32+max(.L_ZN12_GLOBAL__N_17runRingI14__hip_fp8_e4m313FuncPreMulSumIS1_E11ProtoSimpleILi1ELi1ELi0ELi1ELi0ELi0EELi0ELi1ELi0EEEviiP15ncclDevWorkColl.private_seg_size)
	.set .L_Z53ncclDevFunc_Reduce_RING_SIMPLE_PreMulSum_f8e4m3_0_0_1v.uses_vcc, or(1, .L_ZN12_GLOBAL__N_17runRingI14__hip_fp8_e4m313FuncPreMulSumIS1_E11ProtoSimpleILi1ELi1ELi0ELi1ELi0ELi0EELi0ELi1ELi0EEEviiP15ncclDevWorkColl.uses_vcc)
	.set .L_Z53ncclDevFunc_Reduce_RING_SIMPLE_PreMulSum_f8e4m3_0_0_1v.uses_flat_scratch, or(1, .L_ZN12_GLOBAL__N_17runRingI14__hip_fp8_e4m313FuncPreMulSumIS1_E11ProtoSimpleILi1ELi1ELi0ELi1ELi0ELi0EELi0ELi1ELi0EEEviiP15ncclDevWorkColl.uses_flat_scratch)
	.set .L_Z53ncclDevFunc_Reduce_RING_SIMPLE_PreMulSum_f8e4m3_0_0_1v.has_dyn_sized_stack, or(0, .L_ZN12_GLOBAL__N_17runRingI14__hip_fp8_e4m313FuncPreMulSumIS1_E11ProtoSimpleILi1ELi1ELi0ELi1ELi0ELi0EELi0ELi1ELi0EEEviiP15ncclDevWorkColl.has_dyn_sized_stack)
	.set .L_Z53ncclDevFunc_Reduce_RING_SIMPLE_PreMulSum_f8e4m3_0_0_1v.has_recursion, or(1, .L_ZN12_GLOBAL__N_17runRingI14__hip_fp8_e4m313FuncPreMulSumIS1_E11ProtoSimpleILi1ELi1ELi0ELi1ELi0ELi0EELi0ELi1ELi0EEEviiP15ncclDevWorkColl.has_recursion)
	.set .L_Z53ncclDevFunc_Reduce_RING_SIMPLE_PreMulSum_f8e4m3_0_0_1v.has_indirect_call, or(0, .L_ZN12_GLOBAL__N_17runRingI14__hip_fp8_e4m313FuncPreMulSumIS1_E11ProtoSimpleILi1ELi1ELi0ELi1ELi0ELi0EELi0ELi1ELi0EEEviiP15ncclDevWorkColl.has_indirect_call)
	.section	.AMDGPU.csdata,"",@progbits
; Function info:
; codeLenInByte = 756
; TotalNumSgprs: 66
; NumVgprs: 120
; ScratchSize: 208
; MemoryBound: 0
	.text
	.p2align	2                               ; -- Begin function _ZN12_GLOBAL__N_17runRingI14__hip_fp8_e4m313FuncPreMulSumIS1_E11ProtoSimpleILi1ELi1ELi0ELi2ELi0ELi0EELi0ELi2ELi0EEEviiP15ncclDevWorkColl
	.type	_ZN12_GLOBAL__N_17runRingI14__hip_fp8_e4m313FuncPreMulSumIS1_E11ProtoSimpleILi1ELi1ELi0ELi2ELi0ELi0EELi0ELi2ELi0EEEviiP15ncclDevWorkColl,@function
_ZN12_GLOBAL__N_17runRingI14__hip_fp8_e4m313FuncPreMulSumIS1_E11ProtoSimpleILi1ELi1ELi0ELi2ELi0ELi0EELi0ELi2ELi0EEEviiP15ncclDevWorkColl: ; @_ZN12_GLOBAL__N_17runRingI14__hip_fp8_e4m313FuncPreMulSumIS1_E11ProtoSimpleILi1ELi1ELi0ELi2ELi0ELi0EELi0ELi2ELi0EEEviiP15ncclDevWorkColl
; %bb.0:
	s_wait_loadcnt_dscnt 0x0
	s_wait_kmcnt 0x0
	s_mov_b32 s47, s33
	s_mov_b32 s33, s32
	s_or_saveexec_b32 s0, -1
	scratch_store_b32 off, v127, s33 offset:208 ; 4-byte Folded Spill
	s_wait_xcnt 0x0
	s_mov_b32 exec_lo, s0
	s_addk_co_i32 s32, 0xe0
	s_clause 0x2e
	scratch_store_b32 off, v40, s33 offset:184
	; meta instruction
	scratch_store_b32 off, v41, s33 offset:180
	; meta instruction
	;; [unrolled: 2-line block ×46, first 2 shown]
	scratch_store_b32 off, v126, s33
	v_writelane_b32 v127, s30, 0
	v_writelane_b32 v127, s31, 1
	s_trap 2
	ds_load_b64 v[14:15], v0
	ds_load_b32 v9, v0
	flat_load_b64 v[6:7], v[2:3]
                                        ; implicit-def: $vgpr28_vgpr29
                                        ; implicit-def: $vgpr4_vgpr5
                                        ; implicit-def: $vgpr18_vgpr19
	s_wait_dscnt 0x2
	v_readfirstlane_b32 s0, v14
	v_readfirstlane_b32 s1, v15
	flat_load_u16 v17, v[2:3] offset:8
	flat_load_b32 v25, v15, s[0:1] offset:-4 scale_offset
	s_wait_xcnt 0x0
	s_mov_b32 s0, exec_lo
	s_wait_loadcnt_dscnt 0x202
	v_and_b32_e32 v8, 0xff, v6
	v_mov_b32_e32 v16, v7
	s_delay_alu instid0(VALU_DEP_2)
	v_cmpx_ne_u32_e64 v9, v8
	s_xor_b32 s0, exec_lo, s0
	s_cbranch_execz .LBB4_6
; %bb.1:
	v_bfe_u32 v10, v6, 8, 8
	v_not_b32_e32 v8, v8
	s_mov_b32 s1, exec_lo
                                        ; implicit-def: $vgpr28_vgpr29
                                        ; implicit-def: $vgpr4_vgpr5
                                        ; implicit-def: $vgpr18_vgpr19
	s_delay_alu instid0(VALU_DEP_2)
	v_cmpx_ne_u32_e64 v9, v10
	s_xor_b32 s1, exec_lo, s1
	s_cbranch_execz .LBB4_3
; %bb.2:
	s_clause 0x1
	flat_load_b128 v[4:7], v[2:3] offset:72
	flat_load_b64 v[10:11], v[2:3] offset:96
	v_add_nc_u32_e32 v8, v9, v8
	s_wait_loadcnt_dscnt 0x101
	s_delay_alu instid0(VALU_DEP_1) | instskip(SKIP_3) | instid1(VALU_DEP_3)
	v_mad_nc_u64_u32 v[18:19], v6, v8, v[4:5]
	v_ashrrev_i32_e32 v5, 31, v8
	s_wait_loadcnt_dscnt 0x0
	v_lshrrev_b64 v[28:29], 12, v[10:11]
                                        ; implicit-def: $vgpr10
	v_mad_u32 v4, v7, v8, v19
                                        ; implicit-def: $vgpr8
	s_delay_alu instid0(VALU_DEP_1)
	v_mad_u32 v19, v6, v5, v4
	v_mov_b64_e32 v[4:5], v[6:7]
.LBB4_3:
	s_wait_xcnt 0x0
	s_and_not1_saveexec_b32 s1, s1
	s_cbranch_execz .LBB4_5
; %bb.4:
	s_clause 0x1
	flat_load_b128 v[18:21], v[2:3] offset:72
	flat_load_b128 v[4:7], v[2:3] offset:88
	s_wait_loadcnt_dscnt 0x0
	v_dual_add_nc_u32 v6, v10, v8 :: v_dual_lshrrev_b32 v28, 1, v7
	s_delay_alu instid0(VALU_DEP_1) | instskip(NEXT) | instid1(VALU_DEP_1)
	v_mad_nc_u64_u32 v[18:19], v20, v6, v[18:19]
	v_mad_u32 v8, v21, v6, v19
	v_ashrrev_i32_e32 v6, 31, v6
	s_delay_alu instid0(VALU_DEP_1)
	v_mad_u32 v19, v20, v6, v8
.LBB4_5:
	s_wait_xcnt 0x0
	s_or_b32 exec_lo, exec_lo, s1
.LBB4_6:
	s_and_not1_saveexec_b32 s0, s0
	s_cbranch_execz .LBB4_8
; %bb.7:
	s_clause 0x1
	flat_load_b64 v[6:7], v[2:3] offset:96
	flat_load_b64 v[4:5], v[2:3] offset:72
	v_mov_b64_e32 v[18:19], 0
	s_wait_loadcnt_dscnt 0x101
	v_lshlrev_b64_e32 v[28:29], 9, v[6:7]
.LBB4_8:
	s_wait_xcnt 0x0
	s_or_b32 exec_lo, exec_lo, s0
	s_trap 2
	ds_load_b64 v[6:7], v0
	s_mov_b32 s1, 0
	s_mov_b32 s2, exec_lo
	s_wait_dscnt 0x0
	v_cmp_ne_u32_e32 vcc_lo, -1, v6
	v_cndmask_b32_e64 v50, 0, 1, vcc_lo
	v_cmp_ne_u32_e32 vcc_lo, -1, v7
	s_delay_alu instid0(VALU_DEP_2) | instskip(NEXT) | instid1(VALU_DEP_1)
	v_add_co_ci_u32_e64 v6, null, 0, v50, vcc_lo
	v_lshlrev_b32_e32 v7, 1, v6
	s_delay_alu instid0(VALU_DEP_1)
	v_cmpx_le_u32_e64 v7, v1
	s_xor_b32 s18, exec_lo, s2
	s_cbranch_execnz .LBB4_9
; %bb.10438:
	s_add_pc_i64 .LBB4_10435-.Lpost_addpc2
.Lpost_addpc2:
.LBB4_9:
	s_clause 0x1
	flat_load_b128 v[10:13], v[2:3] offset:16
	flat_load_b64 v[34:35], v[2:3] offset:104
	s_trap 2
	s_load_b32 s0, s[8:9], 0x0
	s_bfe_u32 s2, ttmp6, 0x4000c
	s_and_b32 s3, ttmp6, 15
	s_add_co_i32 s2, s2, 1
	s_getreg_b32 s4, hwreg(HW_REG_IB_STS2, 6, 4)
	s_mul_i32 s2, ttmp9, s2
	v_dual_mov_b32 v2, 0 :: v_dual_mov_b32 v112, 4
	s_add_co_i32 s3, s3, s2
	s_cmp_eq_u32 s4, 0
	ds_load_b32 v3, v0
	s_cselect_b32 s2, ttmp9, s3
	s_wait_kmcnt 0x0
	s_cmp_lt_u32 s2, s0
	s_cselect_b32 s0, 12, 18
	s_delay_alu instid0(SALU_CYCLE_1)
	s_add_nc_u64 s[0:1], s[8:9], s[0:1]
	global_load_u16 v2, v2, s[0:1]
	s_wait_xcnt 0x0
	s_mov_b32 s1, exec_lo
	s_wait_dscnt 0x0
	v_readfirstlane_b32 s19, v3
	v_cmpx_ge_u32_e64 v0, v50
	s_cbranch_execz .LBB4_19
; %bb.10:
	v_cmp_ge_u32_e64 s0, v0, v6
                                        ; implicit-def: $vgpr112
	s_and_saveexec_b32 s2, s0
	s_delay_alu instid0(SALU_CYCLE_1)
	s_xor_b32 s0, exec_lo, s2
	s_cbranch_execz .LBB4_16
; %bb.11:
	v_cndmask_b32_e64 v3, 0, 1, vcc_lo
	s_mov_b32 s2, exec_lo
	s_delay_alu instid0(VALU_DEP_1) | instskip(NEXT) | instid1(VALU_DEP_1)
	v_sub_nc_u32_e32 v3, v1, v3
	v_cmpx_ge_u32_e64 v0, v3
	s_xor_b32 s2, exec_lo, s2
; %bb.12:
                                        ; implicit-def: $vgpr6
; %bb.13:
	s_delay_alu instid0(SALU_CYCLE_1)
	s_or_saveexec_b32 s2, s2
	v_mov_b32_e32 v112, 16
	s_xor_b32 exec_lo, exec_lo, s2
; %bb.14:
	v_sub_nc_u32_e32 v3, v1, v6
	s_delay_alu instid0(VALU_DEP_1)
	v_cmp_lt_i32_e32 vcc_lo, v0, v3
	v_cndmask_b32_e64 v112, 32, 0, vcc_lo
; %bb.15:
	s_or_b32 exec_lo, exec_lo, s2
.LBB4_16:
	s_and_not1_saveexec_b32 s0, s0
; %bb.17:
	v_mov_b32_e32 v112, 8
; %bb.18:
	s_or_b32 exec_lo, exec_lo, s0
.LBB4_19:
	s_delay_alu instid0(SALU_CYCLE_1) | instskip(NEXT) | instid1(VALU_DEP_1)
	s_or_b32 exec_lo, exec_lo, s1
	v_and_b32_e32 v3, 36, v112
	s_delay_alu instid0(VALU_DEP_1)
	v_cmp_ne_u32_e32 vcc_lo, 0, v3
	v_mov_b32_e32 v3, -1
	s_and_saveexec_b32 s0, vcc_lo
	s_cbranch_execz .LBB4_21
; %bb.20:
	s_trap 2
	ds_load_b32 v3, v0
.LBB4_21:
	s_or_b32 exec_lo, exec_lo, s0
	v_and_b32_e32 v6, 24, v112
	s_mov_b32 s1, exec_lo
	s_delay_alu instid0(VALU_DEP_1)
	v_cmpx_ne_u32_e32 0, v6
	s_cbranch_execz .LBB4_23
; %bb.22:
	s_trap 2
	s_wait_dscnt 0x0
	ds_load_b32 v3, v0
.LBB4_23:
	s_or_b32 exec_lo, exec_lo, s1
	s_wait_loadcnt 0x4
	v_lshrrev_b64 v[6:7], 31, v[16:17]
	v_mov_b64_e32 v[94:95], 0
                                        ; implicit-def: $vgpr24
                                        ; implicit-def: $vgpr32_vgpr33
                                        ; implicit-def: $vgpr26_vgpr27
                                        ; implicit-def: $vgpr22_vgpr23
	s_delay_alu instid0(VALU_DEP_2) | instskip(SKIP_1) | instid1(VALU_DEP_2)
	v_and_b32_e32 v8, 3, v6
	v_mov_b64_e32 v[6:7], 0
	v_and_b32_e32 v15, 0xffff, v8
                                        ; implicit-def: $vgpr8_vgpr9
                                        ; kill: killed $vgpr8_vgpr9
	s_and_saveexec_b32 s0, vcc_lo
	s_cbranch_execz .LBB4_33
; %bb.24:
	s_trap 2
	ds_load_b64 v[6:7], v0
	s_wait_dscnt 0x0
	v_readfirstlane_b32 s2, v6
	v_readfirstlane_b32 s3, v7
	flat_load_b64 v[6:7], v3, s[2:3] scale_offset
	s_wait_loadcnt_dscnt 0x0
	v_mad_nc_u64_u32 v[36:37], 0xa8, v15, v[6:7]
	flat_load_b32 v6, v[36:37] offset:640
	s_wait_loadcnt_dscnt 0x0
	v_cmp_eq_u32_e32 vcc_lo, 1, v6
                                        ; implicit-def: $vgpr6_vgpr7
                                        ; kill: killed $vgpr6_vgpr7
	s_wait_xcnt 0x0
	s_and_saveexec_b32 s1, vcc_lo
	s_cbranch_execz .LBB4_26
; %bb.25:
	flat_load_b64 v[8:9], v[36:37] offset:648
	v_or_b32_e32 v112, 0x2000, v112
	s_wait_loadcnt_dscnt 0x0
	flat_load_b64 v[6:7], v[8:9]
	s_trap 2
	scratch_store_b64 off, v[8:9], s33 offset:188 ; 8-byte Folded Spill
	s_wait_loadcnt_dscnt 0x0
	ds_store_b64 v0, v[6:7]
	flat_load_b64 v[6:7], v[8:9] offset:8
	s_wait_loadcnt_dscnt 0x0
	ds_store_b64 v0, v[6:7]
	flat_load_b64 v[6:7], v[8:9] offset:16
	s_wait_loadcnt_dscnt 0x0
	ds_store_b64 v0, v[6:7]
.LBB4_26:
	s_wait_xcnt 0x0
	s_or_b32 exec_lo, exec_lo, s1
	flat_load_b64 v[8:9], v[36:37] offset:608
	v_and_b32_e32 v6, 32, v112
	s_mov_b32 s1, exec_lo
                                        ; implicit-def: $vgpr22_vgpr23
	s_wait_xcnt 0x0
	s_delay_alu instid0(VALU_DEP_1)
	v_cmpx_ne_u32_e32 0, v6
	s_cbranch_execz .LBB4_28
; %bb.27:
	flat_load_b64 v[22:23], v[36:37] offset:560
	global_wb scope:SCOPE_SYS
	s_wait_storecnt 0x0
	s_wait_xcnt 0x0
	s_wait_loadcnt_dscnt 0x0
	flat_store_b64 v[22:23], v[8:9] scope:SCOPE_SYS
.LBB4_28:
	s_wait_xcnt 0x0
	s_or_b32 exec_lo, exec_lo, s1
	v_add_nc_u64_e32 v[94:95], 0x1f8, v[36:37]
	v_mov_b64_e32 v[6:7], 0
	v_and_b32_e32 v17, 4, v112
	s_mov_b32 s1, exec_lo
                                        ; implicit-def: $vgpr24
                                        ; implicit-def: $vgpr32_vgpr33
                                        ; implicit-def: $vgpr26_vgpr27
	s_delay_alu instid0(VALU_DEP_1)
	v_cmpx_ne_u32_e32 0, v17
	s_cbranch_execz .LBB4_32
; %bb.29:
	v_and_b32_e32 v6, 0x800, v112
	s_mov_b32 s2, exec_lo
	s_delay_alu instid0(VALU_DEP_1)
	v_cmpx_eq_u32_e32 0, v6
	s_cbranch_execz .LBB4_31
; %bb.30:
	s_trap 2
	ds_store_b64 v0, v[94:95]
.LBB4_31:
	s_or_b32 exec_lo, exec_lo, s2
	flat_load_b64 v[22:23], v[36:37] offset:552
	v_or_b32_e32 v17, 0x100, v112
	s_wait_loadcnt_dscnt 0x0
	flat_load_b64 v[32:33], v[22:23] scope:SCOPE_SYS
	s_clause 0x2
	flat_load_b64 v[6:7], v[36:37] offset:600
	flat_load_b32 v24, v[36:37] offset:576
	flat_load_b64 v[26:27], v[36:37] offset:520
	s_wait_loadcnt_dscnt 0x202
	v_cmp_eq_u64_e32 vcc_lo, 0, v[6:7]
	v_cndmask_b32_e32 v112, v17, v112, vcc_lo
.LBB4_32:
	s_wait_xcnt 0x0
	s_or_b32 exec_lo, exec_lo, s1
.LBB4_33:
	s_delay_alu instid0(SALU_CYCLE_1) | instskip(NEXT) | instid1(VALU_DEP_1)
	s_or_b32 exec_lo, exec_lo, s0
	v_and_b32_e32 v17, 24, v112
	s_mov_b32 s0, exec_lo
                                        ; implicit-def: $vgpr36_vgpr37
	s_delay_alu instid0(VALU_DEP_1)
	v_cmpx_ne_u32_e32 0, v17
	s_cbranch_execz .LBB4_41
; %bb.34:
	s_trap 2
	ds_load_b64 v[6:7], v0
	s_mov_b32 s1, exec_lo
                                        ; implicit-def: $vgpr36_vgpr37
	s_wait_dscnt 0x0
	v_readfirstlane_b32 s2, v6
	v_readfirstlane_b32 s3, v7
	flat_load_b64 v[6:7], v3, s[2:3] scale_offset
	s_wait_xcnt 0x0
	v_or_b32_e32 v3, 0x100, v112
	s_wait_loadcnt_dscnt 0x0
	v_mad_nc_u64_u32 v[94:95], 0xa8, v15, v[6:7]
	flat_load_b128 v[6:9], v[94:95] offset:96
	s_wait_loadcnt_dscnt 0x0
	v_cmp_eq_u64_e32 vcc_lo, 0, v[6:7]
	v_cndmask_b32_e32 v112, v3, v112, vcc_lo
	s_delay_alu instid0(VALU_DEP_1) | instskip(SKIP_1) | instid1(VALU_DEP_1)
	v_and_b32_e32 v3, 16, v112
	s_wait_xcnt 0x0
	v_cmpx_ne_u32_e32 0, v3
	s_cbranch_execz .LBB4_36
; %bb.35:
	s_clause 0x2
	flat_load_b64 v[22:23], v[94:95] offset:48
	flat_load_b64 v[36:37], v[94:95] offset:120
	;; [unrolled: 1-line block ×3, first 2 shown]
.LBB4_36:
	s_wait_xcnt 0x0
	s_or_b32 exec_lo, exec_lo, s1
	v_and_b32_e32 v3, 8, v112
	s_mov_b32 s1, exec_lo
	s_delay_alu instid0(VALU_DEP_1)
	v_cmpx_ne_u32_e32 0, v3
	s_cbranch_execz .LBB4_40
; %bb.37:
	v_and_b32_e32 v3, 0x800, v112
	s_mov_b32 s2, exec_lo
	s_delay_alu instid0(VALU_DEP_1)
	v_cmpx_eq_u32_e32 0, v3
	s_cbranch_execz .LBB4_39
; %bb.38:
	s_trap 2
	ds_store_b64 v0, v[94:95]
.LBB4_39:
	s_or_b32 exec_lo, exec_lo, s2
	s_wait_loadcnt_dscnt 0x202
	flat_load_b64 v[22:23], v[94:95] offset:56
	s_wait_loadcnt_dscnt 0x0
	flat_load_b64 v[32:33], v[22:23] scope:SCOPE_SYS
	s_clause 0x1
	flat_load_b32 v24, v[94:95] offset:72
	flat_load_b64 v[26:27], v[94:95] offset:16
.LBB4_40:
	s_wait_xcnt 0x0
	s_or_b32 exec_lo, exec_lo, s1
.LBB4_41:
	s_delay_alu instid0(SALU_CYCLE_1)
	s_or_b32 exec_lo, exec_lo, s0
	v_cmp_eq_u32_e64 s0, 0, v0
	s_and_saveexec_b32 s1, s0
	s_cbranch_execz .LBB4_43
; %bb.42:
	v_mov_b64_e32 v[38:39], 0
	s_wait_loadcnt 0x2
	ds_store_2addr_b64 v0, v[12:13], v[10:11] offset1:1
	s_trap 2
	ds_store_b64 v0, v[38:39]
	s_wait_loadcnt 0x1
	ds_store_b64 v0, v[34:35]
.LBB4_43:
	s_or_b32 exec_lo, exec_lo, s1
	s_wait_dscnt 0x0
	v_bfe_u32 v3, v16, 1, 30
	s_wait_loadcnt 0x1
	v_and_b32_e32 v34, 0x3ffffe00, v28
	v_mov_b32_e32 v35, 0
	s_wait_loadcnt 0x0
	v_and_b32_e32 v10, 0xffff, v2
                                        ; implicit-def: $vgpr28_vgpr29
	s_mov_b32 s1, exec_lo
	v_cmpx_ne_u32_e64 v25, v3
	s_xor_b32 s20, exec_lo, s1
	s_cbranch_execnz .LBB4_44
; %bb.10440:
	s_add_pc_i64 .LBB4_7849-.Lpost_addpc3
.Lpost_addpc3:
.LBB4_44:
                                        ; implicit-def: $vgpr28_vgpr29
	s_mov_b32 s1, exec_lo
	v_cmpx_ne_u32_e64 v14, v3
	s_xor_b32 s13, exec_lo, s1
	s_cbranch_execz .LBB4_3952
; %bb.45:
	v_mov_b64_e32 v[28:29], 0
	s_mov_b32 s21, exec_lo
	v_cmpx_ne_u64_e32 0, v[4:5]
	s_cbranch_execz .LBB4_3951
; %bb.46:
	v_dual_ashrrev_i32 v25, 31, v24 :: v_dual_bitop2_b32 v2, 31, v31 bitop3:0x40
	v_dual_lshrrev_b32 v114, 5, v0 :: v_dual_mov_b32 v104, v10
	v_dual_mov_b32 v39, 0 :: v_dual_bitop2_b32 v115, 31, v0 bitop3:0x40
	s_delay_alu instid0(VALU_DEP_3) | instskip(NEXT) | instid1(VALU_DEP_3)
	v_cmp_eq_u32_e64 s4, 0, v2
	v_dual_lshlrev_b32 v2, 10, v114 :: v_dual_lshrrev_b32 v48, 5, v1
	s_ashr_i32 s2, s19, 31
	v_cmp_eq_u32_e32 vcc_lo, 32, v1
	s_lshr_b32 s2, s2, 24
	v_mov_b64_e32 v[66:67], 0
	v_cmp_eq_u64_e64 s7, 0, v[36:37]
	v_mov_b64_e32 v[68:69], 0
	v_mov_b64_e32 v[28:29], 0
	v_cmp_ge_u32_e64 s1, v0, v1
	s_add_co_i32 s10, s19, s2
	v_cmp_ne_u32_e64 s2, 32, v1
	v_cmp_ne_u32_e64 s3, v1, v10
	v_dual_mov_b32 v49, v39 :: v_dual_mov_b32 v51, v39
	v_cmp_le_u32_e64 s5, v115, v50
	v_cmp_lt_u32_e64 s6, v115, v50
	v_lshl_or_b32 v50, v115, 4, v2
	v_dual_mov_b32 v53, v39 :: v_dual_lshlrev_b32 v52, 10, v48
	v_dual_mov_b32 v55, v39 :: v_dual_lshlrev_b32 v54, 9, v48
	v_and_b32_e32 v64, 0x1fe0, v1
	v_dual_mov_b32 v65, v39 :: v_dual_mov_b32 v116, 1
	v_mov_b32_e32 v117, 0x90
	v_bfrev_b32_e32 v118, 1
	s_mov_b64 s[14:15], 0xffffffffffffff
	s_mov_b64 s[16:17], 0x100000000000000
	s_ashr_i32 s23, s10, 8
	s_mov_b32 s22, 0
	s_xor_b32 s24, vcc_lo, -1
	s_trap 2
	s_branch .LBB4_49
.LBB4_47:                               ;   in Loop: Header=BB4_49 Depth=1
	s_wait_xcnt 0x0
	s_or_b32 exec_lo, exec_lo, s10
.LBB4_48:                               ;   in Loop: Header=BB4_49 Depth=1
	s_delay_alu instid0(SALU_CYCLE_1) | instskip(SKIP_1) | instid1(VALU_DEP_1)
	s_or_b32 exec_lo, exec_lo, s11
	v_add_nc_u64_e32 v[68:69], v[68:69], v[34:35]
	v_cmp_ge_u64_e32 vcc_lo, v[68:69], v[4:5]
	s_or_b32 s22, vcc_lo, s22
	s_delay_alu instid0(SALU_CYCLE_1)
	s_and_not1_b32 exec_lo, exec_lo, s22
	s_cbranch_execz .LBB4_3950
.LBB4_49:                               ; =>This Loop Header: Depth=1
                                        ;     Child Loop BB4_57 Depth 2
                                        ;     Child Loop BB4_86 Depth 2
                                        ;     Child Loop BB4_105 Depth 2
                                        ;     Child Loop BB4_128 Depth 2
                                        ;     Child Loop BB4_1885 Depth 2
                                        ;     Child Loop BB4_2771 Depth 2
                                        ;     Child Loop BB4_3804 Depth 2
                                        ;     Child Loop BB4_3880 Depth 2
                                        ;     Child Loop BB4_3904 Depth 2
                                        ;     Child Loop BB4_3933 Depth 2
	v_sub_nc_u64_e32 v[2:3], v[4:5], v[68:69]
	s_delay_alu instid0(VALU_DEP_1) | instskip(NEXT) | instid1(VALU_DEP_1)
	v_min_u64 v[70:71], v[34:35], v[2:3]
	v_add_nc_u32_e32 v2, 15, v70
	s_delay_alu instid0(VALU_DEP_2) | instskip(NEXT) | instid1(VALU_DEP_2)
	v_cmp_eq_u64_e32 vcc_lo, 0, v[70:71]
	v_and_b32_e32 v2, 0x7ffffff0, v2
	s_or_b32 s25, s1, vcc_lo
	s_delay_alu instid0(SALU_CYCLE_1) | instskip(NEXT) | instid1(VALU_DEP_1)
	s_xor_b32 s10, s25, -1
	v_dual_mov_b32 v2, v39 :: v_dual_max_i32 v80, s23, v2
	s_and_saveexec_b32 s26, s10
	s_cbranch_execz .LBB4_3898
; %bb.50:                               ;   in Loop: Header=BB4_49 Depth=1
	s_and_saveexec_b32 s10, s0
	s_cbranch_execz .LBB4_52
; %bb.51:                               ;   in Loop: Header=BB4_49 Depth=1
	s_trap 2
	ds_load_b64 v[2:3], v0
	s_wait_dscnt 0x0
	v_add_nc_u64_e32 v[2:3], v[2:3], v[18:19]
	s_delay_alu instid0(VALU_DEP_1)
	v_add_nc_u64_e32 v[2:3], v[2:3], v[68:69]
	ds_store_b64 v0, v[2:3]
	ds_store_b64 v0, v[66:67]
.LBB4_52:                               ;   in Loop: Header=BB4_49 Depth=1
	s_or_b32 exec_lo, exec_lo, s10
	v_and_b32_e32 v2, 12, v112
	v_min_u32_e32 v80, v80, v70
	s_mov_b32 s11, exec_lo
	s_delay_alu instid0(VALU_DEP_2)
	v_cmpx_ne_u32_e32 0, v2
	s_cbranch_execz .LBB4_78
; %bb.53:                               ;   in Loop: Header=BB4_49 Depth=1
	v_and_b32_e32 v38, 8, v112
	v_add_nc_u64_e32 v[10:11], 1, v[8:9]
	s_mov_b32 s12, exec_lo
	s_wait_loadcnt 0x0
	s_delay_alu instid0(VALU_DEP_2) | instskip(NEXT) | instid1(VALU_DEP_1)
	v_add_nc_u64_e32 v[2:3], v[32:33], v[38:39]
	v_cmpx_lt_u64_e64 v[2:3], v[10:11]
	s_cbranch_execz .LBB4_65
; %bb.54:                               ;   in Loop: Header=BB4_49 Depth=1
	v_and_b32_e32 v2, 64, v112
	s_mov_b32 s27, 0
	s_mov_b32 s41, 0
                                        ; implicit-def: $sgpr28
                                        ; implicit-def: $sgpr29
                                        ; implicit-def: $sgpr40
	s_delay_alu instid0(VALU_DEP_1)
	v_cmp_eq_u32_e32 vcc_lo, 0, v2
	s_branch .LBB4_57
.LBB4_55:                               ;   in Loop: Header=BB4_57 Depth=2
	s_or_b32 exec_lo, exec_lo, s46
	s_delay_alu instid0(SALU_CYCLE_1)
	s_and_not1_b32 s10, s40, exec_lo
	s_and_b32 s40, s44, exec_lo
	s_and_not1_b32 s29, s29, exec_lo
	s_and_b32 s43, s43, exec_lo
	s_or_b32 s40, s10, s40
	s_or_b32 s29, s29, s43
.LBB4_56:                               ;   in Loop: Header=BB4_57 Depth=2
	s_or_b32 exec_lo, exec_lo, s42
	s_delay_alu instid0(SALU_CYCLE_1) | instskip(NEXT) | instid1(SALU_CYCLE_1)
	s_and_b32 s10, exec_lo, s29
	s_or_b32 s27, s10, s27
	s_and_not1_b32 s10, s28, exec_lo
	s_and_b32 s28, s40, exec_lo
	s_delay_alu instid0(SALU_CYCLE_1)
	s_or_b32 s28, s10, s28
	s_and_not1_b32 exec_lo, exec_lo, s27
	s_cbranch_execz .LBB4_62
.LBB4_57:                               ;   Parent Loop BB4_49 Depth=1
                                        ; =>  This Inner Loop Header: Depth=2
	s_sleep 1
	s_wait_loadcnt_dscnt 0x0
	flat_load_b64 v[32:33], v[22:23] scope:SCOPE_SYS
	s_or_b32 s40, s40, exec_lo
	s_or_b32 s29, s29, exec_lo
                                        ; implicit-def: $vgpr2
	s_wait_xcnt 0x0
	s_and_saveexec_b32 s42, vcc_lo
	s_cbranch_execz .LBB4_56
; %bb.58:                               ;   in Loop: Header=BB4_57 Depth=2
	s_cmp_lt_i32 s41, 0x270f
	s_mov_b32 s43, -1
	s_cselect_b32 s45, -1, 0
	s_cmp_gt_i32 s41, 0x270e
	s_cbranch_scc0 .LBB4_60
; %bb.59:                               ;   in Loop: Header=BB4_57 Depth=2
	s_trap 2
	ds_load_b64 v[2:3], v0
	s_and_not1_b32 s41, s45, exec_lo
	s_mov_b32 s44, 0
	s_wait_storecnt 0x0
	s_wait_loadcnt_dscnt 0x0
	flat_load_b32 v2, v[2:3] scope:SCOPE_SYS
	s_wait_loadcnt_dscnt 0x0
	global_inv scope:SCOPE_SYS
	v_cmp_eq_u32_e64 s10, 0, v2
	s_and_b32 s10, s10, exec_lo
	s_delay_alu instid0(SALU_CYCLE_1)
	s_or_b32 s45, s41, s10
	s_mov_b32 s41, 0
	s_and_saveexec_b32 s46, s45
	s_cbranch_execz .LBB4_55
	s_branch .LBB4_61
.LBB4_60:                               ;   in Loop: Header=BB4_57 Depth=2
	s_add_co_i32 s41, s41, 1
	s_mov_b32 s44, -1
                                        ; implicit-def: $vgpr2
	s_and_saveexec_b32 s46, s45
	s_cbranch_execz .LBB4_55
.LBB4_61:                               ;   in Loop: Header=BB4_57 Depth=2
	s_wait_loadcnt_dscnt 0x0
	v_add_nc_u64_e32 v[12:13], v[32:33], v[38:39]
	s_or_b32 s44, s44, exec_lo
	s_delay_alu instid0(VALU_DEP_1)
	v_cmp_ge_u64_e64 s10, v[12:13], v[10:11]
	s_or_not1_b32 s43, s10, exec_lo
	s_branch .LBB4_55
.LBB4_62:                               ;   in Loop: Header=BB4_49 Depth=1
	s_or_b32 exec_lo, exec_lo, s27
	s_xor_b32 s10, s28, -1
	s_delay_alu instid0(SALU_CYCLE_1) | instskip(NEXT) | instid1(SALU_CYCLE_1)
	s_and_saveexec_b32 s27, s10
	s_xor_b32 s10, exec_lo, s27
	s_cbranch_execz .LBB4_64
; %bb.63:                               ;   in Loop: Header=BB4_49 Depth=1
	v_or_b32_e32 v112, 64, v112
	s_wait_storecnt 0x0
	s_wait_loadcnt_dscnt 0x0
	ds_store_b32 v0, v2
	s_trap 2
.LBB4_64:                               ;   in Loop: Header=BB4_49 Depth=1
	s_or_b32 exec_lo, exec_lo, s10
.LBB4_65:                               ;   in Loop: Header=BB4_49 Depth=1
	s_delay_alu instid0(SALU_CYCLE_1) | instskip(SKIP_4) | instid1(VALU_DEP_2)
	s_or_b32 exec_lo, exec_lo, s12
	v_and_b32_e32 v2, 0x108, v112
	v_and_b32_e32 v8, 7, v8
	s_mov_b32 s10, exec_lo
	;;#ASMSTART
	s_wakeup
	;;#ASMEND
	v_cmpx_ne_u32_e32 0x108, v2
	s_xor_b32 s10, exec_lo, s10
; %bb.66:                               ;   in Loop: Header=BB4_49 Depth=1
	v_mov_b32_e32 v9, v39
; %bb.67:                               ;   in Loop: Header=BB4_49 Depth=1
	s_and_not1_saveexec_b32 s10, s10
	s_cbranch_execz .LBB4_69
; %bb.68:                               ;   in Loop: Header=BB4_49 Depth=1
	v_mad_nc_u64_u32 v[2:3], v8, 24, v[6:7]
	v_dual_mov_b32 v81, v39 :: v_dual_mov_b32 v9, v39
	flat_store_b64 v[2:3], v[80:81] offset:8
.LBB4_69:                               ;   in Loop: Header=BB4_49 Depth=1
	s_wait_xcnt 0x0
	s_or_b32 exec_lo, exec_lo, s10
	v_and_b32_e32 v2, 0x100, v112
	s_mov_b32 s10, -1
	s_mov_b32 s12, exec_lo
                                        ; implicit-def: $vgpr12_vgpr13
	s_delay_alu instid0(VALU_DEP_1)
	v_cmpx_ne_u32_e32 0, v2
	s_cbranch_execz .LBB4_73
; %bb.70:                               ;   in Loop: Header=BB4_49 Depth=1
	v_mad_nc_u64_u32 v[14:15], v8, 24, v[6:7]
	s_mov_b32 s27, exec_lo
                                        ; implicit-def: $vgpr12_vgpr13
	s_delay_alu instid0(VALU_DEP_1)
	v_mad_u32 v15, v9, 24, v15
	flat_load_b32 v2, v[14:15]
	s_wait_loadcnt_dscnt 0x0
	v_cmp_ne_u32_e32 vcc_lo, 1, v2
	s_wait_xcnt 0x0
	v_cmpx_eq_u32_e32 1, v2
	s_cbranch_execz .LBB4_72
; %bb.71:                               ;   in Loop: Header=BB4_49 Depth=1
	flat_load_b32 v12, v[14:15] offset:4 scope:SCOPE_SYS
	s_wait_loadcnt_dscnt 0x0
	v_ashrrev_i32_e32 v13, 31, v12
.LBB4_72:                               ;   in Loop: Header=BB4_49 Depth=1
	s_wait_xcnt 0x0
	s_or_b32 exec_lo, exec_lo, s27
	s_delay_alu instid0(SALU_CYCLE_1)
	s_or_not1_b32 s10, vcc_lo, exec_lo
.LBB4_73:                               ;   in Loop: Header=BB4_49 Depth=1
	s_or_b32 exec_lo, exec_lo, s12
	s_and_saveexec_b32 s12, s10
; %bb.74:                               ;   in Loop: Header=BB4_49 Depth=1
	v_mul_u64_e32 v[12:13], v[8:9], v[24:25]
; %bb.75:                               ;   in Loop: Header=BB4_49 Depth=1
	s_or_b32 exec_lo, exec_lo, s12
	v_cmp_eq_u32_e32 vcc_lo, 0, v38
	s_delay_alu instid0(VALU_DEP_2) | instskip(SKIP_3) | instid1(VALU_DEP_1)
	v_add_nc_u64_e32 v[2:3], v[26:27], v[12:13]
	v_and_b32_e32 v9, 0x2000, v112
	s_mov_b32 s10, exec_lo
	v_cndmask_b32_e32 v8, 0xc8, v117, vcc_lo
	v_add_nc_u32_e32 v8, v0, v8
	ds_store_b64 v8, v[2:3] offset:584
	v_cmpx_ne_u32_e32 0, v9
	s_cbranch_execz .LBB4_77
; %bb.76:                               ;   in Loop: Header=BB4_49 Depth=1
	ds_load_b64 v[2:3], v0 offset:872
	s_wait_dscnt 0x0
	v_add_nc_u64_e32 v[2:3], 1, v[2:3]
	ds_store_b64 v0, v[2:3] offset:872
.LBB4_77:                               ;   in Loop: Header=BB4_49 Depth=1
	s_or_b32 exec_lo, exec_lo, s10
	v_mov_b64_e32 v[8:9], v[10:11]
.LBB4_78:                               ;   in Loop: Header=BB4_49 Depth=1
	s_or_b32 exec_lo, exec_lo, s11
	s_and_saveexec_b32 s10, s2
	s_cbranch_execz .LBB4_97
; %bb.79:                               ;   in Loop: Header=BB4_49 Depth=1
	s_and_saveexec_b32 s11, s3
	s_delay_alu instid0(SALU_CYCLE_1)
	s_xor_b32 s11, exec_lo, s11
	s_cbranch_execz .LBB4_94
; %bb.80:                               ;   in Loop: Header=BB4_49 Depth=1
	s_and_saveexec_b32 s12, s4
	s_cbranch_execz .LBB4_93
; %bb.81:                               ;   in Loop: Header=BB4_49 Depth=1
	s_mov_b32 s28, exec_lo
	s_mov_b32 s27, exec_lo
	v_mbcnt_lo_u32_b32 v2, s28, 0
	global_wb scope:SCOPE_DEV
	s_wait_storecnt 0x0
	s_wait_loadcnt_dscnt 0x0
	global_inv scope:SCOPE_DEV
	v_cmpx_eq_u32_e32 0, v2
	s_cbranch_execz .LBB4_83
; %bb.82:                               ;   in Loop: Header=BB4_49 Depth=1
	s_bcnt1_i32_b32 s28, s28
	s_delay_alu instid0(SALU_CYCLE_1)
	v_mov_b32_e32 v38, s28
	s_wait_loadcnt 0x0
	ds_add_u64 v0, v[38:39]
	s_trap 2
.LBB4_83:                               ;   in Loop: Header=BB4_49 Depth=1
	s_or_b32 exec_lo, exec_lo, s27
	s_trap 2
	ds_load_b64 v[2:3], v0
	s_wait_dscnt 0x0
	v_add_nc_u64_e32 v[28:29], v[28:29], v[48:49]
	s_mov_b32 s27, exec_lo
	s_delay_alu instid0(VALU_DEP_1)
	v_cmpx_lt_u64_e64 v[2:3], v[28:29]
	s_cbranch_execz .LBB4_92
; %bb.84:                               ;   in Loop: Header=BB4_49 Depth=1
	s_mov_b32 s28, 0
	s_mov_b32 s41, 0
                                        ; implicit-def: $sgpr29
                                        ; implicit-def: $sgpr40
	s_branch .LBB4_86
.LBB4_85:                               ;   in Loop: Header=BB4_86 Depth=2
	s_or_b32 exec_lo, exec_lo, s43
	s_delay_alu instid0(SALU_CYCLE_1) | instskip(NEXT) | instid1(SALU_CYCLE_1)
	s_and_b32 s42, exec_lo, s44
	s_or_b32 s28, s42, s28
	s_and_not1_b32 s29, s29, exec_lo
	s_and_b32 s42, s40, exec_lo
	s_delay_alu instid0(SALU_CYCLE_1)
	s_or_b32 s29, s29, s42
	s_and_not1_b32 exec_lo, exec_lo, s28
	s_cbranch_execz .LBB4_90
.LBB4_86:                               ;   Parent Loop BB4_49 Depth=1
                                        ; =>  This Inner Loop Header: Depth=2
	s_add_co_i32 s41, s41, 1
	s_delay_alu instid0(SALU_CYCLE_1) | instskip(SKIP_1) | instid1(SALU_CYCLE_1)
	s_cmp_lg_u32 s41, 0x2710
	s_cselect_b32 s42, -1, 0
	s_and_b32 vcc_lo, exec_lo, s42
	s_cbranch_vccz .LBB4_88
; %bb.87:                               ;   in Loop: Header=BB4_86 Depth=2
	s_mov_b32 s44, -1
	s_or_b32 s40, s40, exec_lo
	s_and_saveexec_b32 s43, s42
	s_cbranch_execz .LBB4_85
	s_branch .LBB4_89
.LBB4_88:                               ;   in Loop: Header=BB4_86 Depth=2
	s_trap 2
	ds_load_b64 v[2:3], v0
	s_and_not1_b32 s42, s42, exec_lo
	s_mov_b32 s41, 0
	s_wait_loadcnt_dscnt 0x0
	flat_load_b32 v2, v[2:3] scope:SCOPE_SYS
	s_wait_loadcnt_dscnt 0x0
	global_inv scope:SCOPE_SYS
	v_cmp_eq_u32_e32 vcc_lo, 0, v2
	s_and_b32 s43, vcc_lo, exec_lo
	s_delay_alu instid0(SALU_CYCLE_1)
	s_or_b32 s42, s42, s43
	s_mov_b32 s44, -1
	s_or_b32 s40, s40, exec_lo
	s_and_saveexec_b32 s43, s42
	s_cbranch_execz .LBB4_85
.LBB4_89:                               ;   in Loop: Header=BB4_86 Depth=2
	s_sleep 1
	s_trap 2
	ds_load_b64 v[2:3], v0
	s_wait_dscnt 0x0
	s_and_not1_b32 s40, s40, exec_lo
	v_cmp_ge_u64_e32 vcc_lo, v[2:3], v[28:29]
	s_or_not1_b32 s44, vcc_lo, exec_lo
	s_branch .LBB4_85
.LBB4_90:                               ;   in Loop: Header=BB4_49 Depth=1
	s_or_b32 exec_lo, exec_lo, s28
	s_and_saveexec_b32 s28, s29
	s_delay_alu instid0(SALU_CYCLE_1)
	s_xor_b32 s28, exec_lo, s28
	s_cbranch_execz .LBB4_92
; %bb.91:                               ;   in Loop: Header=BB4_49 Depth=1
	ds_store_b32 v0, v116
	s_trap 2
.LBB4_92:                               ;   in Loop: Header=BB4_49 Depth=1
	s_or_b32 exec_lo, exec_lo, s27
	;;#ASMSTART
	s_wakeup
	;;#ASMEND
.LBB4_93:                               ;   in Loop: Header=BB4_49 Depth=1
	s_or_b32 exec_lo, exec_lo, s12
.LBB4_94:                               ;   in Loop: Header=BB4_49 Depth=1
	s_and_not1_saveexec_b32 s11, s11
	s_cbranch_execz .LBB4_96
; %bb.95:                               ;   in Loop: Header=BB4_49 Depth=1
	global_wb scope:SCOPE_DEV
	s_wait_storecnt 0x0
	s_wait_loadcnt_dscnt 0x0
	global_inv scope:SCOPE_DEV
	s_barrier_signal -1
	s_barrier_wait -1
.LBB4_96:                               ;   in Loop: Header=BB4_49 Depth=1
	s_or_b32 exec_lo, exec_lo, s11
.LBB4_97:                               ;   in Loop: Header=BB4_49 Depth=1
	s_delay_alu instid0(SALU_CYCLE_1) | instskip(SKIP_3) | instid1(VALU_DEP_1)
	s_or_b32 exec_lo, exec_lo, s10
	s_trap 2
	ds_load_b32 v2, v0
	v_and_b32_e32 v3, 0x4000, v112
	v_cmp_ne_u32_e32 vcc_lo, 0, v3
	s_and_b32 s11, s24, vcc_lo
	s_delay_alu instid0(SALU_CYCLE_1)
	s_and_saveexec_b32 s10, s11
	s_cbranch_execz .LBB4_116
; %bb.98:                               ;   in Loop: Header=BB4_49 Depth=1
	s_and_saveexec_b32 s11, s3
	s_delay_alu instid0(SALU_CYCLE_1)
	s_xor_b32 s11, exec_lo, s11
	s_cbranch_execz .LBB4_113
; %bb.99:                               ;   in Loop: Header=BB4_49 Depth=1
	s_and_saveexec_b32 s12, s4
	s_cbranch_execz .LBB4_112
; %bb.100:                              ;   in Loop: Header=BB4_49 Depth=1
	s_mov_b32 s28, exec_lo
	s_mov_b32 s27, exec_lo
	v_mbcnt_lo_u32_b32 v3, s28, 0
	global_wb scope:SCOPE_DEV
	s_wait_storecnt 0x0
	s_wait_loadcnt_dscnt 0x0
	global_inv scope:SCOPE_DEV
	v_cmpx_eq_u32_e32 0, v3
	s_cbranch_execz .LBB4_102
; %bb.101:                              ;   in Loop: Header=BB4_49 Depth=1
	s_bcnt1_i32_b32 s28, s28
	s_delay_alu instid0(SALU_CYCLE_1)
	v_mov_b32_e32 v38, s28
	s_wait_loadcnt 0x0
	ds_add_u64 v0, v[38:39]
	s_trap 2
.LBB4_102:                              ;   in Loop: Header=BB4_49 Depth=1
	s_or_b32 exec_lo, exec_lo, s27
	s_trap 2
	ds_load_b64 v[10:11], v0
	s_wait_dscnt 0x0
	v_add_nc_u64_e32 v[28:29], v[28:29], v[48:49]
	s_mov_b32 s27, exec_lo
	s_delay_alu instid0(VALU_DEP_1)
	v_cmpx_lt_u64_e64 v[10:11], v[28:29]
	s_cbranch_execz .LBB4_111
; %bb.103:                              ;   in Loop: Header=BB4_49 Depth=1
	s_mov_b32 s28, 0
	s_mov_b32 s41, 0
                                        ; implicit-def: $sgpr29
                                        ; implicit-def: $sgpr40
	s_branch .LBB4_105
.LBB4_104:                              ;   in Loop: Header=BB4_105 Depth=2
	s_or_b32 exec_lo, exec_lo, s43
	s_delay_alu instid0(SALU_CYCLE_1) | instskip(NEXT) | instid1(SALU_CYCLE_1)
	s_and_b32 s42, exec_lo, s44
	s_or_b32 s28, s42, s28
	s_and_not1_b32 s29, s29, exec_lo
	s_and_b32 s42, s40, exec_lo
	s_delay_alu instid0(SALU_CYCLE_1)
	s_or_b32 s29, s29, s42
	s_and_not1_b32 exec_lo, exec_lo, s28
	s_cbranch_execz .LBB4_109
.LBB4_105:                              ;   Parent Loop BB4_49 Depth=1
                                        ; =>  This Inner Loop Header: Depth=2
	s_add_co_i32 s41, s41, 1
	s_delay_alu instid0(SALU_CYCLE_1) | instskip(SKIP_1) | instid1(SALU_CYCLE_1)
	s_cmp_lg_u32 s41, 0x2710
	s_cselect_b32 s42, -1, 0
	s_and_b32 vcc_lo, exec_lo, s42
	s_cbranch_vccz .LBB4_107
; %bb.106:                              ;   in Loop: Header=BB4_105 Depth=2
	s_mov_b32 s44, -1
	s_or_b32 s40, s40, exec_lo
	s_and_saveexec_b32 s43, s42
	s_cbranch_execz .LBB4_104
	s_branch .LBB4_108
.LBB4_107:                              ;   in Loop: Header=BB4_105 Depth=2
	s_trap 2
	ds_load_b64 v[10:11], v0
	s_and_not1_b32 s42, s42, exec_lo
	s_mov_b32 s41, 0
	s_wait_loadcnt_dscnt 0x0
	flat_load_b32 v3, v[10:11] scope:SCOPE_SYS
	s_wait_loadcnt_dscnt 0x0
	global_inv scope:SCOPE_SYS
	v_cmp_eq_u32_e32 vcc_lo, 0, v3
	s_and_b32 s43, vcc_lo, exec_lo
	s_delay_alu instid0(SALU_CYCLE_1)
	s_or_b32 s42, s42, s43
	s_mov_b32 s44, -1
	s_or_b32 s40, s40, exec_lo
	s_and_saveexec_b32 s43, s42
	s_cbranch_execz .LBB4_104
.LBB4_108:                              ;   in Loop: Header=BB4_105 Depth=2
	s_sleep 1
	s_trap 2
	ds_load_b64 v[10:11], v0
	s_wait_dscnt 0x0
	s_and_not1_b32 s40, s40, exec_lo
	v_cmp_ge_u64_e32 vcc_lo, v[10:11], v[28:29]
	s_or_not1_b32 s44, vcc_lo, exec_lo
	s_branch .LBB4_104
.LBB4_109:                              ;   in Loop: Header=BB4_49 Depth=1
	s_or_b32 exec_lo, exec_lo, s28
	s_and_saveexec_b32 s28, s29
	s_delay_alu instid0(SALU_CYCLE_1)
	s_xor_b32 s28, exec_lo, s28
	s_cbranch_execz .LBB4_111
; %bb.110:                              ;   in Loop: Header=BB4_49 Depth=1
	ds_store_b32 v0, v116
	s_trap 2
.LBB4_111:                              ;   in Loop: Header=BB4_49 Depth=1
	s_or_b32 exec_lo, exec_lo, s27
	;;#ASMSTART
	s_wakeup
	;;#ASMEND
.LBB4_112:                              ;   in Loop: Header=BB4_49 Depth=1
	s_or_b32 exec_lo, exec_lo, s12
.LBB4_113:                              ;   in Loop: Header=BB4_49 Depth=1
	s_and_not1_saveexec_b32 s11, s11
	s_cbranch_execz .LBB4_115
; %bb.114:                              ;   in Loop: Header=BB4_49 Depth=1
	global_wb scope:SCOPE_DEV
	s_wait_storecnt 0x0
	s_wait_loadcnt_dscnt 0x0
	global_inv scope:SCOPE_DEV
	s_barrier_signal -1
	s_barrier_wait -1
.LBB4_115:                              ;   in Loop: Header=BB4_49 Depth=1
	s_or_b32 exec_lo, exec_lo, s11
.LBB4_116:                              ;   in Loop: Header=BB4_49 Depth=1
	s_delay_alu instid0(SALU_CYCLE_1)
	s_or_b32 exec_lo, exec_lo, s10
	s_trap 2
	ds_load_b64 v[82:83], v0
	s_wait_dscnt 0x0
	v_cmp_eq_u64_e32 vcc_lo, 0, v[82:83]
	s_cbranch_vccnz .LBB4_124
; %bb.117:                              ;   in Loop: Header=BB4_49 Depth=1
	s_trap 2
	ds_load_b64 v[84:85], v0
	s_wait_dscnt 0x0
	v_cmp_eq_u64_e32 vcc_lo, 0, v[84:85]
	s_cbranch_vccnz .LBB4_124
; %bb.118:                              ;   in Loop: Header=BB4_49 Depth=1
	s_mov_b32 s10, -1
	s_and_saveexec_b32 s11, s5
	s_cbranch_execz .LBB4_120
; %bb.119:                              ;   in Loop: Header=BB4_49 Depth=1
	ds_load_b32 v3, v0 offset:720
	s_wait_dscnt 0x0
	v_and_b32_e32 v3, 15, v3
	s_delay_alu instid0(VALU_DEP_1)
	v_cmp_eq_u32_e32 vcc_lo, 0, v3
	s_or_not1_b32 s10, vcc_lo, exec_lo
.LBB4_120:                              ;   in Loop: Header=BB4_49 Depth=1
	s_or_b32 exec_lo, exec_lo, s11
	s_and_saveexec_b32 s11, s6
	s_cbranch_execz .LBB4_122
; %bb.121:                              ;   in Loop: Header=BB4_49 Depth=1
	ds_load_b32 v3, v0 offset:784
	s_wait_dscnt 0x0
	v_and_b32_e32 v3, 15, v3
	s_delay_alu instid0(VALU_DEP_1) | instskip(SKIP_3) | instid1(SALU_CYCLE_1)
	v_cmp_eq_u32_e32 vcc_lo, 0, v3
	s_and_b32 s12, s10, vcc_lo
	s_and_not1_b32 s10, s10, exec_lo
	s_and_b32 s12, s12, exec_lo
	s_or_b32 s10, s10, s12
.LBB4_122:                              ;   in Loop: Header=BB4_49 Depth=1
	s_or_b32 exec_lo, exec_lo, s11
	v_cmp_eq_u32_e32 vcc_lo, 0, v2
	s_xor_b32 s10, s10, -1
	v_mov_b32_e32 v81, 0
	v_cndmask_b32_e64 v3, 0, 1, s10
	s_mov_b32 s10, -1
	v_dual_cndmask_b32 v71, 0, v80, vcc_lo :: v_dual_mov_b32 v87, v0
	s_delay_alu instid0(VALU_DEP_2) | instskip(NEXT) | instid1(VALU_DEP_2)
	v_cmp_ne_u32_e32 vcc_lo, 0, v3
	v_mov_b32_e32 v86, v71
	s_cbranch_vccz .LBB4_125
; %bb.123:                              ;   in Loop: Header=BB4_49 Depth=1
	s_and_saveexec_b32 s12, s10
	s_cbranch_execnz .LBB4_2768
	s_branch .LBB4_3872
.LBB4_124:                              ;   in Loop: Header=BB4_49 Depth=1
	s_mov_b32 s10, 0
	s_and_saveexec_b32 s11, s2
	s_cbranch_execnz .LBB4_3873
	s_branch .LBB4_3891
.LBB4_125:                              ;   in Loop: Header=BB4_49 Depth=1
	v_lshrrev_b32_e32 v2, 10, v71
	s_mov_b32 s11, exec_lo
	s_delay_alu instid0(VALU_DEP_1) | instskip(NEXT) | instid1(VALU_DEP_1)
	v_sub_nc_u32_e32 v30, v2, v114
	v_cmpx_lt_i32_e32 0, v30
	s_cbranch_execz .LBB4_1881
; %bb.126:                              ;   in Loop: Header=BB4_49 Depth=1
	s_trap 2
	ds_load_b64 v[2:3], v0
	v_add_nc_u64_e32 v[86:87], v[82:83], v[50:51]
	v_add_nc_u64_e32 v[96:97], v[84:85], v[50:51]
	s_wait_dscnt 0x0
	v_readfirstlane_b32 s28, v2
	v_readfirstlane_b32 s29, v3
	v_add_nc_u64_e32 v[98:99], v[2:3], v[50:51]
	s_and_b32 s10, s28, 7
	s_and_b32 s12, s28, 0x7f
	s_clz_i32_u32 s10, s10
	s_bfe_u32 s27, s28, 0x40003
	s_min_u32 s10, s10, 32
	s_delay_alu instid0(SALU_CYCLE_1)
	s_sub_co_i32 s40, s10, 28
	s_sub_co_i32 s10, 29, s10
	s_cmp_lt_u32 s12, 8
	s_cselect_b32 s10, s10, s27
	s_cselect_b32 s27, s40, 0
	s_lshl_b32 s42, s28, 24
	s_lshl_b64 s[40:41], s[28:29], s27
	s_and_b32 s27, s42, 0x80000000
	s_lshl_b32 s29, s40, 20
	s_lshl_b32 s10, s10, 23
	s_and_b32 s29, s29, 0x700000
	s_add_co_i32 s10, s10, 0x3c000000
	s_or_b32 s27, s29, s27
	s_delay_alu instid0(SALU_CYCLE_1) | instskip(SKIP_4) | instid1(SALU_CYCLE_1)
	s_or_b32 s10, s10, s27
	s_cmp_lg_u32 s12, 0x7f
	s_mov_b32 s27, 0
	s_cselect_b32 s12, s10, 0x7f800001
	s_and_b32 s28, s28, 0xff
	s_and_b32 s29, 0xffff, s28
	s_branch .LBB4_128
.LBB4_127:                              ;   in Loop: Header=BB4_128 Depth=2
	s_or_b32 exec_lo, exec_lo, s10
	v_lshl_or_b32 v11, v77, 8, v62
	v_dual_lshlrev_b32 v12, 16, v102 :: v_dual_lshlrev_b32 v13, 24, v103
	v_lshl_or_b32 v14, v40, 8, v81
	v_dual_lshlrev_b32 v15, 16, v43 :: v_dual_lshlrev_b32 v20, 24, v56
	;; [unrolled: 2-line block ×3, first 2 shown]
	v_or3_b32 v13, v11, v12, v13
	s_delay_alu instid0(VALU_DEP_4)
	v_or3_b32 v12, v14, v15, v20
	v_dual_lshlrev_b32 v11, 24, v101 :: v_dual_lshlrev_b32 v15, 16, v100
	v_lshl_or_b32 v20, v76, 8, v63
	v_or3_b32 v14, v21, v38, v81
	v_lshl_or_b32 v21, v59, 8, v45
	v_dual_lshlrev_b32 v16, 16, v16 :: v_dual_lshlrev_b32 v17, 24, v17
	v_lshl_or_b32 v38, v72, 8, v58
	v_dual_lshlrev_b32 v81, 16, v74 :: v_dual_lshlrev_b32 v103, 16, v57
	v_dual_lshlrev_b32 v100, 24, v78 :: v_dual_lshlrev_b32 v113, 24, v60
	v_lshl_or_b32 v102, v46, 8, v41
	v_dual_lshlrev_b32 v10, 24, v10 :: v_dual_lshlrev_b32 v3, 16, v3
	v_lshl_or_b32 v2, v2, 8, v119
	v_or3_b32 v15, v20, v15, v11
	v_sub_nc_u32_e32 v30, v30, v48
	v_or3_b32 v101, v21, v16, v17
	v_or3_b32 v100, v38, v81, v100
	;; [unrolled: 1-line block ×4, first 2 shown]
	s_clause 0x1
	global_store_b128 v[96:97], v[12:15], off th:TH_STORE_NT
	global_store_b128 v[96:97], v[100:103], off offset:512 th:TH_STORE_NT
	v_add_nc_u64_e32 v[86:87], v[86:87], v[52:53]
	v_add_nc_u64_e32 v[98:99], v[98:99], v[52:53]
	v_cmp_gt_i32_e32 vcc_lo, 1, v30
	s_wait_xcnt 0x0
	v_add_nc_u64_e32 v[96:97], v[96:97], v[52:53]
	s_or_b32 s27, vcc_lo, s27
	s_delay_alu instid0(SALU_CYCLE_1)
	s_and_not1_b32 exec_lo, exec_lo, s27
	s_cbranch_execz .LBB4_1880
.LBB4_128:                              ;   Parent Loop BB4_49 Depth=1
                                        ; =>  This Inner Loop Header: Depth=2
	s_cmp_lt_i32 s28, 0x80
	s_cbranch_scc1 .LBB4_132
; %bb.129:                              ;   in Loop: Header=BB4_128 Depth=2
	s_cmp_eq_u32 s29, 0x80
	s_mov_b32 s10, -1
	s_cbranch_scc0 .LBB4_131
; %bb.130:                              ;   in Loop: Header=BB4_128 Depth=2
	s_mov_b32 s10, 0
.LBB4_131:                              ;   in Loop: Header=BB4_128 Depth=2
	s_brev_b32 s40, 1
	s_branch .LBB4_134
.LBB4_132:                              ;   in Loop: Header=BB4_128 Depth=2
	s_mov_b32 s10, 0
	s_brev_b32 s40, 1
	s_cbranch_execz .LBB4_134
; %bb.133:                              ;   in Loop: Header=BB4_128 Depth=2
	s_cmp_lg_u32 s29, 0
	s_mov_b32 s40, 0
	s_cselect_b32 s10, -1, 0
.LBB4_134:                              ;   in Loop: Header=BB4_128 Depth=2
	s_delay_alu instid0(SALU_CYCLE_1)
	s_and_not1_b32 vcc_lo, exec_lo, s10
	s_cbranch_vccnz .LBB4_136
; %bb.135:                              ;   in Loop: Header=BB4_128 Depth=2
	s_mov_b32 s40, s12
.LBB4_136:                              ;   in Loop: Header=BB4_128 Depth=2
	global_load_b128 v[10:13], v[86:87], off th:TH_LOAD_NT
	v_mov_b32_e32 v2, 0
	s_mov_b32 s10, exec_lo
	s_wait_loadcnt 0x0
	v_and_b32_e32 v3, 0xff, v10
	s_wait_xcnt 0x0
	s_delay_alu instid0(VALU_DEP_1)
	v_cmpx_ne_u16_e32 0, v3
	s_cbranch_execz .LBB4_142
; %bb.137:                              ;   in Loop: Header=BB4_128 Depth=2
	v_bfrev_b32_e32 v2, 1
	s_mov_b32 s41, exec_lo
	v_cmpx_ne_u16_e32 0x80, v3
	s_cbranch_execz .LBB4_141
; %bb.138:                              ;   in Loop: Header=BB4_128 Depth=2
	v_and_b32_e32 v3, 0x7f, v10
	v_mov_b32_e32 v2, 0x7f800001
	s_mov_b32 s42, exec_lo
	s_delay_alu instid0(VALU_DEP_2)
	v_cmpx_ne_u32_e32 0x7f, v3
	s_cbranch_execz .LBB4_140
; %bb.139:                              ;   in Loop: Header=BB4_128 Depth=2
	v_dual_lshrrev_b32 v14, 3, v3 :: v_dual_bitop2_b32 v2, 7, v10 bitop3:0x40
	v_cmp_gt_u32_e32 vcc_lo, 8, v3
	s_delay_alu instid0(VALU_DEP_2) | instskip(NEXT) | instid1(VALU_DEP_1)
	v_clz_i32_u32_e32 v2, v2
	v_min_u32_e32 v2, 32, v2
	s_delay_alu instid0(VALU_DEP_1) | instskip(SKIP_1) | instid1(VALU_DEP_1)
	v_subrev_nc_u32_e32 v15, 28, v2
	v_sub_nc_u32_e32 v2, 29, v2
	v_dual_cndmask_b32 v14, v14, v2, vcc_lo :: v_dual_cndmask_b32 v2, 0, v15, vcc_lo
	s_delay_alu instid0(VALU_DEP_1) | instskip(NEXT) | instid1(VALU_DEP_2)
	v_lshl_add_u32 v14, v14, 23, 0x3c000000
	v_lshlrev_b64_e32 v[2:3], v2, v[10:11]
	v_lshlrev_b32_e32 v3, 24, v10
	s_delay_alu instid0(VALU_DEP_1) | instskip(NEXT) | instid1(VALU_DEP_3)
	v_and_b32_e32 v3, 0x80000000, v3
	v_lshlrev_b32_e32 v2, 20, v2
	s_delay_alu instid0(VALU_DEP_1) | instskip(NEXT) | instid1(VALU_DEP_1)
	v_and_b32_e32 v2, 0x700000, v2
	v_or3_b32 v2, v2, v3, v14
.LBB4_140:                              ;   in Loop: Header=BB4_128 Depth=2
	s_or_b32 exec_lo, exec_lo, s42
.LBB4_141:                              ;   in Loop: Header=BB4_128 Depth=2
	s_delay_alu instid0(SALU_CYCLE_1)
	s_or_b32 exec_lo, exec_lo, s41
.LBB4_142:                              ;   in Loop: Header=BB4_128 Depth=2
	s_delay_alu instid0(SALU_CYCLE_1) | instskip(NEXT) | instid1(VALU_DEP_1)
	s_or_b32 exec_lo, exec_lo, s10
	v_mul_f32_e32 v3, s40, v2
                                        ; implicit-def: $vgpr81
	s_mov_b32 s10, exec_lo
	s_delay_alu instid0(VALU_DEP_1) | instskip(SKIP_1) | instid1(VALU_DEP_2)
	v_and_b32_e32 v38, 0x7f800000, v3
	v_lshrrev_b32_e32 v2, 24, v3
	v_cmpx_ne_u64_e32 0x7f800000, v[38:39]
	s_xor_b32 s41, exec_lo, s10
	s_cbranch_execz .LBB4_156
; %bb.143:                              ;   in Loop: Header=BB4_128 Depth=2
	v_and_b32_e32 v38, 0x7fffffff, v3
	v_and_b32_e32 v2, 0x80, v2
                                        ; implicit-def: $vgpr81
	s_mov_b32 s10, exec_lo
	s_delay_alu instid0(VALU_DEP_2)
	v_cmpx_gt_u64_e32 0x43e00001, v[38:39]
	s_xor_b32 s42, exec_lo, s10
	s_cbranch_execz .LBB4_153
; %bb.144:                              ;   in Loop: Header=BB4_128 Depth=2
	v_mov_b32_e32 v81, 0
	s_mov_b32 s43, exec_lo
	v_cmpx_ne_u32_e32 0, v3
	s_cbranch_execz .LBB4_152
; %bb.145:                              ;   in Loop: Header=BB4_128 Depth=2
	v_bfe_u32 v81, v3, 23, 8
	v_and_b32_e32 v3, 0x7fffff, v3
	s_delay_alu instid0(VALU_DEP_2) | instskip(SKIP_1) | instid1(VALU_DEP_3)
	v_sub_nc_u32_e32 v14, 0x79, v81
	v_cmp_gt_u32_e32 vcc_lo, 0x7a, v81
	v_or_b32_e32 v16, 0x800000, v3
	s_delay_alu instid0(VALU_DEP_3) | instskip(SKIP_1) | instid1(VALU_DEP_2)
	v_cndmask_b32_e32 v14, 0, v14, vcc_lo
	v_cmp_eq_u32_e32 vcc_lo, 0, v81
	v_cndmask_b32_e64 v100, v14, 0x78, vcc_lo
	s_delay_alu instid0(VALU_DEP_1) | instskip(SKIP_1) | instid1(VALU_DEP_2)
	v_dual_cndmask_b32 v38, v16, v3, vcc_lo :: v_dual_add_nc_u32 v14, 20, v100
	v_add_nc_u32_e32 v17, 19, v100
	v_lshlrev_b64_e64 v[14:15], v14, -1
	s_delay_alu instid0(VALU_DEP_2) | instskip(NEXT) | instid1(VALU_DEP_2)
	v_lshlrev_b64_e64 v[16:17], v17, 1
	v_bfi_b32 v21, v15, 0, 0
	s_delay_alu instid0(VALU_DEP_3) | instskip(SKIP_1) | instid1(VALU_DEP_2)
	v_bfi_b32 v20, v14, 0, v38
	v_lshrrev_b64 v[14:15], v100, v[38:39]
	v_cmp_eq_u64_e64 s10, v[20:21], v[16:17]
	s_delay_alu instid0(VALU_DEP_2)
	v_mov_b64_e32 v[16:17], v[14:15]
	s_and_saveexec_b32 s44, s10
; %bb.146:                              ;   in Loop: Header=BB4_128 Depth=2
	v_bfe_u32 v38, v14, 20, 1
	s_delay_alu instid0(VALU_DEP_1) | instskip(NEXT) | instid1(VALU_DEP_1)
	v_add_nc_u64_e32 v[16:17], v[14:15], v[38:39]
	v_add_nc_u64_e32 v[16:17], -1, v[16:17]
; %bb.147:                              ;   in Loop: Header=BB4_128 Depth=2
	s_or_b32 exec_lo, exec_lo, s44
	v_add_nc_u32_e32 v3, 0xffffff81, v81
	v_lshrrev_b32_e32 v15, 23, v14
	s_mov_b32 s10, exec_lo
	s_delay_alu instid0(VALU_DEP_2) | instskip(NEXT) | instid1(VALU_DEP_1)
	v_cndmask_b32_e64 v3, v3, 0xffffff82, vcc_lo
	v_add3_u32 v17, v100, v3, v15
	v_and_b32_e32 v3, 0xfffff, v16
	s_delay_alu instid0(VALU_DEP_1) | instskip(NEXT) | instid1(VALU_DEP_1)
	v_dual_add_nc_u32 v16, 6, v17 :: v_dual_add_nc_u32 v38, v3, v14
                                        ; implicit-def: $vgpr14_vgpr15
                                        ; implicit-def: $vgpr3
	v_cmpx_ne_u32_e32 0, v16
	s_xor_b32 s10, exec_lo, s10
; %bb.148:                              ;   in Loop: Header=BB4_128 Depth=2
	s_delay_alu instid0(VALU_DEP_2) | instskip(SKIP_2) | instid1(VALU_DEP_2)
	v_cmp_lt_u64_e32 vcc_lo, 0xffffff, v[38:39]
	v_add_nc_u32_e32 v3, 7, v17
	v_cndmask_b32_e64 v14, 0, 1, vcc_lo
	v_cndmask_b32_e32 v3, v16, v3, vcc_lo
	s_delay_alu instid0(VALU_DEP_2)
	v_lshrrev_b64 v[14:15], v14, v[38:39]
; %bb.149:                              ;   in Loop: Header=BB4_128 Depth=2
	s_and_not1_saveexec_b32 s10, s10
; %bb.150:                              ;   in Loop: Header=BB4_128 Depth=2
	v_mov_b64_e32 v[14:15], v[38:39]
	v_bfe_u32 v3, v38, 23, 1
; %bb.151:                              ;   in Loop: Header=BB4_128 Depth=2
	s_or_b32 exec_lo, exec_lo, s10
	s_delay_alu instid0(VALU_DEP_2) | instskip(NEXT) | instid1(VALU_DEP_2)
	v_lshrrev_b64 v[14:15], 20, v[14:15]
	v_cmp_gt_i32_e32 vcc_lo, 16, v3
	v_min_i32_e32 v16, 15, v3
	v_cmp_eq_u32_e64 s10, 0, v3
	s_delay_alu instid0(VALU_DEP_2) | instskip(SKIP_1) | instid1(VALU_DEP_2)
	v_dual_cndmask_b32 v14, 7, v14, vcc_lo :: v_dual_lshlrev_b32 v16, 3, v16
	v_cndmask_b32_e32 v15, 0, v15, vcc_lo
	v_and_b32_e32 v16, 0xf8, v16
	s_delay_alu instid0(VALU_DEP_2) | instskip(NEXT) | instid1(VALU_DEP_2)
	v_cmp_eq_u64_e32 vcc_lo, 0, v[14:15]
	v_and_or_b32 v3, v14, 7, v16
	s_and_b32 s10, s10, vcc_lo
	s_delay_alu instid0(VALU_DEP_1) | instid1(SALU_CYCLE_1)
	v_cndmask_b32_e64 v3, v3, 0, s10
	s_delay_alu instid0(VALU_DEP_1)
	v_or_b32_e32 v81, v3, v2
.LBB4_152:                              ;   in Loop: Header=BB4_128 Depth=2
	s_or_b32 exec_lo, exec_lo, s43
                                        ; implicit-def: $vgpr2
.LBB4_153:                              ;   in Loop: Header=BB4_128 Depth=2
	s_and_not1_saveexec_b32 s10, s42
; %bb.154:                              ;   in Loop: Header=BB4_128 Depth=2
	v_or_b32_e32 v81, 0x7e, v2
; %bb.155:                              ;   in Loop: Header=BB4_128 Depth=2
	s_or_b32 exec_lo, exec_lo, s10
                                        ; implicit-def: $vgpr2
.LBB4_156:                              ;   in Loop: Header=BB4_128 Depth=2
	s_and_not1_saveexec_b32 s10, s41
; %bb.157:                              ;   in Loop: Header=BB4_128 Depth=2
	v_or_b32_e32 v81, 0x7f, v2
; %bb.158:                              ;   in Loop: Header=BB4_128 Depth=2
	s_or_b32 exec_lo, exec_lo, s10
	v_lshrrev_b16 v3, 8, v10
	v_mov_b32_e32 v2, 0
	s_mov_b32 s10, exec_lo
	s_delay_alu instid0(VALU_DEP_2)
	v_cmpx_ne_u16_e32 0, v3
	s_cbranch_execz .LBB4_166
; %bb.159:                              ;   in Loop: Header=BB4_128 Depth=2
	v_bfrev_b32_e32 v2, 1
	s_mov_b32 s41, exec_lo
	v_cmpx_ne_u16_e32 0x80, v3
	s_cbranch_execz .LBB4_165
; %bb.160:                              ;   in Loop: Header=BB4_128 Depth=2
	v_and_b32_e32 v14, 0xffff, v3
	v_mov_b32_e32 v2, 0x7f800001
	s_mov_b32 s42, exec_lo
	s_delay_alu instid0(VALU_DEP_2) | instskip(NEXT) | instid1(VALU_DEP_1)
	v_and_b32_e32 v3, 0x7f, v14
	v_cmpx_ne_u32_e32 0x7f, v3
	s_cbranch_execz .LBB4_164
; %bb.161:                              ;   in Loop: Header=BB4_128 Depth=2
	v_dual_lshrrev_b32 v2, 3, v3 :: v_dual_bitop2_b32 v38, 7, v14 bitop3:0x40
	s_mov_b32 s43, exec_lo
	v_cmpx_gt_u32_e32 8, v3
; %bb.162:                              ;   in Loop: Header=BB4_128 Depth=2
	s_delay_alu instid0(VALU_DEP_2) | instskip(NEXT) | instid1(VALU_DEP_1)
	v_clz_i32_u32_e32 v2, v38
	v_min_u32_e32 v2, 32, v2
	s_delay_alu instid0(VALU_DEP_1) | instskip(SKIP_1) | instid1(VALU_DEP_2)
	v_subrev_nc_u32_e32 v3, 28, v2
	v_sub_nc_u32_e32 v2, 29, v2
	v_lshlrev_b64_e32 v[14:15], v3, v[38:39]
	s_delay_alu instid0(VALU_DEP_1)
	v_and_b32_e32 v38, 7, v14
; %bb.163:                              ;   in Loop: Header=BB4_128 Depth=2
	s_or_b32 exec_lo, exec_lo, s43
	v_lshlrev_b32_e32 v3, 16, v10
	s_delay_alu instid0(VALU_DEP_2) | instskip(SKIP_1) | instid1(VALU_DEP_3)
	v_lshlrev_b32_e32 v14, 20, v38
	v_lshl_add_u32 v2, v2, 23, 0x3c000000
	v_and_b32_e32 v3, 0x80000000, v3
	s_delay_alu instid0(VALU_DEP_1)
	v_or3_b32 v2, v14, v3, v2
.LBB4_164:                              ;   in Loop: Header=BB4_128 Depth=2
	s_or_b32 exec_lo, exec_lo, s42
.LBB4_165:                              ;   in Loop: Header=BB4_128 Depth=2
	s_delay_alu instid0(SALU_CYCLE_1)
	s_or_b32 exec_lo, exec_lo, s41
.LBB4_166:                              ;   in Loop: Header=BB4_128 Depth=2
	s_delay_alu instid0(SALU_CYCLE_1) | instskip(NEXT) | instid1(VALU_DEP_1)
	s_or_b32 exec_lo, exec_lo, s10
	v_mul_f32_e32 v3, s40, v2
                                        ; implicit-def: $vgpr100
	s_mov_b32 s10, exec_lo
	s_delay_alu instid0(VALU_DEP_1) | instskip(SKIP_1) | instid1(VALU_DEP_2)
	v_and_b32_e32 v38, 0x7f800000, v3
	v_lshrrev_b32_e32 v2, 24, v3
	v_cmpx_ne_u64_e32 0x7f800000, v[38:39]
	s_xor_b32 s41, exec_lo, s10
	s_cbranch_execz .LBB4_180
; %bb.167:                              ;   in Loop: Header=BB4_128 Depth=2
	v_and_b32_e32 v38, 0x7fffffff, v3
	v_and_b32_e32 v2, 0x80, v2
                                        ; implicit-def: $vgpr100
	s_mov_b32 s10, exec_lo
	s_delay_alu instid0(VALU_DEP_2)
	v_cmpx_gt_u64_e32 0x43e00001, v[38:39]
	s_xor_b32 s42, exec_lo, s10
	s_cbranch_execz .LBB4_177
; %bb.168:                              ;   in Loop: Header=BB4_128 Depth=2
	v_mov_b32_e32 v100, 0
	s_mov_b32 s43, exec_lo
	v_cmpx_ne_u32_e32 0, v3
	s_cbranch_execz .LBB4_176
; %bb.169:                              ;   in Loop: Header=BB4_128 Depth=2
	v_bfe_u32 v100, v3, 23, 8
	v_and_b32_e32 v3, 0x7fffff, v3
	s_delay_alu instid0(VALU_DEP_2) | instskip(SKIP_1) | instid1(VALU_DEP_3)
	v_sub_nc_u32_e32 v14, 0x79, v100
	v_cmp_gt_u32_e32 vcc_lo, 0x7a, v100
	v_or_b32_e32 v16, 0x800000, v3
	s_delay_alu instid0(VALU_DEP_3) | instskip(SKIP_1) | instid1(VALU_DEP_2)
	v_cndmask_b32_e32 v14, 0, v14, vcc_lo
	v_cmp_eq_u32_e32 vcc_lo, 0, v100
	v_cndmask_b32_e64 v101, v14, 0x78, vcc_lo
	s_delay_alu instid0(VALU_DEP_1) | instskip(SKIP_1) | instid1(VALU_DEP_2)
	v_dual_cndmask_b32 v38, v16, v3, vcc_lo :: v_dual_add_nc_u32 v14, 20, v101
	v_add_nc_u32_e32 v17, 19, v101
	v_lshlrev_b64_e64 v[14:15], v14, -1
	s_delay_alu instid0(VALU_DEP_2) | instskip(NEXT) | instid1(VALU_DEP_2)
	v_lshlrev_b64_e64 v[16:17], v17, 1
	v_bfi_b32 v21, v15, 0, 0
	s_delay_alu instid0(VALU_DEP_3) | instskip(SKIP_1) | instid1(VALU_DEP_2)
	v_bfi_b32 v20, v14, 0, v38
	v_lshrrev_b64 v[14:15], v101, v[38:39]
	v_cmp_eq_u64_e64 s10, v[20:21], v[16:17]
	s_delay_alu instid0(VALU_DEP_2)
	v_mov_b64_e32 v[16:17], v[14:15]
	s_and_saveexec_b32 s44, s10
; %bb.170:                              ;   in Loop: Header=BB4_128 Depth=2
	v_bfe_u32 v38, v14, 20, 1
	s_delay_alu instid0(VALU_DEP_1) | instskip(NEXT) | instid1(VALU_DEP_1)
	v_add_nc_u64_e32 v[16:17], v[14:15], v[38:39]
	v_add_nc_u64_e32 v[16:17], -1, v[16:17]
; %bb.171:                              ;   in Loop: Header=BB4_128 Depth=2
	s_or_b32 exec_lo, exec_lo, s44
	v_add_nc_u32_e32 v3, 0xffffff81, v100
	v_lshrrev_b32_e32 v15, 23, v14
	s_mov_b32 s10, exec_lo
	s_delay_alu instid0(VALU_DEP_2) | instskip(NEXT) | instid1(VALU_DEP_1)
	v_cndmask_b32_e64 v3, v3, 0xffffff82, vcc_lo
	v_add3_u32 v17, v101, v3, v15
	v_and_b32_e32 v3, 0xfffff, v16
	s_delay_alu instid0(VALU_DEP_1) | instskip(NEXT) | instid1(VALU_DEP_1)
	v_dual_add_nc_u32 v16, 6, v17 :: v_dual_add_nc_u32 v38, v3, v14
                                        ; implicit-def: $vgpr14_vgpr15
                                        ; implicit-def: $vgpr3
	v_cmpx_ne_u32_e32 0, v16
	s_xor_b32 s10, exec_lo, s10
; %bb.172:                              ;   in Loop: Header=BB4_128 Depth=2
	s_delay_alu instid0(VALU_DEP_2) | instskip(SKIP_2) | instid1(VALU_DEP_2)
	v_cmp_lt_u64_e32 vcc_lo, 0xffffff, v[38:39]
	v_add_nc_u32_e32 v3, 7, v17
	v_cndmask_b32_e64 v14, 0, 1, vcc_lo
	v_cndmask_b32_e32 v3, v16, v3, vcc_lo
	s_delay_alu instid0(VALU_DEP_2)
	v_lshrrev_b64 v[14:15], v14, v[38:39]
; %bb.173:                              ;   in Loop: Header=BB4_128 Depth=2
	s_and_not1_saveexec_b32 s10, s10
; %bb.174:                              ;   in Loop: Header=BB4_128 Depth=2
	v_mov_b64_e32 v[14:15], v[38:39]
	v_bfe_u32 v3, v38, 23, 1
; %bb.175:                              ;   in Loop: Header=BB4_128 Depth=2
	s_or_b32 exec_lo, exec_lo, s10
	s_delay_alu instid0(VALU_DEP_2) | instskip(NEXT) | instid1(VALU_DEP_2)
	v_lshrrev_b64 v[14:15], 20, v[14:15]
	v_cmp_gt_i32_e32 vcc_lo, 16, v3
	v_min_i32_e32 v16, 15, v3
	v_cmp_eq_u32_e64 s10, 0, v3
	s_delay_alu instid0(VALU_DEP_2) | instskip(SKIP_1) | instid1(VALU_DEP_2)
	v_dual_cndmask_b32 v14, 7, v14, vcc_lo :: v_dual_lshlrev_b32 v16, 3, v16
	v_cndmask_b32_e32 v15, 0, v15, vcc_lo
	v_and_b32_e32 v16, 0xf8, v16
	s_delay_alu instid0(VALU_DEP_2) | instskip(NEXT) | instid1(VALU_DEP_2)
	v_cmp_eq_u64_e32 vcc_lo, 0, v[14:15]
	v_and_or_b32 v3, v14, 7, v16
	s_and_b32 s10, s10, vcc_lo
	s_delay_alu instid0(VALU_DEP_1) | instid1(SALU_CYCLE_1)
	v_cndmask_b32_e64 v3, v3, 0, s10
	s_delay_alu instid0(VALU_DEP_1)
	v_or_b32_e32 v100, v3, v2
.LBB4_176:                              ;   in Loop: Header=BB4_128 Depth=2
	s_or_b32 exec_lo, exec_lo, s43
                                        ; implicit-def: $vgpr2
.LBB4_177:                              ;   in Loop: Header=BB4_128 Depth=2
	s_and_not1_saveexec_b32 s10, s42
; %bb.178:                              ;   in Loop: Header=BB4_128 Depth=2
	v_or_b32_e32 v100, 0x7e, v2
; %bb.179:                              ;   in Loop: Header=BB4_128 Depth=2
	s_or_b32 exec_lo, exec_lo, s10
                                        ; implicit-def: $vgpr2
.LBB4_180:                              ;   in Loop: Header=BB4_128 Depth=2
	s_and_not1_saveexec_b32 s10, s41
; %bb.181:                              ;   in Loop: Header=BB4_128 Depth=2
	v_or_b32_e32 v100, 0x7f, v2
; %bb.182:                              ;   in Loop: Header=BB4_128 Depth=2
	s_or_b32 exec_lo, exec_lo, s10
	v_dual_mov_b32 v3, 0 :: v_dual_lshrrev_b32 v2, 16, v10
	s_mov_b32 s10, exec_lo
	s_delay_alu instid0(VALU_DEP_1) | instskip(NEXT) | instid1(VALU_DEP_1)
	v_and_b32_e32 v14, 0xff, v2
	v_cmpx_ne_u16_e32 0, v14
	s_cbranch_execz .LBB4_190
; %bb.183:                              ;   in Loop: Header=BB4_128 Depth=2
	v_bfrev_b32_e32 v3, 1
	s_mov_b32 s41, exec_lo
	v_cmpx_ne_u16_e32 0x80, v14
	s_cbranch_execz .LBB4_189
; %bb.184:                              ;   in Loop: Header=BB4_128 Depth=2
	v_bfe_u32 v14, v10, 16, 7
	v_mov_b32_e32 v3, 0x7f800001
	s_mov_b32 s42, exec_lo
	s_delay_alu instid0(VALU_DEP_2)
	v_cmpx_ne_u32_e32 0x7f, v14
	s_cbranch_execz .LBB4_188
; %bb.185:                              ;   in Loop: Header=BB4_128 Depth=2
	v_and_b32_e32 v38, 7, v2
	v_lshrrev_b32_e32 v3, 3, v14
	s_mov_b32 s43, exec_lo
	v_cmpx_gt_u32_e32 8, v14
; %bb.186:                              ;   in Loop: Header=BB4_128 Depth=2
	s_delay_alu instid0(VALU_DEP_3) | instskip(NEXT) | instid1(VALU_DEP_1)
	v_clz_i32_u32_e32 v3, v38
	v_min_u32_e32 v3, 32, v3
	s_delay_alu instid0(VALU_DEP_1) | instskip(NEXT) | instid1(VALU_DEP_1)
	v_subrev_nc_u32_e32 v14, 28, v3
	v_lshlrev_b64_e32 v[14:15], v14, v[38:39]
	s_delay_alu instid0(VALU_DEP_1)
	v_dual_sub_nc_u32 v3, 29, v3 :: v_dual_bitop2_b32 v38, 7, v14 bitop3:0x40
; %bb.187:                              ;   in Loop: Header=BB4_128 Depth=2
	s_or_b32 exec_lo, exec_lo, s43
	v_lshlrev_b32_e32 v2, 24, v2
	s_delay_alu instid0(VALU_DEP_2) | instskip(NEXT) | instid1(VALU_DEP_3)
	v_lshlrev_b32_e32 v14, 20, v38
	v_lshl_add_u32 v3, v3, 23, 0x3c000000
	s_delay_alu instid0(VALU_DEP_3) | instskip(NEXT) | instid1(VALU_DEP_1)
	v_and_b32_e32 v2, 0x80000000, v2
	v_or3_b32 v3, v14, v2, v3
.LBB4_188:                              ;   in Loop: Header=BB4_128 Depth=2
	s_or_b32 exec_lo, exec_lo, s42
.LBB4_189:                              ;   in Loop: Header=BB4_128 Depth=2
	s_delay_alu instid0(SALU_CYCLE_1)
	s_or_b32 exec_lo, exec_lo, s41
.LBB4_190:                              ;   in Loop: Header=BB4_128 Depth=2
	s_delay_alu instid0(SALU_CYCLE_1) | instskip(NEXT) | instid1(VALU_DEP_1)
	s_or_b32 exec_lo, exec_lo, s10
	v_mul_f32_e32 v3, s40, v3
                                        ; implicit-def: $vgpr101
	s_mov_b32 s10, exec_lo
	s_delay_alu instid0(VALU_DEP_1) | instskip(SKIP_1) | instid1(VALU_DEP_2)
	v_and_b32_e32 v38, 0x7f800000, v3
	v_lshrrev_b32_e32 v2, 24, v3
	v_cmpx_ne_u64_e32 0x7f800000, v[38:39]
	s_xor_b32 s41, exec_lo, s10
	s_cbranch_execz .LBB4_204
; %bb.191:                              ;   in Loop: Header=BB4_128 Depth=2
	v_and_b32_e32 v38, 0x7fffffff, v3
	v_and_b32_e32 v2, 0x80, v2
                                        ; implicit-def: $vgpr101
	s_mov_b32 s10, exec_lo
	s_delay_alu instid0(VALU_DEP_2)
	v_cmpx_gt_u64_e32 0x43e00001, v[38:39]
	s_xor_b32 s42, exec_lo, s10
	s_cbranch_execz .LBB4_201
; %bb.192:                              ;   in Loop: Header=BB4_128 Depth=2
	v_mov_b32_e32 v101, 0
	s_mov_b32 s43, exec_lo
	v_cmpx_ne_u32_e32 0, v3
	s_cbranch_execz .LBB4_200
; %bb.193:                              ;   in Loop: Header=BB4_128 Depth=2
	v_bfe_u32 v101, v3, 23, 8
	v_and_b32_e32 v3, 0x7fffff, v3
	s_delay_alu instid0(VALU_DEP_2) | instskip(SKIP_1) | instid1(VALU_DEP_3)
	v_sub_nc_u32_e32 v14, 0x79, v101
	v_cmp_gt_u32_e32 vcc_lo, 0x7a, v101
	v_or_b32_e32 v16, 0x800000, v3
	s_delay_alu instid0(VALU_DEP_3) | instskip(SKIP_1) | instid1(VALU_DEP_3)
	v_cndmask_b32_e32 v14, 0, v14, vcc_lo
	v_cmp_eq_u32_e32 vcc_lo, 0, v101
	v_cndmask_b32_e32 v38, v16, v3, vcc_lo
	s_delay_alu instid0(VALU_DEP_3) | instskip(NEXT) | instid1(VALU_DEP_1)
	v_cndmask_b32_e64 v102, v14, 0x78, vcc_lo
	v_dual_add_nc_u32 v14, 20, v102 :: v_dual_add_nc_u32 v17, 19, v102
	s_delay_alu instid0(VALU_DEP_1) | instskip(NEXT) | instid1(VALU_DEP_2)
	v_lshlrev_b64_e64 v[14:15], v14, -1
	v_lshlrev_b64_e64 v[16:17], v17, 1
	s_delay_alu instid0(VALU_DEP_2) | instskip(NEXT) | instid1(VALU_DEP_3)
	v_bfi_b32 v21, v15, 0, 0
	v_bfi_b32 v20, v14, 0, v38
	v_lshrrev_b64 v[14:15], v102, v[38:39]
	s_delay_alu instid0(VALU_DEP_2) | instskip(NEXT) | instid1(VALU_DEP_2)
	v_cmp_eq_u64_e64 s10, v[20:21], v[16:17]
	v_mov_b64_e32 v[16:17], v[14:15]
	s_and_saveexec_b32 s44, s10
; %bb.194:                              ;   in Loop: Header=BB4_128 Depth=2
	v_bfe_u32 v38, v14, 20, 1
	s_delay_alu instid0(VALU_DEP_1) | instskip(NEXT) | instid1(VALU_DEP_1)
	v_add_nc_u64_e32 v[16:17], v[14:15], v[38:39]
	v_add_nc_u64_e32 v[16:17], -1, v[16:17]
; %bb.195:                              ;   in Loop: Header=BB4_128 Depth=2
	s_or_b32 exec_lo, exec_lo, s44
	v_add_nc_u32_e32 v3, 0xffffff81, v101
	v_lshrrev_b32_e32 v15, 23, v14
	s_mov_b32 s10, exec_lo
	s_delay_alu instid0(VALU_DEP_2) | instskip(NEXT) | instid1(VALU_DEP_1)
	v_cndmask_b32_e64 v3, v3, 0xffffff82, vcc_lo
	v_add3_u32 v17, v102, v3, v15
	v_and_b32_e32 v3, 0xfffff, v16
	s_delay_alu instid0(VALU_DEP_1) | instskip(NEXT) | instid1(VALU_DEP_1)
	v_dual_add_nc_u32 v16, 6, v17 :: v_dual_add_nc_u32 v38, v3, v14
                                        ; implicit-def: $vgpr14_vgpr15
                                        ; implicit-def: $vgpr3
	v_cmpx_ne_u32_e32 0, v16
	s_xor_b32 s10, exec_lo, s10
; %bb.196:                              ;   in Loop: Header=BB4_128 Depth=2
	s_delay_alu instid0(VALU_DEP_2) | instskip(SKIP_2) | instid1(VALU_DEP_2)
	v_cmp_lt_u64_e32 vcc_lo, 0xffffff, v[38:39]
	v_add_nc_u32_e32 v3, 7, v17
	v_cndmask_b32_e64 v14, 0, 1, vcc_lo
	v_cndmask_b32_e32 v3, v16, v3, vcc_lo
	s_delay_alu instid0(VALU_DEP_2)
	v_lshrrev_b64 v[14:15], v14, v[38:39]
; %bb.197:                              ;   in Loop: Header=BB4_128 Depth=2
	s_and_not1_saveexec_b32 s10, s10
; %bb.198:                              ;   in Loop: Header=BB4_128 Depth=2
	v_mov_b64_e32 v[14:15], v[38:39]
	v_bfe_u32 v3, v38, 23, 1
; %bb.199:                              ;   in Loop: Header=BB4_128 Depth=2
	s_or_b32 exec_lo, exec_lo, s10
	s_delay_alu instid0(VALU_DEP_2) | instskip(NEXT) | instid1(VALU_DEP_2)
	v_lshrrev_b64 v[14:15], 20, v[14:15]
	v_cmp_gt_i32_e32 vcc_lo, 16, v3
	v_min_i32_e32 v16, 15, v3
	v_cmp_eq_u32_e64 s10, 0, v3
	s_delay_alu instid0(VALU_DEP_2) | instskip(SKIP_1) | instid1(VALU_DEP_2)
	v_dual_cndmask_b32 v14, 7, v14, vcc_lo :: v_dual_lshlrev_b32 v16, 3, v16
	v_cndmask_b32_e32 v15, 0, v15, vcc_lo
	v_and_b32_e32 v16, 0xf8, v16
	s_delay_alu instid0(VALU_DEP_2) | instskip(NEXT) | instid1(VALU_DEP_2)
	v_cmp_eq_u64_e32 vcc_lo, 0, v[14:15]
	v_and_or_b32 v3, v14, 7, v16
	s_and_b32 s10, s10, vcc_lo
	s_delay_alu instid0(VALU_DEP_1) | instid1(SALU_CYCLE_1)
	v_cndmask_b32_e64 v3, v3, 0, s10
	s_delay_alu instid0(VALU_DEP_1)
	v_or_b32_e32 v101, v3, v2
.LBB4_200:                              ;   in Loop: Header=BB4_128 Depth=2
	s_or_b32 exec_lo, exec_lo, s43
                                        ; implicit-def: $vgpr2
.LBB4_201:                              ;   in Loop: Header=BB4_128 Depth=2
	s_and_not1_saveexec_b32 s10, s42
; %bb.202:                              ;   in Loop: Header=BB4_128 Depth=2
	v_or_b32_e32 v101, 0x7e, v2
; %bb.203:                              ;   in Loop: Header=BB4_128 Depth=2
	s_or_b32 exec_lo, exec_lo, s10
                                        ; implicit-def: $vgpr2
.LBB4_204:                              ;   in Loop: Header=BB4_128 Depth=2
	s_and_not1_saveexec_b32 s10, s41
; %bb.205:                              ;   in Loop: Header=BB4_128 Depth=2
	v_or_b32_e32 v101, 0x7f, v2
; %bb.206:                              ;   in Loop: Header=BB4_128 Depth=2
	s_or_b32 exec_lo, exec_lo, s10
	v_mov_b32_e32 v3, 0
	s_mov_b32 s10, exec_lo
	v_cmpx_lt_u32_e32 0xffffff, v10
	s_cbranch_execz .LBB4_214
; %bb.207:                              ;   in Loop: Header=BB4_128 Depth=2
	v_lshrrev_b32_e32 v2, 24, v10
	v_bfrev_b32_e32 v3, 1
	s_mov_b32 s41, exec_lo
	s_delay_alu instid0(VALU_DEP_2)
	v_cmpx_ne_u32_e32 0x80, v2
	s_cbranch_execz .LBB4_213
; %bb.208:                              ;   in Loop: Header=BB4_128 Depth=2
	v_bfe_u32 v14, v10, 24, 7
	v_mov_b32_e32 v3, 0x7f800001
	s_mov_b32 s42, exec_lo
	s_delay_alu instid0(VALU_DEP_2)
	v_cmpx_ne_u32_e32 0x7f, v14
	s_cbranch_execz .LBB4_212
; %bb.209:                              ;   in Loop: Header=BB4_128 Depth=2
	v_and_b32_e32 v38, 7, v2
	v_lshrrev_b32_e32 v3, 3, v14
	s_mov_b32 s43, exec_lo
	v_cmpx_gt_u32_e32 8, v14
; %bb.210:                              ;   in Loop: Header=BB4_128 Depth=2
	s_delay_alu instid0(VALU_DEP_3) | instskip(NEXT) | instid1(VALU_DEP_1)
	v_clz_i32_u32_e32 v3, v38
	v_min_u32_e32 v3, 32, v3
	s_delay_alu instid0(VALU_DEP_1) | instskip(NEXT) | instid1(VALU_DEP_1)
	v_subrev_nc_u32_e32 v14, 28, v3
	v_lshlrev_b64_e32 v[14:15], v14, v[38:39]
	s_delay_alu instid0(VALU_DEP_1)
	v_dual_sub_nc_u32 v3, 29, v3 :: v_dual_bitop2_b32 v38, 7, v14 bitop3:0x40
; %bb.211:                              ;   in Loop: Header=BB4_128 Depth=2
	s_or_b32 exec_lo, exec_lo, s43
	v_lshlrev_b32_e32 v2, 24, v2
	s_delay_alu instid0(VALU_DEP_2) | instskip(NEXT) | instid1(VALU_DEP_3)
	v_lshlrev_b32_e32 v14, 20, v38
	v_lshl_add_u32 v3, v3, 23, 0x3c000000
	s_delay_alu instid0(VALU_DEP_3) | instskip(NEXT) | instid1(VALU_DEP_1)
	v_and_b32_e32 v2, 0x80000000, v2
	v_or3_b32 v3, v14, v2, v3
.LBB4_212:                              ;   in Loop: Header=BB4_128 Depth=2
	s_or_b32 exec_lo, exec_lo, s42
.LBB4_213:                              ;   in Loop: Header=BB4_128 Depth=2
	s_delay_alu instid0(SALU_CYCLE_1)
	s_or_b32 exec_lo, exec_lo, s41
.LBB4_214:                              ;   in Loop: Header=BB4_128 Depth=2
	s_delay_alu instid0(SALU_CYCLE_1) | instskip(NEXT) | instid1(VALU_DEP_1)
	s_or_b32 exec_lo, exec_lo, s10
	v_mul_f32_e32 v3, s40, v3
                                        ; implicit-def: $vgpr102
	s_mov_b32 s10, exec_lo
	s_delay_alu instid0(VALU_DEP_1) | instskip(SKIP_1) | instid1(VALU_DEP_2)
	v_and_b32_e32 v38, 0x7f800000, v3
	v_lshrrev_b32_e32 v2, 24, v3
	v_cmpx_ne_u64_e32 0x7f800000, v[38:39]
	s_xor_b32 s41, exec_lo, s10
	s_cbranch_execz .LBB4_228
; %bb.215:                              ;   in Loop: Header=BB4_128 Depth=2
	v_and_b32_e32 v38, 0x7fffffff, v3
	v_and_b32_e32 v2, 0x80, v2
                                        ; implicit-def: $vgpr102
	s_mov_b32 s10, exec_lo
	s_delay_alu instid0(VALU_DEP_2)
	v_cmpx_gt_u64_e32 0x43e00001, v[38:39]
	s_xor_b32 s42, exec_lo, s10
	s_cbranch_execz .LBB4_225
; %bb.216:                              ;   in Loop: Header=BB4_128 Depth=2
	v_mov_b32_e32 v102, 0
	s_mov_b32 s43, exec_lo
	v_cmpx_ne_u32_e32 0, v3
	s_cbranch_execz .LBB4_224
; %bb.217:                              ;   in Loop: Header=BB4_128 Depth=2
	v_bfe_u32 v102, v3, 23, 8
	v_and_b32_e32 v3, 0x7fffff, v3
	s_delay_alu instid0(VALU_DEP_2) | instskip(SKIP_1) | instid1(VALU_DEP_3)
	v_sub_nc_u32_e32 v14, 0x79, v102
	v_cmp_gt_u32_e32 vcc_lo, 0x7a, v102
	v_or_b32_e32 v16, 0x800000, v3
	s_delay_alu instid0(VALU_DEP_3) | instskip(SKIP_1) | instid1(VALU_DEP_2)
	v_cndmask_b32_e32 v14, 0, v14, vcc_lo
	v_cmp_eq_u32_e32 vcc_lo, 0, v102
	v_cndmask_b32_e64 v103, v14, 0x78, vcc_lo
	s_delay_alu instid0(VALU_DEP_4) | instskip(NEXT) | instid1(VALU_DEP_2)
	v_cndmask_b32_e32 v38, v16, v3, vcc_lo
	v_dual_add_nc_u32 v14, 20, v103 :: v_dual_add_nc_u32 v17, 19, v103
	s_delay_alu instid0(VALU_DEP_1) | instskip(NEXT) | instid1(VALU_DEP_2)
	v_lshlrev_b64_e64 v[14:15], v14, -1
	v_lshlrev_b64_e64 v[16:17], v17, 1
	s_delay_alu instid0(VALU_DEP_2) | instskip(NEXT) | instid1(VALU_DEP_3)
	v_bfi_b32 v21, v15, 0, 0
	v_bfi_b32 v20, v14, 0, v38
	v_lshrrev_b64 v[14:15], v103, v[38:39]
	s_delay_alu instid0(VALU_DEP_2) | instskip(NEXT) | instid1(VALU_DEP_2)
	v_cmp_eq_u64_e64 s10, v[20:21], v[16:17]
	v_mov_b64_e32 v[16:17], v[14:15]
	s_and_saveexec_b32 s44, s10
; %bb.218:                              ;   in Loop: Header=BB4_128 Depth=2
	v_bfe_u32 v38, v14, 20, 1
	s_delay_alu instid0(VALU_DEP_1) | instskip(NEXT) | instid1(VALU_DEP_1)
	v_add_nc_u64_e32 v[16:17], v[14:15], v[38:39]
	v_add_nc_u64_e32 v[16:17], -1, v[16:17]
; %bb.219:                              ;   in Loop: Header=BB4_128 Depth=2
	s_or_b32 exec_lo, exec_lo, s44
	v_add_nc_u32_e32 v3, 0xffffff81, v102
	v_lshrrev_b32_e32 v15, 23, v14
	s_mov_b32 s10, exec_lo
	s_delay_alu instid0(VALU_DEP_2) | instskip(NEXT) | instid1(VALU_DEP_1)
	v_cndmask_b32_e64 v3, v3, 0xffffff82, vcc_lo
	v_add3_u32 v17, v103, v3, v15
	v_and_b32_e32 v3, 0xfffff, v16
	s_delay_alu instid0(VALU_DEP_1) | instskip(NEXT) | instid1(VALU_DEP_1)
	v_dual_add_nc_u32 v16, 6, v17 :: v_dual_add_nc_u32 v38, v3, v14
                                        ; implicit-def: $vgpr14_vgpr15
                                        ; implicit-def: $vgpr3
	v_cmpx_ne_u32_e32 0, v16
	s_xor_b32 s10, exec_lo, s10
; %bb.220:                              ;   in Loop: Header=BB4_128 Depth=2
	s_delay_alu instid0(VALU_DEP_2) | instskip(SKIP_2) | instid1(VALU_DEP_2)
	v_cmp_lt_u64_e32 vcc_lo, 0xffffff, v[38:39]
	v_add_nc_u32_e32 v3, 7, v17
	v_cndmask_b32_e64 v14, 0, 1, vcc_lo
	v_cndmask_b32_e32 v3, v16, v3, vcc_lo
	s_delay_alu instid0(VALU_DEP_2)
	v_lshrrev_b64 v[14:15], v14, v[38:39]
; %bb.221:                              ;   in Loop: Header=BB4_128 Depth=2
	s_and_not1_saveexec_b32 s10, s10
; %bb.222:                              ;   in Loop: Header=BB4_128 Depth=2
	v_mov_b64_e32 v[14:15], v[38:39]
	v_bfe_u32 v3, v38, 23, 1
; %bb.223:                              ;   in Loop: Header=BB4_128 Depth=2
	s_or_b32 exec_lo, exec_lo, s10
	s_delay_alu instid0(VALU_DEP_2) | instskip(NEXT) | instid1(VALU_DEP_2)
	v_lshrrev_b64 v[14:15], 20, v[14:15]
	v_cmp_gt_i32_e32 vcc_lo, 16, v3
	v_min_i32_e32 v16, 15, v3
	v_cmp_eq_u32_e64 s10, 0, v3
	s_delay_alu instid0(VALU_DEP_2) | instskip(SKIP_1) | instid1(VALU_DEP_2)
	v_dual_cndmask_b32 v14, 7, v14, vcc_lo :: v_dual_lshlrev_b32 v16, 3, v16
	v_cndmask_b32_e32 v15, 0, v15, vcc_lo
	v_and_b32_e32 v16, 0xf8, v16
	s_delay_alu instid0(VALU_DEP_2) | instskip(NEXT) | instid1(VALU_DEP_2)
	v_cmp_eq_u64_e32 vcc_lo, 0, v[14:15]
	v_and_or_b32 v3, v14, 7, v16
	s_and_b32 s10, s10, vcc_lo
	s_delay_alu instid0(VALU_DEP_1) | instid1(SALU_CYCLE_1)
	v_cndmask_b32_e64 v3, v3, 0, s10
	s_delay_alu instid0(VALU_DEP_1)
	v_or_b32_e32 v102, v3, v2
.LBB4_224:                              ;   in Loop: Header=BB4_128 Depth=2
	s_or_b32 exec_lo, exec_lo, s43
                                        ; implicit-def: $vgpr2
.LBB4_225:                              ;   in Loop: Header=BB4_128 Depth=2
	s_and_not1_saveexec_b32 s10, s42
; %bb.226:                              ;   in Loop: Header=BB4_128 Depth=2
	v_or_b32_e32 v102, 0x7e, v2
; %bb.227:                              ;   in Loop: Header=BB4_128 Depth=2
	s_or_b32 exec_lo, exec_lo, s10
                                        ; implicit-def: $vgpr2
.LBB4_228:                              ;   in Loop: Header=BB4_128 Depth=2
	s_and_not1_saveexec_b32 s10, s41
; %bb.229:                              ;   in Loop: Header=BB4_128 Depth=2
	v_or_b32_e32 v102, 0x7f, v2
; %bb.230:                              ;   in Loop: Header=BB4_128 Depth=2
	s_or_b32 exec_lo, exec_lo, s10
	v_and_b32_e32 v3, 0xff, v11
	v_dual_mov_b32 v38, v11 :: v_dual_mov_b32 v2, 0
	s_mov_b32 s10, exec_lo
	s_delay_alu instid0(VALU_DEP_2)
	v_cmpx_ne_u16_e32 0, v3
	s_cbranch_execz .LBB4_236
; %bb.231:                              ;   in Loop: Header=BB4_128 Depth=2
	v_bfrev_b32_e32 v2, 1
	s_mov_b32 s41, exec_lo
	v_cmpx_ne_u16_e32 0x80, v3
	s_cbranch_execz .LBB4_235
; %bb.232:                              ;   in Loop: Header=BB4_128 Depth=2
	v_and_b32_e32 v3, 0x7f, v11
	v_mov_b32_e32 v2, 0x7f800001
	s_mov_b32 s42, exec_lo
	s_delay_alu instid0(VALU_DEP_2)
	v_cmpx_ne_u32_e32 0x7f, v3
	s_cbranch_execz .LBB4_234
; %bb.233:                              ;   in Loop: Header=BB4_128 Depth=2
	v_and_b32_e32 v2, 7, v11
	v_cmp_gt_u32_e32 vcc_lo, 8, v3
	s_delay_alu instid0(VALU_DEP_2) | instskip(NEXT) | instid1(VALU_DEP_1)
	v_clz_i32_u32_e32 v2, v2
	v_min_u32_e32 v2, 32, v2
	v_lshrrev_b32_e32 v14, 3, v3
	s_delay_alu instid0(VALU_DEP_2) | instskip(SKIP_1) | instid1(VALU_DEP_1)
	v_subrev_nc_u32_e32 v15, 28, v2
	v_sub_nc_u32_e32 v2, 29, v2
	v_dual_cndmask_b32 v14, v14, v2, vcc_lo :: v_dual_cndmask_b32 v2, 0, v15, vcc_lo
	s_delay_alu instid0(VALU_DEP_1) | instskip(NEXT) | instid1(VALU_DEP_2)
	v_lshl_add_u32 v14, v14, 23, 0x3c000000
	v_lshlrev_b64_e32 v[2:3], v2, v[38:39]
	v_lshlrev_b32_e32 v3, 24, v38
	s_delay_alu instid0(VALU_DEP_1) | instskip(NEXT) | instid1(VALU_DEP_3)
	v_and_b32_e32 v3, 0x80000000, v3
	v_lshlrev_b32_e32 v2, 20, v2
	s_delay_alu instid0(VALU_DEP_1) | instskip(NEXT) | instid1(VALU_DEP_1)
	v_and_b32_e32 v2, 0x700000, v2
	v_or3_b32 v2, v2, v3, v14
.LBB4_234:                              ;   in Loop: Header=BB4_128 Depth=2
	s_or_b32 exec_lo, exec_lo, s42
.LBB4_235:                              ;   in Loop: Header=BB4_128 Depth=2
	s_delay_alu instid0(SALU_CYCLE_1)
	s_or_b32 exec_lo, exec_lo, s41
.LBB4_236:                              ;   in Loop: Header=BB4_128 Depth=2
	s_delay_alu instid0(SALU_CYCLE_1) | instskip(NEXT) | instid1(VALU_DEP_1)
	s_or_b32 exec_lo, exec_lo, s10
	v_dual_mul_f32 v3, s40, v2 :: v_dual_mov_b32 v15, v39
                                        ; implicit-def: $vgpr62
	s_mov_b32 s10, exec_lo
	s_delay_alu instid0(VALU_DEP_1) | instskip(SKIP_1) | instid1(VALU_DEP_2)
	v_and_b32_e32 v14, 0x7f800000, v3
	v_lshrrev_b32_e32 v2, 24, v3
	v_cmpx_ne_u64_e32 0x7f800000, v[14:15]
	s_xor_b32 s41, exec_lo, s10
	s_cbranch_execz .LBB4_250
; %bb.237:                              ;   in Loop: Header=BB4_128 Depth=2
	v_and_b32_e32 v14, 0x7fffffff, v3
	v_mov_b32_e32 v15, v39
	v_and_b32_e32 v2, 0x80, v2
                                        ; implicit-def: $vgpr62
	s_mov_b32 s10, exec_lo
	s_delay_alu instid0(VALU_DEP_2)
	v_cmpx_gt_u64_e32 0x43e00001, v[14:15]
	s_xor_b32 s42, exec_lo, s10
	s_cbranch_execz .LBB4_247
; %bb.238:                              ;   in Loop: Header=BB4_128 Depth=2
	v_mov_b32_e32 v62, 0
	s_mov_b32 s43, exec_lo
	v_cmpx_ne_u32_e32 0, v3
	s_cbranch_execz .LBB4_246
; %bb.239:                              ;   in Loop: Header=BB4_128 Depth=2
	v_bfe_u32 v103, v3, 23, 8
	v_and_b32_e32 v3, 0x7fffff, v3
	s_mov_b32 s44, exec_lo
	s_delay_alu instid0(VALU_DEP_2) | instskip(SKIP_1) | instid1(VALU_DEP_3)
	v_dual_mov_b32 v17, v39 :: v_dual_sub_nc_u32 v14, 0x79, v103
	v_cmp_gt_u32_e32 vcc_lo, 0x7a, v103
	v_or_b32_e32 v16, 0x800000, v3
	s_delay_alu instid0(VALU_DEP_3) | instskip(SKIP_1) | instid1(VALU_DEP_2)
	v_cndmask_b32_e32 v14, 0, v14, vcc_lo
	v_cmp_eq_u32_e32 vcc_lo, 0, v103
	v_cndmask_b32_e64 v113, v14, 0x78, vcc_lo
	s_delay_alu instid0(VALU_DEP_1) | instskip(SKIP_1) | instid1(VALU_DEP_2)
	v_dual_cndmask_b32 v16, v16, v3, vcc_lo :: v_dual_add_nc_u32 v14, 20, v113
	v_add_nc_u32_e32 v20, 19, v113
	v_lshlrev_b64_e64 v[14:15], v14, -1
	s_delay_alu instid0(VALU_DEP_2) | instskip(NEXT) | instid1(VALU_DEP_2)
	v_lshlrev_b64_e64 v[20:21], v20, 1
	v_bfi_b32 v41, v15, 0, 0
	s_delay_alu instid0(VALU_DEP_3) | instskip(SKIP_1) | instid1(VALU_DEP_1)
	v_bfi_b32 v40, v14, 0, v16
	v_lshrrev_b64 v[14:15], v113, v[16:17]
	v_mov_b64_e32 v[16:17], v[14:15]
	s_delay_alu instid0(VALU_DEP_3)
	v_cmpx_eq_u64_e64 v[40:41], v[20:21]
; %bb.240:                              ;   in Loop: Header=BB4_128 Depth=2
	v_bfe_u32 v16, v14, 20, 1
	v_mov_b32_e32 v17, v39
	s_delay_alu instid0(VALU_DEP_1) | instskip(NEXT) | instid1(VALU_DEP_1)
	v_add_nc_u64_e32 v[16:17], v[14:15], v[16:17]
	v_add_nc_u64_e32 v[16:17], -1, v[16:17]
; %bb.241:                              ;   in Loop: Header=BB4_128 Depth=2
	s_or_b32 exec_lo, exec_lo, s44
	v_add_nc_u32_e32 v3, 0xffffff81, v103
	v_lshrrev_b32_e32 v15, 23, v14
	s_mov_b32 s10, exec_lo
	s_delay_alu instid0(VALU_DEP_2) | instskip(NEXT) | instid1(VALU_DEP_1)
	v_cndmask_b32_e64 v3, v3, 0xffffff82, vcc_lo
	v_add3_u32 v17, v113, v3, v15
	v_and_b32_e32 v3, 0xfffff, v16
	s_delay_alu instid0(VALU_DEP_2) | instskip(NEXT) | instid1(VALU_DEP_2)
	v_dual_mov_b32 v15, v39 :: v_dual_add_nc_u32 v16, 6, v17
	v_add_nc_u32_e32 v14, v3, v14
                                        ; implicit-def: $vgpr3
	s_delay_alu instid0(VALU_DEP_2)
	v_cmpx_ne_u32_e32 0, v16
	s_xor_b32 s10, exec_lo, s10
; %bb.242:                              ;   in Loop: Header=BB4_128 Depth=2
	s_delay_alu instid0(VALU_DEP_2) | instskip(SKIP_1) | instid1(VALU_DEP_1)
	v_cmp_lt_u64_e32 vcc_lo, 0xffffff, v[14:15]
	v_add_nc_u32_e32 v3, 7, v17
	v_cndmask_b32_e32 v3, v16, v3, vcc_lo
	v_cndmask_b32_e64 v16, 0, 1, vcc_lo
	s_delay_alu instid0(VALU_DEP_1)
	v_lshrrev_b64 v[14:15], v16, v[14:15]
; %bb.243:                              ;   in Loop: Header=BB4_128 Depth=2
	s_and_not1_saveexec_b32 s10, s10
; %bb.244:                              ;   in Loop: Header=BB4_128 Depth=2
	s_delay_alu instid0(VALU_DEP_1)
	v_bfe_u32 v3, v14, 23, 1
; %bb.245:                              ;   in Loop: Header=BB4_128 Depth=2
	s_or_b32 exec_lo, exec_lo, s10
	s_delay_alu instid0(VALU_DEP_2) | instskip(NEXT) | instid1(VALU_DEP_2)
	v_lshrrev_b64 v[14:15], 20, v[14:15]
	v_cmp_gt_i32_e32 vcc_lo, 16, v3
	v_min_i32_e32 v16, 15, v3
	v_cmp_eq_u32_e64 s10, 0, v3
	s_delay_alu instid0(VALU_DEP_2) | instskip(SKIP_1) | instid1(VALU_DEP_2)
	v_dual_cndmask_b32 v14, 7, v14, vcc_lo :: v_dual_lshlrev_b32 v16, 3, v16
	v_cndmask_b32_e32 v15, 0, v15, vcc_lo
	v_and_b32_e32 v16, 0xf8, v16
	s_delay_alu instid0(VALU_DEP_2) | instskip(NEXT) | instid1(VALU_DEP_2)
	v_cmp_eq_u64_e32 vcc_lo, 0, v[14:15]
	v_and_or_b32 v3, v14, 7, v16
	s_and_b32 s10, s10, vcc_lo
	s_delay_alu instid0(VALU_DEP_1) | instid1(SALU_CYCLE_1)
	v_cndmask_b32_e64 v3, v3, 0, s10
	s_delay_alu instid0(VALU_DEP_1)
	v_or_b32_e32 v62, v3, v2
.LBB4_246:                              ;   in Loop: Header=BB4_128 Depth=2
	s_or_b32 exec_lo, exec_lo, s43
                                        ; implicit-def: $vgpr2
.LBB4_247:                              ;   in Loop: Header=BB4_128 Depth=2
	s_and_not1_saveexec_b32 s10, s42
; %bb.248:                              ;   in Loop: Header=BB4_128 Depth=2
	v_or_b32_e32 v62, 0x7e, v2
; %bb.249:                              ;   in Loop: Header=BB4_128 Depth=2
	s_or_b32 exec_lo, exec_lo, s10
                                        ; implicit-def: $vgpr2
.LBB4_250:                              ;   in Loop: Header=BB4_128 Depth=2
	s_and_not1_saveexec_b32 s10, s41
; %bb.251:                              ;   in Loop: Header=BB4_128 Depth=2
	v_or_b32_e32 v62, 0x7f, v2
; %bb.252:                              ;   in Loop: Header=BB4_128 Depth=2
	s_or_b32 exec_lo, exec_lo, s10
	v_lshrrev_b16 v3, 8, v38
	v_mov_b32_e32 v2, 0
	s_mov_b32 s10, exec_lo
	s_delay_alu instid0(VALU_DEP_2)
	v_cmpx_ne_u16_e32 0, v3
	s_cbranch_execz .LBB4_260
; %bb.253:                              ;   in Loop: Header=BB4_128 Depth=2
	v_bfrev_b32_e32 v2, 1
	s_mov_b32 s41, exec_lo
	v_cmpx_ne_u16_e32 0x80, v3
	s_cbranch_execz .LBB4_259
; %bb.254:                              ;   in Loop: Header=BB4_128 Depth=2
	v_and_b32_e32 v14, 0xffff, v3
	v_mov_b32_e32 v2, 0x7f800001
	s_mov_b32 s42, exec_lo
	s_delay_alu instid0(VALU_DEP_2) | instskip(NEXT) | instid1(VALU_DEP_1)
	v_and_b32_e32 v3, 0x7f, v14
	v_cmpx_ne_u32_e32 0x7f, v3
	s_cbranch_execz .LBB4_258
; %bb.255:                              ;   in Loop: Header=BB4_128 Depth=2
	v_dual_mov_b32 v15, v39 :: v_dual_bitop2_b32 v14, 7, v14 bitop3:0x40
	v_lshrrev_b32_e32 v2, 3, v3
	s_mov_b32 s43, exec_lo
	v_cmpx_gt_u32_e32 8, v3
; %bb.256:                              ;   in Loop: Header=BB4_128 Depth=2
	s_delay_alu instid0(VALU_DEP_3) | instskip(NEXT) | instid1(VALU_DEP_1)
	v_clz_i32_u32_e32 v2, v14
	v_min_u32_e32 v2, 32, v2
	s_delay_alu instid0(VALU_DEP_1) | instskip(SKIP_1) | instid1(VALU_DEP_2)
	v_subrev_nc_u32_e32 v3, 28, v2
	v_sub_nc_u32_e32 v2, 29, v2
	v_lshlrev_b64_e32 v[14:15], v3, v[14:15]
	s_delay_alu instid0(VALU_DEP_1)
	v_and_b32_e32 v14, 7, v14
; %bb.257:                              ;   in Loop: Header=BB4_128 Depth=2
	s_or_b32 exec_lo, exec_lo, s43
	v_lshlrev_b32_e32 v3, 16, v38
	s_delay_alu instid0(VALU_DEP_2) | instskip(SKIP_1) | instid1(VALU_DEP_3)
	v_lshlrev_b32_e32 v14, 20, v14
	v_lshl_add_u32 v2, v2, 23, 0x3c000000
	v_and_b32_e32 v3, 0x80000000, v3
	s_delay_alu instid0(VALU_DEP_1)
	v_or3_b32 v2, v14, v3, v2
.LBB4_258:                              ;   in Loop: Header=BB4_128 Depth=2
	s_or_b32 exec_lo, exec_lo, s42
.LBB4_259:                              ;   in Loop: Header=BB4_128 Depth=2
	s_delay_alu instid0(SALU_CYCLE_1)
	s_or_b32 exec_lo, exec_lo, s41
.LBB4_260:                              ;   in Loop: Header=BB4_128 Depth=2
	s_delay_alu instid0(SALU_CYCLE_1) | instskip(NEXT) | instid1(VALU_DEP_1)
	s_or_b32 exec_lo, exec_lo, s10
	v_mul_f32_e32 v3, s40, v2
                                        ; implicit-def: $vgpr77
	s_mov_b32 s10, exec_lo
	s_delay_alu instid0(VALU_DEP_1) | instskip(SKIP_1) | instid1(VALU_DEP_2)
	v_and_b32_e32 v38, 0x7f800000, v3
	v_lshrrev_b32_e32 v2, 24, v3
	v_cmpx_ne_u64_e32 0x7f800000, v[38:39]
	s_xor_b32 s41, exec_lo, s10
	s_cbranch_execz .LBB4_274
; %bb.261:                              ;   in Loop: Header=BB4_128 Depth=2
	v_and_b32_e32 v38, 0x7fffffff, v3
	v_and_b32_e32 v2, 0x80, v2
                                        ; implicit-def: $vgpr77
	s_mov_b32 s10, exec_lo
	s_delay_alu instid0(VALU_DEP_2)
	v_cmpx_gt_u64_e32 0x43e00001, v[38:39]
	s_xor_b32 s42, exec_lo, s10
	s_cbranch_execz .LBB4_271
; %bb.262:                              ;   in Loop: Header=BB4_128 Depth=2
	v_mov_b32_e32 v77, 0
	s_mov_b32 s43, exec_lo
	v_cmpx_ne_u32_e32 0, v3
	s_cbranch_execz .LBB4_270
; %bb.263:                              ;   in Loop: Header=BB4_128 Depth=2
	v_bfe_u32 v103, v3, 23, 8
	v_and_b32_e32 v3, 0x7fffff, v3
	s_delay_alu instid0(VALU_DEP_2) | instskip(SKIP_1) | instid1(VALU_DEP_3)
	v_sub_nc_u32_e32 v14, 0x79, v103
	v_cmp_gt_u32_e32 vcc_lo, 0x7a, v103
	v_or_b32_e32 v16, 0x800000, v3
	s_delay_alu instid0(VALU_DEP_3) | instskip(SKIP_1) | instid1(VALU_DEP_2)
	v_cndmask_b32_e32 v14, 0, v14, vcc_lo
	v_cmp_eq_u32_e32 vcc_lo, 0, v103
	v_cndmask_b32_e64 v113, v14, 0x78, vcc_lo
	s_delay_alu instid0(VALU_DEP_1) | instskip(SKIP_1) | instid1(VALU_DEP_2)
	v_dual_cndmask_b32 v38, v16, v3, vcc_lo :: v_dual_add_nc_u32 v14, 20, v113
	v_add_nc_u32_e32 v17, 19, v113
	v_lshlrev_b64_e64 v[14:15], v14, -1
	s_delay_alu instid0(VALU_DEP_2) | instskip(NEXT) | instid1(VALU_DEP_2)
	v_lshlrev_b64_e64 v[16:17], v17, 1
	v_bfi_b32 v21, v15, 0, 0
	s_delay_alu instid0(VALU_DEP_3) | instskip(SKIP_1) | instid1(VALU_DEP_2)
	v_bfi_b32 v20, v14, 0, v38
	v_lshrrev_b64 v[14:15], v113, v[38:39]
	v_cmp_eq_u64_e64 s10, v[20:21], v[16:17]
	s_delay_alu instid0(VALU_DEP_2)
	v_mov_b64_e32 v[16:17], v[14:15]
	s_and_saveexec_b32 s44, s10
; %bb.264:                              ;   in Loop: Header=BB4_128 Depth=2
	v_bfe_u32 v38, v14, 20, 1
	s_delay_alu instid0(VALU_DEP_1) | instskip(NEXT) | instid1(VALU_DEP_1)
	v_add_nc_u64_e32 v[16:17], v[14:15], v[38:39]
	v_add_nc_u64_e32 v[16:17], -1, v[16:17]
; %bb.265:                              ;   in Loop: Header=BB4_128 Depth=2
	s_or_b32 exec_lo, exec_lo, s44
	v_add_nc_u32_e32 v3, 0xffffff81, v103
	v_lshrrev_b32_e32 v15, 23, v14
	s_mov_b32 s10, exec_lo
	s_delay_alu instid0(VALU_DEP_2) | instskip(NEXT) | instid1(VALU_DEP_1)
	v_cndmask_b32_e64 v3, v3, 0xffffff82, vcc_lo
	v_add3_u32 v17, v113, v3, v15
	v_and_b32_e32 v3, 0xfffff, v16
	s_delay_alu instid0(VALU_DEP_1) | instskip(NEXT) | instid1(VALU_DEP_1)
	v_dual_add_nc_u32 v16, 6, v17 :: v_dual_add_nc_u32 v38, v3, v14
                                        ; implicit-def: $vgpr14_vgpr15
                                        ; implicit-def: $vgpr3
	v_cmpx_ne_u32_e32 0, v16
	s_xor_b32 s10, exec_lo, s10
; %bb.266:                              ;   in Loop: Header=BB4_128 Depth=2
	s_delay_alu instid0(VALU_DEP_2) | instskip(SKIP_2) | instid1(VALU_DEP_2)
	v_cmp_lt_u64_e32 vcc_lo, 0xffffff, v[38:39]
	v_add_nc_u32_e32 v3, 7, v17
	v_cndmask_b32_e64 v14, 0, 1, vcc_lo
	v_cndmask_b32_e32 v3, v16, v3, vcc_lo
	s_delay_alu instid0(VALU_DEP_2)
	v_lshrrev_b64 v[14:15], v14, v[38:39]
; %bb.267:                              ;   in Loop: Header=BB4_128 Depth=2
	s_and_not1_saveexec_b32 s10, s10
; %bb.268:                              ;   in Loop: Header=BB4_128 Depth=2
	v_mov_b64_e32 v[14:15], v[38:39]
	v_bfe_u32 v3, v38, 23, 1
; %bb.269:                              ;   in Loop: Header=BB4_128 Depth=2
	s_or_b32 exec_lo, exec_lo, s10
	s_delay_alu instid0(VALU_DEP_2) | instskip(NEXT) | instid1(VALU_DEP_2)
	v_lshrrev_b64 v[14:15], 20, v[14:15]
	v_cmp_gt_i32_e32 vcc_lo, 16, v3
	v_min_i32_e32 v16, 15, v3
	v_cmp_eq_u32_e64 s10, 0, v3
	s_delay_alu instid0(VALU_DEP_2) | instskip(SKIP_1) | instid1(VALU_DEP_2)
	v_dual_cndmask_b32 v14, 7, v14, vcc_lo :: v_dual_lshlrev_b32 v16, 3, v16
	v_cndmask_b32_e32 v15, 0, v15, vcc_lo
	v_and_b32_e32 v16, 0xf8, v16
	s_delay_alu instid0(VALU_DEP_2) | instskip(NEXT) | instid1(VALU_DEP_2)
	v_cmp_eq_u64_e32 vcc_lo, 0, v[14:15]
	v_and_or_b32 v3, v14, 7, v16
	s_and_b32 s10, s10, vcc_lo
	s_delay_alu instid0(VALU_DEP_1) | instid1(SALU_CYCLE_1)
	v_cndmask_b32_e64 v3, v3, 0, s10
	s_delay_alu instid0(VALU_DEP_1)
	v_or_b32_e32 v77, v3, v2
.LBB4_270:                              ;   in Loop: Header=BB4_128 Depth=2
	s_or_b32 exec_lo, exec_lo, s43
                                        ; implicit-def: $vgpr2
.LBB4_271:                              ;   in Loop: Header=BB4_128 Depth=2
	s_and_not1_saveexec_b32 s10, s42
; %bb.272:                              ;   in Loop: Header=BB4_128 Depth=2
	v_or_b32_e32 v77, 0x7e, v2
; %bb.273:                              ;   in Loop: Header=BB4_128 Depth=2
	s_or_b32 exec_lo, exec_lo, s10
                                        ; implicit-def: $vgpr2
.LBB4_274:                              ;   in Loop: Header=BB4_128 Depth=2
	s_and_not1_saveexec_b32 s10, s41
; %bb.275:                              ;   in Loop: Header=BB4_128 Depth=2
	v_or_b32_e32 v77, 0x7f, v2
; %bb.276:                              ;   in Loop: Header=BB4_128 Depth=2
	s_or_b32 exec_lo, exec_lo, s10
	v_dual_mov_b32 v3, 0 :: v_dual_lshrrev_b32 v2, 16, v11
	s_mov_b32 s10, exec_lo
	s_delay_alu instid0(VALU_DEP_1) | instskip(NEXT) | instid1(VALU_DEP_1)
	v_and_b32_e32 v14, 0xff, v2
	v_cmpx_ne_u16_e32 0, v14
	s_cbranch_execz .LBB4_284
; %bb.277:                              ;   in Loop: Header=BB4_128 Depth=2
	v_bfrev_b32_e32 v3, 1
	s_mov_b32 s41, exec_lo
	v_cmpx_ne_u16_e32 0x80, v14
	s_cbranch_execz .LBB4_283
; %bb.278:                              ;   in Loop: Header=BB4_128 Depth=2
	v_bfe_u32 v14, v11, 16, 7
	v_mov_b32_e32 v3, 0x7f800001
	s_mov_b32 s42, exec_lo
	s_delay_alu instid0(VALU_DEP_2)
	v_cmpx_ne_u32_e32 0x7f, v14
	s_cbranch_execz .LBB4_282
; %bb.279:                              ;   in Loop: Header=BB4_128 Depth=2
	v_and_b32_e32 v38, 7, v2
	v_lshrrev_b32_e32 v3, 3, v14
	s_mov_b32 s43, exec_lo
	v_cmpx_gt_u32_e32 8, v14
; %bb.280:                              ;   in Loop: Header=BB4_128 Depth=2
	s_delay_alu instid0(VALU_DEP_3) | instskip(NEXT) | instid1(VALU_DEP_1)
	v_clz_i32_u32_e32 v3, v38
	v_min_u32_e32 v3, 32, v3
	s_delay_alu instid0(VALU_DEP_1) | instskip(NEXT) | instid1(VALU_DEP_1)
	v_subrev_nc_u32_e32 v14, 28, v3
	v_lshlrev_b64_e32 v[14:15], v14, v[38:39]
	s_delay_alu instid0(VALU_DEP_1)
	v_dual_sub_nc_u32 v3, 29, v3 :: v_dual_bitop2_b32 v38, 7, v14 bitop3:0x40
; %bb.281:                              ;   in Loop: Header=BB4_128 Depth=2
	s_or_b32 exec_lo, exec_lo, s43
	v_lshlrev_b32_e32 v2, 24, v2
	s_delay_alu instid0(VALU_DEP_2) | instskip(NEXT) | instid1(VALU_DEP_3)
	v_lshlrev_b32_e32 v14, 20, v38
	v_lshl_add_u32 v3, v3, 23, 0x3c000000
	s_delay_alu instid0(VALU_DEP_3) | instskip(NEXT) | instid1(VALU_DEP_1)
	v_and_b32_e32 v2, 0x80000000, v2
	v_or3_b32 v3, v14, v2, v3
.LBB4_282:                              ;   in Loop: Header=BB4_128 Depth=2
	s_or_b32 exec_lo, exec_lo, s42
.LBB4_283:                              ;   in Loop: Header=BB4_128 Depth=2
	s_delay_alu instid0(SALU_CYCLE_1)
	s_or_b32 exec_lo, exec_lo, s41
.LBB4_284:                              ;   in Loop: Header=BB4_128 Depth=2
	s_delay_alu instid0(SALU_CYCLE_1) | instskip(NEXT) | instid1(VALU_DEP_1)
	s_or_b32 exec_lo, exec_lo, s10
	v_mul_f32_e32 v3, s40, v3
                                        ; implicit-def: $vgpr92
	s_mov_b32 s10, exec_lo
	s_delay_alu instid0(VALU_DEP_1) | instskip(SKIP_1) | instid1(VALU_DEP_2)
	v_and_b32_e32 v38, 0x7f800000, v3
	v_lshrrev_b32_e32 v2, 24, v3
	v_cmpx_ne_u64_e32 0x7f800000, v[38:39]
	s_xor_b32 s41, exec_lo, s10
	s_cbranch_execz .LBB4_298
; %bb.285:                              ;   in Loop: Header=BB4_128 Depth=2
	v_and_b32_e32 v38, 0x7fffffff, v3
	v_and_b32_e32 v2, 0x80, v2
                                        ; implicit-def: $vgpr92
	s_mov_b32 s10, exec_lo
	s_delay_alu instid0(VALU_DEP_2)
	v_cmpx_gt_u64_e32 0x43e00001, v[38:39]
	s_xor_b32 s42, exec_lo, s10
	s_cbranch_execz .LBB4_295
; %bb.286:                              ;   in Loop: Header=BB4_128 Depth=2
	v_mov_b32_e32 v92, 0
	s_mov_b32 s43, exec_lo
	v_cmpx_ne_u32_e32 0, v3
	s_cbranch_execz .LBB4_294
; %bb.287:                              ;   in Loop: Header=BB4_128 Depth=2
	v_bfe_u32 v103, v3, 23, 8
	v_and_b32_e32 v3, 0x7fffff, v3
	s_delay_alu instid0(VALU_DEP_2) | instskip(SKIP_1) | instid1(VALU_DEP_3)
	v_sub_nc_u32_e32 v14, 0x79, v103
	v_cmp_gt_u32_e32 vcc_lo, 0x7a, v103
	v_or_b32_e32 v16, 0x800000, v3
	s_delay_alu instid0(VALU_DEP_3) | instskip(SKIP_1) | instid1(VALU_DEP_2)
	v_cndmask_b32_e32 v14, 0, v14, vcc_lo
	v_cmp_eq_u32_e32 vcc_lo, 0, v103
	v_cndmask_b32_e64 v113, v14, 0x78, vcc_lo
	s_delay_alu instid0(VALU_DEP_1) | instskip(SKIP_1) | instid1(VALU_DEP_2)
	v_dual_cndmask_b32 v38, v16, v3, vcc_lo :: v_dual_add_nc_u32 v14, 20, v113
	v_add_nc_u32_e32 v17, 19, v113
	v_lshlrev_b64_e64 v[14:15], v14, -1
	s_delay_alu instid0(VALU_DEP_2) | instskip(NEXT) | instid1(VALU_DEP_2)
	v_lshlrev_b64_e64 v[16:17], v17, 1
	v_bfi_b32 v21, v15, 0, 0
	s_delay_alu instid0(VALU_DEP_3) | instskip(SKIP_1) | instid1(VALU_DEP_2)
	v_bfi_b32 v20, v14, 0, v38
	v_lshrrev_b64 v[14:15], v113, v[38:39]
	v_cmp_eq_u64_e64 s10, v[20:21], v[16:17]
	s_delay_alu instid0(VALU_DEP_2)
	v_mov_b64_e32 v[16:17], v[14:15]
	s_and_saveexec_b32 s44, s10
; %bb.288:                              ;   in Loop: Header=BB4_128 Depth=2
	v_bfe_u32 v38, v14, 20, 1
	s_delay_alu instid0(VALU_DEP_1) | instskip(NEXT) | instid1(VALU_DEP_1)
	v_add_nc_u64_e32 v[16:17], v[14:15], v[38:39]
	v_add_nc_u64_e32 v[16:17], -1, v[16:17]
; %bb.289:                              ;   in Loop: Header=BB4_128 Depth=2
	s_or_b32 exec_lo, exec_lo, s44
	v_add_nc_u32_e32 v3, 0xffffff81, v103
	v_lshrrev_b32_e32 v15, 23, v14
	s_mov_b32 s10, exec_lo
	s_delay_alu instid0(VALU_DEP_2) | instskip(NEXT) | instid1(VALU_DEP_1)
	v_cndmask_b32_e64 v3, v3, 0xffffff82, vcc_lo
	v_add3_u32 v17, v113, v3, v15
	v_and_b32_e32 v3, 0xfffff, v16
	s_delay_alu instid0(VALU_DEP_1) | instskip(NEXT) | instid1(VALU_DEP_1)
	v_dual_add_nc_u32 v16, 6, v17 :: v_dual_add_nc_u32 v38, v3, v14
                                        ; implicit-def: $vgpr14_vgpr15
                                        ; implicit-def: $vgpr3
	v_cmpx_ne_u32_e32 0, v16
	s_xor_b32 s10, exec_lo, s10
; %bb.290:                              ;   in Loop: Header=BB4_128 Depth=2
	s_delay_alu instid0(VALU_DEP_2) | instskip(SKIP_2) | instid1(VALU_DEP_2)
	v_cmp_lt_u64_e32 vcc_lo, 0xffffff, v[38:39]
	v_add_nc_u32_e32 v3, 7, v17
	v_cndmask_b32_e64 v14, 0, 1, vcc_lo
	v_cndmask_b32_e32 v3, v16, v3, vcc_lo
	s_delay_alu instid0(VALU_DEP_2)
	v_lshrrev_b64 v[14:15], v14, v[38:39]
; %bb.291:                              ;   in Loop: Header=BB4_128 Depth=2
	s_and_not1_saveexec_b32 s10, s10
; %bb.292:                              ;   in Loop: Header=BB4_128 Depth=2
	v_mov_b64_e32 v[14:15], v[38:39]
	v_bfe_u32 v3, v38, 23, 1
; %bb.293:                              ;   in Loop: Header=BB4_128 Depth=2
	s_or_b32 exec_lo, exec_lo, s10
	s_delay_alu instid0(VALU_DEP_2) | instskip(NEXT) | instid1(VALU_DEP_2)
	v_lshrrev_b64 v[14:15], 20, v[14:15]
	v_cmp_gt_i32_e32 vcc_lo, 16, v3
	v_min_i32_e32 v16, 15, v3
	v_cmp_eq_u32_e64 s10, 0, v3
	s_delay_alu instid0(VALU_DEP_2) | instskip(SKIP_1) | instid1(VALU_DEP_2)
	v_dual_cndmask_b32 v14, 7, v14, vcc_lo :: v_dual_lshlrev_b32 v16, 3, v16
	v_cndmask_b32_e32 v15, 0, v15, vcc_lo
	v_and_b32_e32 v16, 0xf8, v16
	s_delay_alu instid0(VALU_DEP_2) | instskip(NEXT) | instid1(VALU_DEP_2)
	v_cmp_eq_u64_e32 vcc_lo, 0, v[14:15]
	v_and_or_b32 v3, v14, 7, v16
	s_and_b32 s10, s10, vcc_lo
	s_delay_alu instid0(VALU_DEP_1) | instid1(SALU_CYCLE_1)
	v_cndmask_b32_e64 v3, v3, 0, s10
	s_delay_alu instid0(VALU_DEP_1)
	v_or_b32_e32 v92, v3, v2
.LBB4_294:                              ;   in Loop: Header=BB4_128 Depth=2
	s_or_b32 exec_lo, exec_lo, s43
                                        ; implicit-def: $vgpr2
.LBB4_295:                              ;   in Loop: Header=BB4_128 Depth=2
	s_and_not1_saveexec_b32 s10, s42
; %bb.296:                              ;   in Loop: Header=BB4_128 Depth=2
	v_or_b32_e32 v92, 0x7e, v2
; %bb.297:                              ;   in Loop: Header=BB4_128 Depth=2
	s_or_b32 exec_lo, exec_lo, s10
                                        ; implicit-def: $vgpr2
.LBB4_298:                              ;   in Loop: Header=BB4_128 Depth=2
	s_and_not1_saveexec_b32 s10, s41
; %bb.299:                              ;   in Loop: Header=BB4_128 Depth=2
	v_or_b32_e32 v92, 0x7f, v2
; %bb.300:                              ;   in Loop: Header=BB4_128 Depth=2
	s_or_b32 exec_lo, exec_lo, s10
	v_mov_b32_e32 v3, 0
	s_mov_b32 s10, exec_lo
	v_cmpx_lt_u64_e64 s[14:15], v[10:11]
	s_cbranch_execz .LBB4_308
; %bb.301:                              ;   in Loop: Header=BB4_128 Depth=2
	v_lshrrev_b32_e32 v2, 24, v11
	v_bfrev_b32_e32 v3, 1
	s_mov_b32 s41, exec_lo
	s_delay_alu instid0(VALU_DEP_2)
	v_cmpx_ne_u32_e32 0x80, v2
	s_cbranch_execz .LBB4_307
; %bb.302:                              ;   in Loop: Header=BB4_128 Depth=2
	v_bfe_u32 v10, v11, 24, 7
	v_mov_b32_e32 v3, 0x7f800001
	s_mov_b32 s42, exec_lo
	s_delay_alu instid0(VALU_DEP_2)
	v_cmpx_ne_u32_e32 0x7f, v10
	s_cbranch_execz .LBB4_306
; %bb.303:                              ;   in Loop: Header=BB4_128 Depth=2
	v_and_b32_e32 v38, 7, v2
	v_lshrrev_b32_e32 v3, 3, v10
	s_mov_b32 s43, exec_lo
	v_cmpx_gt_u32_e32 8, v10
; %bb.304:                              ;   in Loop: Header=BB4_128 Depth=2
	s_delay_alu instid0(VALU_DEP_3) | instskip(NEXT) | instid1(VALU_DEP_1)
	v_clz_i32_u32_e32 v3, v38
	v_min_u32_e32 v3, 32, v3
	s_delay_alu instid0(VALU_DEP_1) | instskip(NEXT) | instid1(VALU_DEP_1)
	v_subrev_nc_u32_e32 v10, 28, v3
	v_lshlrev_b64_e32 v[10:11], v10, v[38:39]
	s_delay_alu instid0(VALU_DEP_1)
	v_dual_sub_nc_u32 v3, 29, v3 :: v_dual_bitop2_b32 v38, 7, v10 bitop3:0x40
; %bb.305:                              ;   in Loop: Header=BB4_128 Depth=2
	s_or_b32 exec_lo, exec_lo, s43
	v_lshlrev_b32_e32 v2, 24, v2
	s_delay_alu instid0(VALU_DEP_2) | instskip(NEXT) | instid1(VALU_DEP_3)
	v_lshlrev_b32_e32 v10, 20, v38
	v_lshl_add_u32 v3, v3, 23, 0x3c000000
	s_delay_alu instid0(VALU_DEP_3) | instskip(NEXT) | instid1(VALU_DEP_1)
	v_and_b32_e32 v2, 0x80000000, v2
	v_or3_b32 v3, v10, v2, v3
.LBB4_306:                              ;   in Loop: Header=BB4_128 Depth=2
	s_or_b32 exec_lo, exec_lo, s42
.LBB4_307:                              ;   in Loop: Header=BB4_128 Depth=2
	s_delay_alu instid0(SALU_CYCLE_1)
	s_or_b32 exec_lo, exec_lo, s41
.LBB4_308:                              ;   in Loop: Header=BB4_128 Depth=2
	s_delay_alu instid0(SALU_CYCLE_1) | instskip(NEXT) | instid1(VALU_DEP_1)
	s_or_b32 exec_lo, exec_lo, s10
	v_mul_f32_e32 v3, s40, v3
                                        ; implicit-def: $vgpr93
	s_mov_b32 s10, exec_lo
	s_delay_alu instid0(VALU_DEP_1) | instskip(SKIP_1) | instid1(VALU_DEP_2)
	v_and_b32_e32 v38, 0x7f800000, v3
	v_lshrrev_b32_e32 v2, 24, v3
	v_cmpx_ne_u64_e32 0x7f800000, v[38:39]
	s_xor_b32 s41, exec_lo, s10
	s_cbranch_execz .LBB4_322
; %bb.309:                              ;   in Loop: Header=BB4_128 Depth=2
	v_and_b32_e32 v38, 0x7fffffff, v3
	v_and_b32_e32 v2, 0x80, v2
                                        ; implicit-def: $vgpr93
	s_mov_b32 s10, exec_lo
	s_delay_alu instid0(VALU_DEP_2)
	v_cmpx_gt_u64_e32 0x43e00001, v[38:39]
	s_xor_b32 s42, exec_lo, s10
	s_cbranch_execz .LBB4_319
; %bb.310:                              ;   in Loop: Header=BB4_128 Depth=2
	v_mov_b32_e32 v93, 0
	s_mov_b32 s43, exec_lo
	v_cmpx_ne_u32_e32 0, v3
	s_cbranch_execz .LBB4_318
; %bb.311:                              ;   in Loop: Header=BB4_128 Depth=2
	v_bfe_u32 v16, v3, 23, 8
	v_and_b32_e32 v3, 0x7fffff, v3
	s_delay_alu instid0(VALU_DEP_2) | instskip(SKIP_1) | instid1(VALU_DEP_3)
	v_sub_nc_u32_e32 v10, 0x79, v16
	v_cmp_gt_u32_e32 vcc_lo, 0x7a, v16
	v_or_b32_e32 v14, 0x800000, v3
	s_delay_alu instid0(VALU_DEP_3) | instskip(SKIP_1) | instid1(VALU_DEP_2)
	v_cndmask_b32_e32 v10, 0, v10, vcc_lo
	v_cmp_eq_u32_e32 vcc_lo, 0, v16
	v_cndmask_b32_e64 v17, v10, 0x78, vcc_lo
	s_delay_alu instid0(VALU_DEP_1) | instskip(SKIP_1) | instid1(VALU_DEP_2)
	v_dual_cndmask_b32 v38, v14, v3, vcc_lo :: v_dual_add_nc_u32 v10, 20, v17
	v_add_nc_u32_e32 v15, 19, v17
	v_lshlrev_b64_e64 v[10:11], v10, -1
	s_delay_alu instid0(VALU_DEP_2) | instskip(NEXT) | instid1(VALU_DEP_2)
	v_lshlrev_b64_e64 v[14:15], v15, 1
	v_bfi_b32 v21, v11, 0, 0
	s_delay_alu instid0(VALU_DEP_3) | instskip(SKIP_1) | instid1(VALU_DEP_2)
	v_bfi_b32 v20, v10, 0, v38
	v_lshrrev_b64 v[10:11], v17, v[38:39]
	v_cmp_eq_u64_e64 s10, v[20:21], v[14:15]
	s_delay_alu instid0(VALU_DEP_2)
	v_mov_b64_e32 v[14:15], v[10:11]
	s_and_saveexec_b32 s44, s10
; %bb.312:                              ;   in Loop: Header=BB4_128 Depth=2
	v_bfe_u32 v38, v10, 20, 1
	s_delay_alu instid0(VALU_DEP_1) | instskip(NEXT) | instid1(VALU_DEP_1)
	v_add_nc_u64_e32 v[14:15], v[10:11], v[38:39]
	v_add_nc_u64_e32 v[14:15], -1, v[14:15]
; %bb.313:                              ;   in Loop: Header=BB4_128 Depth=2
	s_or_b32 exec_lo, exec_lo, s44
	v_add_nc_u32_e32 v3, 0xffffff81, v16
	v_lshrrev_b32_e32 v11, 23, v10
	s_mov_b32 s10, exec_lo
	s_delay_alu instid0(VALU_DEP_2) | instskip(NEXT) | instid1(VALU_DEP_1)
	v_cndmask_b32_e64 v3, v3, 0xffffff82, vcc_lo
	v_add3_u32 v15, v17, v3, v11
	v_and_b32_e32 v3, 0xfffff, v14
	s_delay_alu instid0(VALU_DEP_1) | instskip(NEXT) | instid1(VALU_DEP_1)
	v_dual_add_nc_u32 v14, 6, v15 :: v_dual_add_nc_u32 v38, v3, v10
                                        ; implicit-def: $vgpr10_vgpr11
                                        ; implicit-def: $vgpr3
	v_cmpx_ne_u32_e32 0, v14
	s_xor_b32 s10, exec_lo, s10
; %bb.314:                              ;   in Loop: Header=BB4_128 Depth=2
	s_delay_alu instid0(VALU_DEP_2) | instskip(SKIP_2) | instid1(VALU_DEP_2)
	v_cmp_lt_u64_e32 vcc_lo, 0xffffff, v[38:39]
	v_add_nc_u32_e32 v3, 7, v15
	v_cndmask_b32_e64 v10, 0, 1, vcc_lo
	v_cndmask_b32_e32 v3, v14, v3, vcc_lo
	s_delay_alu instid0(VALU_DEP_2)
	v_lshrrev_b64 v[10:11], v10, v[38:39]
; %bb.315:                              ;   in Loop: Header=BB4_128 Depth=2
	s_and_not1_saveexec_b32 s10, s10
; %bb.316:                              ;   in Loop: Header=BB4_128 Depth=2
	v_mov_b64_e32 v[10:11], v[38:39]
	v_bfe_u32 v3, v38, 23, 1
; %bb.317:                              ;   in Loop: Header=BB4_128 Depth=2
	s_or_b32 exec_lo, exec_lo, s10
	s_delay_alu instid0(VALU_DEP_2) | instskip(NEXT) | instid1(VALU_DEP_2)
	v_lshrrev_b64 v[10:11], 20, v[10:11]
	v_cmp_gt_i32_e32 vcc_lo, 16, v3
	v_min_i32_e32 v14, 15, v3
	v_cmp_eq_u32_e64 s10, 0, v3
	s_delay_alu instid0(VALU_DEP_4) | instskip(NEXT) | instid1(VALU_DEP_3)
	v_cndmask_b32_e32 v10, 7, v10, vcc_lo
	v_dual_cndmask_b32 v11, 0, v11 :: v_dual_lshlrev_b32 v14, 3, v14
	s_delay_alu instid0(VALU_DEP_1) | instskip(NEXT) | instid1(VALU_DEP_2)
	v_and_b32_e32 v14, 0xf8, v14
	v_cmp_eq_u64_e32 vcc_lo, 0, v[10:11]
	s_delay_alu instid0(VALU_DEP_2)
	v_and_or_b32 v3, v10, 7, v14
	s_and_b32 s10, s10, vcc_lo
	s_delay_alu instid0(VALU_DEP_1) | instid1(SALU_CYCLE_1)
	v_cndmask_b32_e64 v3, v3, 0, s10
	s_delay_alu instid0(VALU_DEP_1)
	v_or_b32_e32 v93, v3, v2
.LBB4_318:                              ;   in Loop: Header=BB4_128 Depth=2
	s_or_b32 exec_lo, exec_lo, s43
                                        ; implicit-def: $vgpr2
.LBB4_319:                              ;   in Loop: Header=BB4_128 Depth=2
	s_and_not1_saveexec_b32 s10, s42
; %bb.320:                              ;   in Loop: Header=BB4_128 Depth=2
	v_or_b32_e32 v93, 0x7e, v2
; %bb.321:                              ;   in Loop: Header=BB4_128 Depth=2
	s_or_b32 exec_lo, exec_lo, s10
                                        ; implicit-def: $vgpr2
.LBB4_322:                              ;   in Loop: Header=BB4_128 Depth=2
	s_and_not1_saveexec_b32 s10, s41
; %bb.323:                              ;   in Loop: Header=BB4_128 Depth=2
	v_or_b32_e32 v93, 0x7f, v2
; %bb.324:                              ;   in Loop: Header=BB4_128 Depth=2
	s_or_b32 exec_lo, exec_lo, s10
	v_and_b32_e32 v3, 0xff, v12
	v_mov_b32_e32 v2, 0
	s_mov_b32 s10, exec_lo
	s_delay_alu instid0(VALU_DEP_2)
	v_cmpx_ne_u16_e32 0, v3
	s_cbranch_execz .LBB4_330
; %bb.325:                              ;   in Loop: Header=BB4_128 Depth=2
	v_bfrev_b32_e32 v2, 1
	s_mov_b32 s41, exec_lo
	v_cmpx_ne_u16_e32 0x80, v3
	s_cbranch_execz .LBB4_329
; %bb.326:                              ;   in Loop: Header=BB4_128 Depth=2
	v_and_b32_e32 v3, 0x7f, v12
	v_mov_b32_e32 v2, 0x7f800001
	s_mov_b32 s42, exec_lo
	s_delay_alu instid0(VALU_DEP_2)
	v_cmpx_ne_u32_e32 0x7f, v3
	s_cbranch_execz .LBB4_328
; %bb.327:                              ;   in Loop: Header=BB4_128 Depth=2
	v_dual_lshrrev_b32 v10, 3, v3 :: v_dual_bitop2_b32 v2, 7, v12 bitop3:0x40
	v_cmp_gt_u32_e32 vcc_lo, 8, v3
	s_delay_alu instid0(VALU_DEP_2) | instskip(NEXT) | instid1(VALU_DEP_1)
	v_clz_i32_u32_e32 v2, v2
	v_min_u32_e32 v2, 32, v2
	s_delay_alu instid0(VALU_DEP_1) | instskip(SKIP_1) | instid1(VALU_DEP_1)
	v_subrev_nc_u32_e32 v11, 28, v2
	v_sub_nc_u32_e32 v2, 29, v2
	v_dual_cndmask_b32 v10, v10, v2, vcc_lo :: v_dual_cndmask_b32 v2, 0, v11, vcc_lo
	s_delay_alu instid0(VALU_DEP_1) | instskip(NEXT) | instid1(VALU_DEP_2)
	v_lshl_add_u32 v10, v10, 23, 0x3c000000
	v_lshlrev_b64_e32 v[2:3], v2, v[12:13]
	v_lshlrev_b32_e32 v3, 24, v12
	s_delay_alu instid0(VALU_DEP_1) | instskip(NEXT) | instid1(VALU_DEP_3)
	v_and_b32_e32 v3, 0x80000000, v3
	v_lshlrev_b32_e32 v2, 20, v2
	s_delay_alu instid0(VALU_DEP_1) | instskip(NEXT) | instid1(VALU_DEP_1)
	v_and_b32_e32 v2, 0x700000, v2
	v_or3_b32 v2, v2, v3, v10
.LBB4_328:                              ;   in Loop: Header=BB4_128 Depth=2
	s_or_b32 exec_lo, exec_lo, s42
.LBB4_329:                              ;   in Loop: Header=BB4_128 Depth=2
	s_delay_alu instid0(SALU_CYCLE_1)
	s_or_b32 exec_lo, exec_lo, s41
.LBB4_330:                              ;   in Loop: Header=BB4_128 Depth=2
	s_delay_alu instid0(SALU_CYCLE_1) | instskip(NEXT) | instid1(VALU_DEP_1)
	s_or_b32 exec_lo, exec_lo, s10
	v_mul_f32_e32 v3, s40, v2
                                        ; implicit-def: $vgpr75
	s_mov_b32 s10, exec_lo
	s_delay_alu instid0(VALU_DEP_1) | instskip(SKIP_1) | instid1(VALU_DEP_2)
	v_and_b32_e32 v38, 0x7f800000, v3
	v_lshrrev_b32_e32 v2, 24, v3
	v_cmpx_ne_u64_e32 0x7f800000, v[38:39]
	s_xor_b32 s41, exec_lo, s10
	s_cbranch_execz .LBB4_344
; %bb.331:                              ;   in Loop: Header=BB4_128 Depth=2
	v_and_b32_e32 v38, 0x7fffffff, v3
	v_and_b32_e32 v2, 0x80, v2
                                        ; implicit-def: $vgpr75
	s_mov_b32 s10, exec_lo
	s_delay_alu instid0(VALU_DEP_2)
	v_cmpx_gt_u64_e32 0x43e00001, v[38:39]
	s_xor_b32 s42, exec_lo, s10
	s_cbranch_execz .LBB4_341
; %bb.332:                              ;   in Loop: Header=BB4_128 Depth=2
	v_mov_b32_e32 v75, 0
	s_mov_b32 s43, exec_lo
	v_cmpx_ne_u32_e32 0, v3
	s_cbranch_execz .LBB4_340
; %bb.333:                              ;   in Loop: Header=BB4_128 Depth=2
	v_bfe_u32 v16, v3, 23, 8
	v_and_b32_e32 v3, 0x7fffff, v3
	s_delay_alu instid0(VALU_DEP_2) | instskip(SKIP_1) | instid1(VALU_DEP_3)
	v_sub_nc_u32_e32 v10, 0x79, v16
	v_cmp_gt_u32_e32 vcc_lo, 0x7a, v16
	v_or_b32_e32 v14, 0x800000, v3
	s_delay_alu instid0(VALU_DEP_3) | instskip(SKIP_1) | instid1(VALU_DEP_2)
	v_cndmask_b32_e32 v10, 0, v10, vcc_lo
	v_cmp_eq_u32_e32 vcc_lo, 0, v16
	v_cndmask_b32_e64 v17, v10, 0x78, vcc_lo
	s_delay_alu instid0(VALU_DEP_1) | instskip(SKIP_1) | instid1(VALU_DEP_2)
	v_dual_cndmask_b32 v38, v14, v3, vcc_lo :: v_dual_add_nc_u32 v10, 20, v17
	v_add_nc_u32_e32 v15, 19, v17
	v_lshlrev_b64_e64 v[10:11], v10, -1
	s_delay_alu instid0(VALU_DEP_2) | instskip(NEXT) | instid1(VALU_DEP_2)
	v_lshlrev_b64_e64 v[14:15], v15, 1
	v_bfi_b32 v21, v11, 0, 0
	s_delay_alu instid0(VALU_DEP_3) | instskip(SKIP_1) | instid1(VALU_DEP_2)
	v_bfi_b32 v20, v10, 0, v38
	v_lshrrev_b64 v[10:11], v17, v[38:39]
	v_cmp_eq_u64_e64 s10, v[20:21], v[14:15]
	s_delay_alu instid0(VALU_DEP_2)
	v_mov_b64_e32 v[14:15], v[10:11]
	s_and_saveexec_b32 s44, s10
; %bb.334:                              ;   in Loop: Header=BB4_128 Depth=2
	v_bfe_u32 v38, v10, 20, 1
	s_delay_alu instid0(VALU_DEP_1) | instskip(NEXT) | instid1(VALU_DEP_1)
	v_add_nc_u64_e32 v[14:15], v[10:11], v[38:39]
	v_add_nc_u64_e32 v[14:15], -1, v[14:15]
; %bb.335:                              ;   in Loop: Header=BB4_128 Depth=2
	s_or_b32 exec_lo, exec_lo, s44
	v_add_nc_u32_e32 v3, 0xffffff81, v16
	v_lshrrev_b32_e32 v11, 23, v10
	s_mov_b32 s10, exec_lo
	s_delay_alu instid0(VALU_DEP_2) | instskip(NEXT) | instid1(VALU_DEP_1)
	v_cndmask_b32_e64 v3, v3, 0xffffff82, vcc_lo
	v_add3_u32 v15, v17, v3, v11
	v_and_b32_e32 v3, 0xfffff, v14
	s_delay_alu instid0(VALU_DEP_1) | instskip(NEXT) | instid1(VALU_DEP_1)
	v_dual_add_nc_u32 v14, 6, v15 :: v_dual_add_nc_u32 v38, v3, v10
                                        ; implicit-def: $vgpr10_vgpr11
                                        ; implicit-def: $vgpr3
	v_cmpx_ne_u32_e32 0, v14
	s_xor_b32 s10, exec_lo, s10
; %bb.336:                              ;   in Loop: Header=BB4_128 Depth=2
	s_delay_alu instid0(VALU_DEP_2) | instskip(SKIP_2) | instid1(VALU_DEP_2)
	v_cmp_lt_u64_e32 vcc_lo, 0xffffff, v[38:39]
	v_add_nc_u32_e32 v3, 7, v15
	v_cndmask_b32_e64 v10, 0, 1, vcc_lo
	v_cndmask_b32_e32 v3, v14, v3, vcc_lo
	s_delay_alu instid0(VALU_DEP_2)
	v_lshrrev_b64 v[10:11], v10, v[38:39]
; %bb.337:                              ;   in Loop: Header=BB4_128 Depth=2
	s_and_not1_saveexec_b32 s10, s10
; %bb.338:                              ;   in Loop: Header=BB4_128 Depth=2
	v_mov_b64_e32 v[10:11], v[38:39]
	v_bfe_u32 v3, v38, 23, 1
; %bb.339:                              ;   in Loop: Header=BB4_128 Depth=2
	s_or_b32 exec_lo, exec_lo, s10
	s_delay_alu instid0(VALU_DEP_2) | instskip(NEXT) | instid1(VALU_DEP_2)
	v_lshrrev_b64 v[10:11], 20, v[10:11]
	v_cmp_gt_i32_e32 vcc_lo, 16, v3
	v_min_i32_e32 v14, 15, v3
	v_cmp_eq_u32_e64 s10, 0, v3
	s_delay_alu instid0(VALU_DEP_4) | instskip(NEXT) | instid1(VALU_DEP_3)
	v_cndmask_b32_e32 v10, 7, v10, vcc_lo
	v_dual_cndmask_b32 v11, 0, v11 :: v_dual_lshlrev_b32 v14, 3, v14
	s_delay_alu instid0(VALU_DEP_1) | instskip(NEXT) | instid1(VALU_DEP_2)
	v_and_b32_e32 v14, 0xf8, v14
	v_cmp_eq_u64_e32 vcc_lo, 0, v[10:11]
	s_delay_alu instid0(VALU_DEP_2)
	v_and_or_b32 v3, v10, 7, v14
	s_and_b32 s10, s10, vcc_lo
	s_delay_alu instid0(VALU_DEP_1) | instid1(SALU_CYCLE_1)
	v_cndmask_b32_e64 v3, v3, 0, s10
	s_delay_alu instid0(VALU_DEP_1)
	v_or_b32_e32 v75, v3, v2
.LBB4_340:                              ;   in Loop: Header=BB4_128 Depth=2
	s_or_b32 exec_lo, exec_lo, s43
                                        ; implicit-def: $vgpr2
.LBB4_341:                              ;   in Loop: Header=BB4_128 Depth=2
	s_and_not1_saveexec_b32 s10, s42
; %bb.342:                              ;   in Loop: Header=BB4_128 Depth=2
	v_or_b32_e32 v75, 0x7e, v2
; %bb.343:                              ;   in Loop: Header=BB4_128 Depth=2
	s_or_b32 exec_lo, exec_lo, s10
                                        ; implicit-def: $vgpr2
.LBB4_344:                              ;   in Loop: Header=BB4_128 Depth=2
	s_and_not1_saveexec_b32 s10, s41
; %bb.345:                              ;   in Loop: Header=BB4_128 Depth=2
	v_or_b32_e32 v75, 0x7f, v2
; %bb.346:                              ;   in Loop: Header=BB4_128 Depth=2
	s_or_b32 exec_lo, exec_lo, s10
	v_lshrrev_b16 v3, 8, v12
	v_mov_b32_e32 v2, 0
	s_mov_b32 s10, exec_lo
	s_delay_alu instid0(VALU_DEP_2)
	v_cmpx_ne_u16_e32 0, v3
	s_cbranch_execz .LBB4_354
; %bb.347:                              ;   in Loop: Header=BB4_128 Depth=2
	v_bfrev_b32_e32 v2, 1
	s_mov_b32 s41, exec_lo
	v_cmpx_ne_u16_e32 0x80, v3
	s_cbranch_execz .LBB4_353
; %bb.348:                              ;   in Loop: Header=BB4_128 Depth=2
	v_and_b32_e32 v10, 0xffff, v3
	v_mov_b32_e32 v2, 0x7f800001
	s_mov_b32 s42, exec_lo
	s_delay_alu instid0(VALU_DEP_2) | instskip(NEXT) | instid1(VALU_DEP_1)
	v_and_b32_e32 v3, 0x7f, v10
	v_cmpx_ne_u32_e32 0x7f, v3
	s_cbranch_execz .LBB4_352
; %bb.349:                              ;   in Loop: Header=BB4_128 Depth=2
	v_dual_lshrrev_b32 v2, 3, v3 :: v_dual_bitop2_b32 v38, 7, v10 bitop3:0x40
	s_mov_b32 s43, exec_lo
	v_cmpx_gt_u32_e32 8, v3
; %bb.350:                              ;   in Loop: Header=BB4_128 Depth=2
	s_delay_alu instid0(VALU_DEP_2) | instskip(NEXT) | instid1(VALU_DEP_1)
	v_clz_i32_u32_e32 v2, v38
	v_min_u32_e32 v2, 32, v2
	s_delay_alu instid0(VALU_DEP_1) | instskip(SKIP_1) | instid1(VALU_DEP_2)
	v_subrev_nc_u32_e32 v3, 28, v2
	v_sub_nc_u32_e32 v2, 29, v2
	v_lshlrev_b64_e32 v[10:11], v3, v[38:39]
	s_delay_alu instid0(VALU_DEP_1)
	v_and_b32_e32 v38, 7, v10
; %bb.351:                              ;   in Loop: Header=BB4_128 Depth=2
	s_or_b32 exec_lo, exec_lo, s43
	s_delay_alu instid0(VALU_DEP_1) | instskip(SKIP_1) | instid1(VALU_DEP_2)
	v_dual_lshlrev_b32 v3, 16, v12 :: v_dual_lshlrev_b32 v10, 20, v38
	v_lshl_add_u32 v2, v2, 23, 0x3c000000
	v_and_b32_e32 v3, 0x80000000, v3
	s_delay_alu instid0(VALU_DEP_1)
	v_or3_b32 v2, v10, v3, v2
.LBB4_352:                              ;   in Loop: Header=BB4_128 Depth=2
	s_or_b32 exec_lo, exec_lo, s42
.LBB4_353:                              ;   in Loop: Header=BB4_128 Depth=2
	s_delay_alu instid0(SALU_CYCLE_1)
	s_or_b32 exec_lo, exec_lo, s41
.LBB4_354:                              ;   in Loop: Header=BB4_128 Depth=2
	s_delay_alu instid0(SALU_CYCLE_1) | instskip(NEXT) | instid1(VALU_DEP_1)
	s_or_b32 exec_lo, exec_lo, s10
	v_mul_f32_e32 v3, s40, v2
                                        ; implicit-def: $vgpr88
	s_mov_b32 s10, exec_lo
	s_delay_alu instid0(VALU_DEP_1) | instskip(SKIP_1) | instid1(VALU_DEP_2)
	v_and_b32_e32 v38, 0x7f800000, v3
	v_lshrrev_b32_e32 v2, 24, v3
	v_cmpx_ne_u64_e32 0x7f800000, v[38:39]
	s_xor_b32 s41, exec_lo, s10
	s_cbranch_execz .LBB4_368
; %bb.355:                              ;   in Loop: Header=BB4_128 Depth=2
	v_and_b32_e32 v38, 0x7fffffff, v3
	v_and_b32_e32 v2, 0x80, v2
                                        ; implicit-def: $vgpr88
	s_mov_b32 s10, exec_lo
	s_delay_alu instid0(VALU_DEP_2)
	v_cmpx_gt_u64_e32 0x43e00001, v[38:39]
	s_xor_b32 s42, exec_lo, s10
	s_cbranch_execz .LBB4_365
; %bb.356:                              ;   in Loop: Header=BB4_128 Depth=2
	v_mov_b32_e32 v88, 0
	s_mov_b32 s43, exec_lo
	v_cmpx_ne_u32_e32 0, v3
	s_cbranch_execz .LBB4_364
; %bb.357:                              ;   in Loop: Header=BB4_128 Depth=2
	v_bfe_u32 v16, v3, 23, 8
	v_and_b32_e32 v3, 0x7fffff, v3
	s_delay_alu instid0(VALU_DEP_2) | instskip(SKIP_1) | instid1(VALU_DEP_3)
	v_sub_nc_u32_e32 v10, 0x79, v16
	v_cmp_gt_u32_e32 vcc_lo, 0x7a, v16
	v_or_b32_e32 v14, 0x800000, v3
	s_delay_alu instid0(VALU_DEP_3) | instskip(SKIP_1) | instid1(VALU_DEP_2)
	v_cndmask_b32_e32 v10, 0, v10, vcc_lo
	v_cmp_eq_u32_e32 vcc_lo, 0, v16
	v_cndmask_b32_e64 v17, v10, 0x78, vcc_lo
	s_delay_alu instid0(VALU_DEP_1) | instskip(SKIP_1) | instid1(VALU_DEP_2)
	v_dual_cndmask_b32 v38, v14, v3, vcc_lo :: v_dual_add_nc_u32 v10, 20, v17
	v_add_nc_u32_e32 v15, 19, v17
	v_lshlrev_b64_e64 v[10:11], v10, -1
	s_delay_alu instid0(VALU_DEP_2) | instskip(NEXT) | instid1(VALU_DEP_2)
	v_lshlrev_b64_e64 v[14:15], v15, 1
	v_bfi_b32 v21, v11, 0, 0
	s_delay_alu instid0(VALU_DEP_3) | instskip(SKIP_1) | instid1(VALU_DEP_2)
	v_bfi_b32 v20, v10, 0, v38
	v_lshrrev_b64 v[10:11], v17, v[38:39]
	v_cmp_eq_u64_e64 s10, v[20:21], v[14:15]
	s_delay_alu instid0(VALU_DEP_2)
	v_mov_b64_e32 v[14:15], v[10:11]
	s_and_saveexec_b32 s44, s10
; %bb.358:                              ;   in Loop: Header=BB4_128 Depth=2
	v_bfe_u32 v38, v10, 20, 1
	s_delay_alu instid0(VALU_DEP_1) | instskip(NEXT) | instid1(VALU_DEP_1)
	v_add_nc_u64_e32 v[14:15], v[10:11], v[38:39]
	v_add_nc_u64_e32 v[14:15], -1, v[14:15]
; %bb.359:                              ;   in Loop: Header=BB4_128 Depth=2
	s_or_b32 exec_lo, exec_lo, s44
	v_add_nc_u32_e32 v3, 0xffffff81, v16
	v_lshrrev_b32_e32 v11, 23, v10
	s_mov_b32 s10, exec_lo
	s_delay_alu instid0(VALU_DEP_2) | instskip(NEXT) | instid1(VALU_DEP_1)
	v_cndmask_b32_e64 v3, v3, 0xffffff82, vcc_lo
	v_add3_u32 v15, v17, v3, v11
	v_and_b32_e32 v3, 0xfffff, v14
	s_delay_alu instid0(VALU_DEP_1) | instskip(NEXT) | instid1(VALU_DEP_1)
	v_dual_add_nc_u32 v14, 6, v15 :: v_dual_add_nc_u32 v38, v3, v10
                                        ; implicit-def: $vgpr10_vgpr11
                                        ; implicit-def: $vgpr3
	v_cmpx_ne_u32_e32 0, v14
	s_xor_b32 s10, exec_lo, s10
; %bb.360:                              ;   in Loop: Header=BB4_128 Depth=2
	s_delay_alu instid0(VALU_DEP_2) | instskip(SKIP_2) | instid1(VALU_DEP_2)
	v_cmp_lt_u64_e32 vcc_lo, 0xffffff, v[38:39]
	v_add_nc_u32_e32 v3, 7, v15
	v_cndmask_b32_e64 v10, 0, 1, vcc_lo
	v_cndmask_b32_e32 v3, v14, v3, vcc_lo
	s_delay_alu instid0(VALU_DEP_2)
	v_lshrrev_b64 v[10:11], v10, v[38:39]
; %bb.361:                              ;   in Loop: Header=BB4_128 Depth=2
	s_and_not1_saveexec_b32 s10, s10
; %bb.362:                              ;   in Loop: Header=BB4_128 Depth=2
	v_mov_b64_e32 v[10:11], v[38:39]
	v_bfe_u32 v3, v38, 23, 1
; %bb.363:                              ;   in Loop: Header=BB4_128 Depth=2
	s_or_b32 exec_lo, exec_lo, s10
	s_delay_alu instid0(VALU_DEP_2) | instskip(NEXT) | instid1(VALU_DEP_2)
	v_lshrrev_b64 v[10:11], 20, v[10:11]
	v_cmp_gt_i32_e32 vcc_lo, 16, v3
	v_min_i32_e32 v14, 15, v3
	v_cmp_eq_u32_e64 s10, 0, v3
	s_delay_alu instid0(VALU_DEP_4) | instskip(NEXT) | instid1(VALU_DEP_3)
	v_cndmask_b32_e32 v10, 7, v10, vcc_lo
	v_dual_cndmask_b32 v11, 0, v11 :: v_dual_lshlrev_b32 v14, 3, v14
	s_delay_alu instid0(VALU_DEP_1) | instskip(NEXT) | instid1(VALU_DEP_2)
	v_and_b32_e32 v14, 0xf8, v14
	v_cmp_eq_u64_e32 vcc_lo, 0, v[10:11]
	s_delay_alu instid0(VALU_DEP_2)
	v_and_or_b32 v3, v10, 7, v14
	s_and_b32 s10, s10, vcc_lo
	s_delay_alu instid0(VALU_DEP_1) | instid1(SALU_CYCLE_1)
	v_cndmask_b32_e64 v3, v3, 0, s10
	s_delay_alu instid0(VALU_DEP_1)
	v_or_b32_e32 v88, v3, v2
.LBB4_364:                              ;   in Loop: Header=BB4_128 Depth=2
	s_or_b32 exec_lo, exec_lo, s43
                                        ; implicit-def: $vgpr2
.LBB4_365:                              ;   in Loop: Header=BB4_128 Depth=2
	s_and_not1_saveexec_b32 s10, s42
; %bb.366:                              ;   in Loop: Header=BB4_128 Depth=2
	v_or_b32_e32 v88, 0x7e, v2
; %bb.367:                              ;   in Loop: Header=BB4_128 Depth=2
	s_or_b32 exec_lo, exec_lo, s10
                                        ; implicit-def: $vgpr2
.LBB4_368:                              ;   in Loop: Header=BB4_128 Depth=2
	s_and_not1_saveexec_b32 s10, s41
; %bb.369:                              ;   in Loop: Header=BB4_128 Depth=2
	v_or_b32_e32 v88, 0x7f, v2
; %bb.370:                              ;   in Loop: Header=BB4_128 Depth=2
	s_or_b32 exec_lo, exec_lo, s10
	v_dual_mov_b32 v3, 0 :: v_dual_lshrrev_b32 v2, 16, v12
	s_mov_b32 s10, exec_lo
	s_delay_alu instid0(VALU_DEP_1) | instskip(NEXT) | instid1(VALU_DEP_1)
	v_and_b32_e32 v10, 0xff, v2
	v_cmpx_ne_u16_e32 0, v10
	s_cbranch_execz .LBB4_378
; %bb.371:                              ;   in Loop: Header=BB4_128 Depth=2
	v_bfrev_b32_e32 v3, 1
	s_mov_b32 s41, exec_lo
	v_cmpx_ne_u16_e32 0x80, v10
	s_cbranch_execz .LBB4_377
; %bb.372:                              ;   in Loop: Header=BB4_128 Depth=2
	v_bfe_u32 v10, v12, 16, 7
	v_mov_b32_e32 v3, 0x7f800001
	s_mov_b32 s42, exec_lo
	s_delay_alu instid0(VALU_DEP_2)
	v_cmpx_ne_u32_e32 0x7f, v10
	s_cbranch_execz .LBB4_376
; %bb.373:                              ;   in Loop: Header=BB4_128 Depth=2
	v_and_b32_e32 v38, 7, v2
	v_lshrrev_b32_e32 v3, 3, v10
	s_mov_b32 s43, exec_lo
	v_cmpx_gt_u32_e32 8, v10
; %bb.374:                              ;   in Loop: Header=BB4_128 Depth=2
	s_delay_alu instid0(VALU_DEP_3) | instskip(NEXT) | instid1(VALU_DEP_1)
	v_clz_i32_u32_e32 v3, v38
	v_min_u32_e32 v3, 32, v3
	s_delay_alu instid0(VALU_DEP_1) | instskip(NEXT) | instid1(VALU_DEP_1)
	v_subrev_nc_u32_e32 v10, 28, v3
	v_lshlrev_b64_e32 v[10:11], v10, v[38:39]
	s_delay_alu instid0(VALU_DEP_1)
	v_dual_sub_nc_u32 v3, 29, v3 :: v_dual_bitop2_b32 v38, 7, v10 bitop3:0x40
; %bb.375:                              ;   in Loop: Header=BB4_128 Depth=2
	s_or_b32 exec_lo, exec_lo, s43
	v_lshlrev_b32_e32 v2, 24, v2
	s_delay_alu instid0(VALU_DEP_2) | instskip(NEXT) | instid1(VALU_DEP_3)
	v_lshlrev_b32_e32 v10, 20, v38
	v_lshl_add_u32 v3, v3, 23, 0x3c000000
	s_delay_alu instid0(VALU_DEP_3) | instskip(NEXT) | instid1(VALU_DEP_1)
	v_and_b32_e32 v2, 0x80000000, v2
	v_or3_b32 v3, v10, v2, v3
.LBB4_376:                              ;   in Loop: Header=BB4_128 Depth=2
	s_or_b32 exec_lo, exec_lo, s42
.LBB4_377:                              ;   in Loop: Header=BB4_128 Depth=2
	s_delay_alu instid0(SALU_CYCLE_1)
	s_or_b32 exec_lo, exec_lo, s41
.LBB4_378:                              ;   in Loop: Header=BB4_128 Depth=2
	s_delay_alu instid0(SALU_CYCLE_1) | instskip(NEXT) | instid1(VALU_DEP_1)
	s_or_b32 exec_lo, exec_lo, s10
	v_mul_f32_e32 v3, s40, v3
                                        ; implicit-def: $vgpr90
	s_mov_b32 s10, exec_lo
	s_delay_alu instid0(VALU_DEP_1) | instskip(SKIP_1) | instid1(VALU_DEP_2)
	v_and_b32_e32 v38, 0x7f800000, v3
	v_lshrrev_b32_e32 v2, 24, v3
	v_cmpx_ne_u64_e32 0x7f800000, v[38:39]
	s_xor_b32 s41, exec_lo, s10
	s_cbranch_execz .LBB4_392
; %bb.379:                              ;   in Loop: Header=BB4_128 Depth=2
	v_and_b32_e32 v38, 0x7fffffff, v3
	v_and_b32_e32 v2, 0x80, v2
                                        ; implicit-def: $vgpr90
	s_mov_b32 s10, exec_lo
	s_delay_alu instid0(VALU_DEP_2)
	v_cmpx_gt_u64_e32 0x43e00001, v[38:39]
	s_xor_b32 s42, exec_lo, s10
	s_cbranch_execz .LBB4_389
; %bb.380:                              ;   in Loop: Header=BB4_128 Depth=2
	v_mov_b32_e32 v90, 0
	s_mov_b32 s43, exec_lo
	v_cmpx_ne_u32_e32 0, v3
	s_cbranch_execz .LBB4_388
; %bb.381:                              ;   in Loop: Header=BB4_128 Depth=2
	v_bfe_u32 v16, v3, 23, 8
	v_and_b32_e32 v3, 0x7fffff, v3
	s_delay_alu instid0(VALU_DEP_2) | instskip(SKIP_1) | instid1(VALU_DEP_3)
	v_sub_nc_u32_e32 v10, 0x79, v16
	v_cmp_gt_u32_e32 vcc_lo, 0x7a, v16
	v_or_b32_e32 v14, 0x800000, v3
	s_delay_alu instid0(VALU_DEP_3) | instskip(SKIP_1) | instid1(VALU_DEP_2)
	v_cndmask_b32_e32 v10, 0, v10, vcc_lo
	v_cmp_eq_u32_e32 vcc_lo, 0, v16
	v_cndmask_b32_e64 v17, v10, 0x78, vcc_lo
	s_delay_alu instid0(VALU_DEP_1) | instskip(SKIP_1) | instid1(VALU_DEP_2)
	v_dual_cndmask_b32 v38, v14, v3, vcc_lo :: v_dual_add_nc_u32 v10, 20, v17
	v_add_nc_u32_e32 v15, 19, v17
	v_lshlrev_b64_e64 v[10:11], v10, -1
	s_delay_alu instid0(VALU_DEP_2) | instskip(NEXT) | instid1(VALU_DEP_2)
	v_lshlrev_b64_e64 v[14:15], v15, 1
	v_bfi_b32 v21, v11, 0, 0
	s_delay_alu instid0(VALU_DEP_3) | instskip(SKIP_1) | instid1(VALU_DEP_2)
	v_bfi_b32 v20, v10, 0, v38
	v_lshrrev_b64 v[10:11], v17, v[38:39]
	v_cmp_eq_u64_e64 s10, v[20:21], v[14:15]
	s_delay_alu instid0(VALU_DEP_2)
	v_mov_b64_e32 v[14:15], v[10:11]
	s_and_saveexec_b32 s44, s10
; %bb.382:                              ;   in Loop: Header=BB4_128 Depth=2
	v_bfe_u32 v38, v10, 20, 1
	s_delay_alu instid0(VALU_DEP_1) | instskip(NEXT) | instid1(VALU_DEP_1)
	v_add_nc_u64_e32 v[14:15], v[10:11], v[38:39]
	v_add_nc_u64_e32 v[14:15], -1, v[14:15]
; %bb.383:                              ;   in Loop: Header=BB4_128 Depth=2
	s_or_b32 exec_lo, exec_lo, s44
	v_add_nc_u32_e32 v3, 0xffffff81, v16
	v_lshrrev_b32_e32 v11, 23, v10
	s_mov_b32 s10, exec_lo
	s_delay_alu instid0(VALU_DEP_2) | instskip(NEXT) | instid1(VALU_DEP_1)
	v_cndmask_b32_e64 v3, v3, 0xffffff82, vcc_lo
	v_add3_u32 v15, v17, v3, v11
	v_and_b32_e32 v3, 0xfffff, v14
	s_delay_alu instid0(VALU_DEP_1) | instskip(NEXT) | instid1(VALU_DEP_1)
	v_dual_add_nc_u32 v14, 6, v15 :: v_dual_add_nc_u32 v38, v3, v10
                                        ; implicit-def: $vgpr10_vgpr11
                                        ; implicit-def: $vgpr3
	v_cmpx_ne_u32_e32 0, v14
	s_xor_b32 s10, exec_lo, s10
; %bb.384:                              ;   in Loop: Header=BB4_128 Depth=2
	s_delay_alu instid0(VALU_DEP_2) | instskip(SKIP_2) | instid1(VALU_DEP_2)
	v_cmp_lt_u64_e32 vcc_lo, 0xffffff, v[38:39]
	v_add_nc_u32_e32 v3, 7, v15
	v_cndmask_b32_e64 v10, 0, 1, vcc_lo
	v_cndmask_b32_e32 v3, v14, v3, vcc_lo
	s_delay_alu instid0(VALU_DEP_2)
	v_lshrrev_b64 v[10:11], v10, v[38:39]
; %bb.385:                              ;   in Loop: Header=BB4_128 Depth=2
	s_and_not1_saveexec_b32 s10, s10
; %bb.386:                              ;   in Loop: Header=BB4_128 Depth=2
	v_mov_b64_e32 v[10:11], v[38:39]
	v_bfe_u32 v3, v38, 23, 1
; %bb.387:                              ;   in Loop: Header=BB4_128 Depth=2
	s_or_b32 exec_lo, exec_lo, s10
	s_delay_alu instid0(VALU_DEP_2) | instskip(NEXT) | instid1(VALU_DEP_2)
	v_lshrrev_b64 v[10:11], 20, v[10:11]
	v_cmp_gt_i32_e32 vcc_lo, 16, v3
	v_min_i32_e32 v14, 15, v3
	v_cmp_eq_u32_e64 s10, 0, v3
	s_delay_alu instid0(VALU_DEP_4) | instskip(NEXT) | instid1(VALU_DEP_3)
	v_cndmask_b32_e32 v10, 7, v10, vcc_lo
	v_dual_cndmask_b32 v11, 0, v11 :: v_dual_lshlrev_b32 v14, 3, v14
	s_delay_alu instid0(VALU_DEP_1) | instskip(NEXT) | instid1(VALU_DEP_2)
	v_and_b32_e32 v14, 0xf8, v14
	v_cmp_eq_u64_e32 vcc_lo, 0, v[10:11]
	s_delay_alu instid0(VALU_DEP_2)
	v_and_or_b32 v3, v10, 7, v14
	s_and_b32 s10, s10, vcc_lo
	s_delay_alu instid0(VALU_DEP_1) | instid1(SALU_CYCLE_1)
	v_cndmask_b32_e64 v3, v3, 0, s10
	s_delay_alu instid0(VALU_DEP_1)
	v_or_b32_e32 v90, v3, v2
.LBB4_388:                              ;   in Loop: Header=BB4_128 Depth=2
	s_or_b32 exec_lo, exec_lo, s43
                                        ; implicit-def: $vgpr2
.LBB4_389:                              ;   in Loop: Header=BB4_128 Depth=2
	s_and_not1_saveexec_b32 s10, s42
; %bb.390:                              ;   in Loop: Header=BB4_128 Depth=2
	v_or_b32_e32 v90, 0x7e, v2
; %bb.391:                              ;   in Loop: Header=BB4_128 Depth=2
	s_or_b32 exec_lo, exec_lo, s10
                                        ; implicit-def: $vgpr2
.LBB4_392:                              ;   in Loop: Header=BB4_128 Depth=2
	s_and_not1_saveexec_b32 s10, s41
; %bb.393:                              ;   in Loop: Header=BB4_128 Depth=2
	v_or_b32_e32 v90, 0x7f, v2
; %bb.394:                              ;   in Loop: Header=BB4_128 Depth=2
	s_or_b32 exec_lo, exec_lo, s10
	v_mov_b32_e32 v3, 0
	s_mov_b32 s10, exec_lo
	v_cmpx_lt_u32_e32 0xffffff, v12
	s_cbranch_execz .LBB4_402
; %bb.395:                              ;   in Loop: Header=BB4_128 Depth=2
	v_lshrrev_b32_e32 v2, 24, v12
	v_bfrev_b32_e32 v3, 1
	s_mov_b32 s41, exec_lo
	s_delay_alu instid0(VALU_DEP_2)
	v_cmpx_ne_u32_e32 0x80, v2
	s_cbranch_execz .LBB4_401
; %bb.396:                              ;   in Loop: Header=BB4_128 Depth=2
	v_bfe_u32 v10, v12, 24, 7
	v_mov_b32_e32 v3, 0x7f800001
	s_mov_b32 s42, exec_lo
	s_delay_alu instid0(VALU_DEP_2)
	v_cmpx_ne_u32_e32 0x7f, v10
	s_cbranch_execz .LBB4_400
; %bb.397:                              ;   in Loop: Header=BB4_128 Depth=2
	v_and_b32_e32 v38, 7, v2
	v_lshrrev_b32_e32 v3, 3, v10
	s_mov_b32 s43, exec_lo
	v_cmpx_gt_u32_e32 8, v10
; %bb.398:                              ;   in Loop: Header=BB4_128 Depth=2
	s_delay_alu instid0(VALU_DEP_3) | instskip(NEXT) | instid1(VALU_DEP_1)
	v_clz_i32_u32_e32 v3, v38
	v_min_u32_e32 v3, 32, v3
	s_delay_alu instid0(VALU_DEP_1) | instskip(NEXT) | instid1(VALU_DEP_1)
	v_subrev_nc_u32_e32 v10, 28, v3
	v_lshlrev_b64_e32 v[10:11], v10, v[38:39]
	s_delay_alu instid0(VALU_DEP_1)
	v_dual_sub_nc_u32 v3, 29, v3 :: v_dual_bitop2_b32 v38, 7, v10 bitop3:0x40
; %bb.399:                              ;   in Loop: Header=BB4_128 Depth=2
	s_or_b32 exec_lo, exec_lo, s43
	v_lshlrev_b32_e32 v2, 24, v2
	s_delay_alu instid0(VALU_DEP_2) | instskip(NEXT) | instid1(VALU_DEP_3)
	v_lshlrev_b32_e32 v10, 20, v38
	v_lshl_add_u32 v3, v3, 23, 0x3c000000
	s_delay_alu instid0(VALU_DEP_3) | instskip(NEXT) | instid1(VALU_DEP_1)
	v_and_b32_e32 v2, 0x80000000, v2
	v_or3_b32 v3, v10, v2, v3
.LBB4_400:                              ;   in Loop: Header=BB4_128 Depth=2
	s_or_b32 exec_lo, exec_lo, s42
.LBB4_401:                              ;   in Loop: Header=BB4_128 Depth=2
	s_delay_alu instid0(SALU_CYCLE_1)
	s_or_b32 exec_lo, exec_lo, s41
.LBB4_402:                              ;   in Loop: Header=BB4_128 Depth=2
	s_delay_alu instid0(SALU_CYCLE_1) | instskip(NEXT) | instid1(VALU_DEP_1)
	s_or_b32 exec_lo, exec_lo, s10
	v_mul_f32_e32 v3, s40, v3
                                        ; implicit-def: $vgpr91
	s_mov_b32 s10, exec_lo
	s_delay_alu instid0(VALU_DEP_1) | instskip(SKIP_1) | instid1(VALU_DEP_2)
	v_and_b32_e32 v38, 0x7f800000, v3
	v_lshrrev_b32_e32 v2, 24, v3
	v_cmpx_ne_u64_e32 0x7f800000, v[38:39]
	s_xor_b32 s41, exec_lo, s10
	s_cbranch_execz .LBB4_416
; %bb.403:                              ;   in Loop: Header=BB4_128 Depth=2
	v_and_b32_e32 v38, 0x7fffffff, v3
	v_and_b32_e32 v2, 0x80, v2
                                        ; implicit-def: $vgpr91
	s_mov_b32 s10, exec_lo
	s_delay_alu instid0(VALU_DEP_2)
	v_cmpx_gt_u64_e32 0x43e00001, v[38:39]
	s_xor_b32 s42, exec_lo, s10
	s_cbranch_execz .LBB4_413
; %bb.404:                              ;   in Loop: Header=BB4_128 Depth=2
	v_mov_b32_e32 v91, 0
	s_mov_b32 s43, exec_lo
	v_cmpx_ne_u32_e32 0, v3
	s_cbranch_execz .LBB4_412
; %bb.405:                              ;   in Loop: Header=BB4_128 Depth=2
	v_bfe_u32 v16, v3, 23, 8
	v_and_b32_e32 v3, 0x7fffff, v3
	s_delay_alu instid0(VALU_DEP_2) | instskip(SKIP_1) | instid1(VALU_DEP_3)
	v_sub_nc_u32_e32 v10, 0x79, v16
	v_cmp_gt_u32_e32 vcc_lo, 0x7a, v16
	v_or_b32_e32 v14, 0x800000, v3
	s_delay_alu instid0(VALU_DEP_3) | instskip(SKIP_1) | instid1(VALU_DEP_2)
	v_cndmask_b32_e32 v10, 0, v10, vcc_lo
	v_cmp_eq_u32_e32 vcc_lo, 0, v16
	v_cndmask_b32_e64 v17, v10, 0x78, vcc_lo
	s_delay_alu instid0(VALU_DEP_1) | instskip(SKIP_1) | instid1(VALU_DEP_2)
	v_dual_cndmask_b32 v38, v14, v3, vcc_lo :: v_dual_add_nc_u32 v10, 20, v17
	v_add_nc_u32_e32 v15, 19, v17
	v_lshlrev_b64_e64 v[10:11], v10, -1
	s_delay_alu instid0(VALU_DEP_2) | instskip(NEXT) | instid1(VALU_DEP_2)
	v_lshlrev_b64_e64 v[14:15], v15, 1
	v_bfi_b32 v21, v11, 0, 0
	s_delay_alu instid0(VALU_DEP_3) | instskip(SKIP_1) | instid1(VALU_DEP_2)
	v_bfi_b32 v20, v10, 0, v38
	v_lshrrev_b64 v[10:11], v17, v[38:39]
	v_cmp_eq_u64_e64 s10, v[20:21], v[14:15]
	s_delay_alu instid0(VALU_DEP_2)
	v_mov_b64_e32 v[14:15], v[10:11]
	s_and_saveexec_b32 s44, s10
; %bb.406:                              ;   in Loop: Header=BB4_128 Depth=2
	v_bfe_u32 v38, v10, 20, 1
	s_delay_alu instid0(VALU_DEP_1) | instskip(NEXT) | instid1(VALU_DEP_1)
	v_add_nc_u64_e32 v[14:15], v[10:11], v[38:39]
	v_add_nc_u64_e32 v[14:15], -1, v[14:15]
; %bb.407:                              ;   in Loop: Header=BB4_128 Depth=2
	s_or_b32 exec_lo, exec_lo, s44
	v_add_nc_u32_e32 v3, 0xffffff81, v16
	v_lshrrev_b32_e32 v11, 23, v10
	s_mov_b32 s10, exec_lo
	s_delay_alu instid0(VALU_DEP_2) | instskip(NEXT) | instid1(VALU_DEP_1)
	v_cndmask_b32_e64 v3, v3, 0xffffff82, vcc_lo
	v_add3_u32 v15, v17, v3, v11
	v_and_b32_e32 v3, 0xfffff, v14
	s_delay_alu instid0(VALU_DEP_1) | instskip(NEXT) | instid1(VALU_DEP_1)
	v_dual_add_nc_u32 v14, 6, v15 :: v_dual_add_nc_u32 v38, v3, v10
                                        ; implicit-def: $vgpr10_vgpr11
                                        ; implicit-def: $vgpr3
	v_cmpx_ne_u32_e32 0, v14
	s_xor_b32 s10, exec_lo, s10
; %bb.408:                              ;   in Loop: Header=BB4_128 Depth=2
	s_delay_alu instid0(VALU_DEP_2) | instskip(SKIP_2) | instid1(VALU_DEP_2)
	v_cmp_lt_u64_e32 vcc_lo, 0xffffff, v[38:39]
	v_add_nc_u32_e32 v3, 7, v15
	v_cndmask_b32_e64 v10, 0, 1, vcc_lo
	v_cndmask_b32_e32 v3, v14, v3, vcc_lo
	s_delay_alu instid0(VALU_DEP_2)
	v_lshrrev_b64 v[10:11], v10, v[38:39]
; %bb.409:                              ;   in Loop: Header=BB4_128 Depth=2
	s_and_not1_saveexec_b32 s10, s10
; %bb.410:                              ;   in Loop: Header=BB4_128 Depth=2
	v_mov_b64_e32 v[10:11], v[38:39]
	v_bfe_u32 v3, v38, 23, 1
; %bb.411:                              ;   in Loop: Header=BB4_128 Depth=2
	s_or_b32 exec_lo, exec_lo, s10
	s_delay_alu instid0(VALU_DEP_2) | instskip(NEXT) | instid1(VALU_DEP_2)
	v_lshrrev_b64 v[10:11], 20, v[10:11]
	v_cmp_gt_i32_e32 vcc_lo, 16, v3
	v_min_i32_e32 v14, 15, v3
	v_cmp_eq_u32_e64 s10, 0, v3
	s_delay_alu instid0(VALU_DEP_4) | instskip(NEXT) | instid1(VALU_DEP_3)
	v_cndmask_b32_e32 v10, 7, v10, vcc_lo
	v_dual_cndmask_b32 v11, 0, v11 :: v_dual_lshlrev_b32 v14, 3, v14
	s_delay_alu instid0(VALU_DEP_1) | instskip(NEXT) | instid1(VALU_DEP_2)
	v_and_b32_e32 v14, 0xf8, v14
	v_cmp_eq_u64_e32 vcc_lo, 0, v[10:11]
	s_delay_alu instid0(VALU_DEP_2)
	v_and_or_b32 v3, v10, 7, v14
	s_and_b32 s10, s10, vcc_lo
	s_delay_alu instid0(VALU_DEP_1) | instid1(SALU_CYCLE_1)
	v_cndmask_b32_e64 v3, v3, 0, s10
	s_delay_alu instid0(VALU_DEP_1)
	v_or_b32_e32 v91, v3, v2
.LBB4_412:                              ;   in Loop: Header=BB4_128 Depth=2
	s_or_b32 exec_lo, exec_lo, s43
                                        ; implicit-def: $vgpr2
.LBB4_413:                              ;   in Loop: Header=BB4_128 Depth=2
	s_and_not1_saveexec_b32 s10, s42
; %bb.414:                              ;   in Loop: Header=BB4_128 Depth=2
	v_or_b32_e32 v91, 0x7e, v2
; %bb.415:                              ;   in Loop: Header=BB4_128 Depth=2
	s_or_b32 exec_lo, exec_lo, s10
                                        ; implicit-def: $vgpr2
.LBB4_416:                              ;   in Loop: Header=BB4_128 Depth=2
	s_and_not1_saveexec_b32 s10, s41
; %bb.417:                              ;   in Loop: Header=BB4_128 Depth=2
	v_or_b32_e32 v91, 0x7f, v2
; %bb.418:                              ;   in Loop: Header=BB4_128 Depth=2
	s_or_b32 exec_lo, exec_lo, s10
	v_and_b32_e32 v3, 0xff, v13
	v_dual_mov_b32 v38, v13 :: v_dual_mov_b32 v2, 0
	s_mov_b32 s10, exec_lo
	s_delay_alu instid0(VALU_DEP_2)
	v_cmpx_ne_u16_e32 0, v3
	s_cbranch_execz .LBB4_424
; %bb.419:                              ;   in Loop: Header=BB4_128 Depth=2
	v_bfrev_b32_e32 v2, 1
	s_mov_b32 s41, exec_lo
	v_cmpx_ne_u16_e32 0x80, v3
	s_cbranch_execz .LBB4_423
; %bb.420:                              ;   in Loop: Header=BB4_128 Depth=2
	v_and_b32_e32 v3, 0x7f, v13
	v_mov_b32_e32 v2, 0x7f800001
	s_mov_b32 s42, exec_lo
	s_delay_alu instid0(VALU_DEP_2)
	v_cmpx_ne_u32_e32 0x7f, v3
	s_cbranch_execz .LBB4_422
; %bb.421:                              ;   in Loop: Header=BB4_128 Depth=2
	v_dual_lshrrev_b32 v10, 3, v3 :: v_dual_bitop2_b32 v2, 7, v13 bitop3:0x40
	v_cmp_gt_u32_e32 vcc_lo, 8, v3
	s_delay_alu instid0(VALU_DEP_2) | instskip(NEXT) | instid1(VALU_DEP_1)
	v_clz_i32_u32_e32 v2, v2
	v_min_u32_e32 v2, 32, v2
	s_delay_alu instid0(VALU_DEP_1) | instskip(SKIP_1) | instid1(VALU_DEP_1)
	v_subrev_nc_u32_e32 v11, 28, v2
	v_sub_nc_u32_e32 v2, 29, v2
	v_dual_cndmask_b32 v10, v10, v2, vcc_lo :: v_dual_cndmask_b32 v2, 0, v11, vcc_lo
	s_delay_alu instid0(VALU_DEP_1) | instskip(NEXT) | instid1(VALU_DEP_2)
	v_lshl_add_u32 v10, v10, 23, 0x3c000000
	v_lshlrev_b64_e32 v[2:3], v2, v[38:39]
	v_lshlrev_b32_e32 v3, 24, v38
	s_delay_alu instid0(VALU_DEP_1) | instskip(NEXT) | instid1(VALU_DEP_3)
	v_and_b32_e32 v3, 0x80000000, v3
	v_lshlrev_b32_e32 v2, 20, v2
	s_delay_alu instid0(VALU_DEP_1) | instskip(NEXT) | instid1(VALU_DEP_1)
	v_and_b32_e32 v2, 0x700000, v2
	v_or3_b32 v2, v2, v3, v10
.LBB4_422:                              ;   in Loop: Header=BB4_128 Depth=2
	s_or_b32 exec_lo, exec_lo, s42
.LBB4_423:                              ;   in Loop: Header=BB4_128 Depth=2
	s_delay_alu instid0(SALU_CYCLE_1)
	s_or_b32 exec_lo, exec_lo, s41
.LBB4_424:                              ;   in Loop: Header=BB4_128 Depth=2
	s_delay_alu instid0(SALU_CYCLE_1) | instskip(NEXT) | instid1(VALU_DEP_1)
	s_or_b32 exec_lo, exec_lo, s10
	v_dual_mul_f32 v3, s40, v2 :: v_dual_mov_b32 v11, v39
                                        ; implicit-def: $vgpr63
	s_mov_b32 s10, exec_lo
	s_delay_alu instid0(VALU_DEP_1) | instskip(SKIP_1) | instid1(VALU_DEP_2)
	v_and_b32_e32 v10, 0x7f800000, v3
	v_lshrrev_b32_e32 v2, 24, v3
	v_cmpx_ne_u64_e32 0x7f800000, v[10:11]
	s_xor_b32 s41, exec_lo, s10
	s_cbranch_execz .LBB4_438
; %bb.425:                              ;   in Loop: Header=BB4_128 Depth=2
	v_and_b32_e32 v10, 0x7fffffff, v3
	v_mov_b32_e32 v11, v39
	v_and_b32_e32 v2, 0x80, v2
                                        ; implicit-def: $vgpr63
	s_mov_b32 s10, exec_lo
	s_delay_alu instid0(VALU_DEP_2)
	v_cmpx_gt_u64_e32 0x43e00001, v[10:11]
	s_xor_b32 s42, exec_lo, s10
	s_cbranch_execz .LBB4_435
; %bb.426:                              ;   in Loop: Header=BB4_128 Depth=2
	v_mov_b32_e32 v63, 0
	s_mov_b32 s43, exec_lo
	v_cmpx_ne_u32_e32 0, v3
	s_cbranch_execz .LBB4_434
; %bb.427:                              ;   in Loop: Header=BB4_128 Depth=2
	v_bfe_u32 v16, v3, 23, 8
	v_and_b32_e32 v3, 0x7fffff, v3
	s_mov_b32 s44, exec_lo
	s_delay_alu instid0(VALU_DEP_2) | instskip(SKIP_1) | instid1(VALU_DEP_3)
	v_dual_mov_b32 v15, v39 :: v_dual_sub_nc_u32 v10, 0x79, v16
	v_cmp_gt_u32_e32 vcc_lo, 0x7a, v16
	v_or_b32_e32 v14, 0x800000, v3
	s_delay_alu instid0(VALU_DEP_3) | instskip(SKIP_1) | instid1(VALU_DEP_2)
	v_cndmask_b32_e32 v10, 0, v10, vcc_lo
	v_cmp_eq_u32_e32 vcc_lo, 0, v16
	v_cndmask_b32_e64 v17, v10, 0x78, vcc_lo
	s_delay_alu instid0(VALU_DEP_1) | instskip(SKIP_1) | instid1(VALU_DEP_2)
	v_dual_cndmask_b32 v14, v14, v3, vcc_lo :: v_dual_add_nc_u32 v10, 20, v17
	v_add_nc_u32_e32 v20, 19, v17
	v_lshlrev_b64_e64 v[10:11], v10, -1
	s_delay_alu instid0(VALU_DEP_2) | instskip(NEXT) | instid1(VALU_DEP_2)
	v_lshlrev_b64_e64 v[20:21], v20, 1
	v_bfi_b32 v41, v11, 0, 0
	s_delay_alu instid0(VALU_DEP_3) | instskip(SKIP_1) | instid1(VALU_DEP_1)
	v_bfi_b32 v40, v10, 0, v14
	v_lshrrev_b64 v[10:11], v17, v[14:15]
	v_mov_b64_e32 v[14:15], v[10:11]
	s_delay_alu instid0(VALU_DEP_3)
	v_cmpx_eq_u64_e64 v[40:41], v[20:21]
; %bb.428:                              ;   in Loop: Header=BB4_128 Depth=2
	v_bfe_u32 v14, v10, 20, 1
	v_mov_b32_e32 v15, v39
	s_delay_alu instid0(VALU_DEP_1) | instskip(NEXT) | instid1(VALU_DEP_1)
	v_add_nc_u64_e32 v[14:15], v[10:11], v[14:15]
	v_add_nc_u64_e32 v[14:15], -1, v[14:15]
; %bb.429:                              ;   in Loop: Header=BB4_128 Depth=2
	s_or_b32 exec_lo, exec_lo, s44
	v_add_nc_u32_e32 v3, 0xffffff81, v16
	v_lshrrev_b32_e32 v11, 23, v10
	s_mov_b32 s10, exec_lo
	s_delay_alu instid0(VALU_DEP_2) | instskip(NEXT) | instid1(VALU_DEP_1)
	v_cndmask_b32_e64 v3, v3, 0xffffff82, vcc_lo
	v_add3_u32 v15, v17, v3, v11
	v_and_b32_e32 v3, 0xfffff, v14
	s_delay_alu instid0(VALU_DEP_2) | instskip(NEXT) | instid1(VALU_DEP_2)
	v_dual_mov_b32 v11, v39 :: v_dual_add_nc_u32 v14, 6, v15
	v_add_nc_u32_e32 v10, v3, v10
                                        ; implicit-def: $vgpr3
	s_delay_alu instid0(VALU_DEP_2)
	v_cmpx_ne_u32_e32 0, v14
	s_xor_b32 s10, exec_lo, s10
; %bb.430:                              ;   in Loop: Header=BB4_128 Depth=2
	s_delay_alu instid0(VALU_DEP_2) | instskip(SKIP_1) | instid1(VALU_DEP_1)
	v_cmp_lt_u64_e32 vcc_lo, 0xffffff, v[10:11]
	v_add_nc_u32_e32 v3, 7, v15
	v_cndmask_b32_e32 v3, v14, v3, vcc_lo
	v_cndmask_b32_e64 v14, 0, 1, vcc_lo
	s_delay_alu instid0(VALU_DEP_1)
	v_lshrrev_b64 v[10:11], v14, v[10:11]
; %bb.431:                              ;   in Loop: Header=BB4_128 Depth=2
	s_and_not1_saveexec_b32 s10, s10
; %bb.432:                              ;   in Loop: Header=BB4_128 Depth=2
	s_delay_alu instid0(VALU_DEP_1)
	v_bfe_u32 v3, v10, 23, 1
; %bb.433:                              ;   in Loop: Header=BB4_128 Depth=2
	s_or_b32 exec_lo, exec_lo, s10
	s_delay_alu instid0(VALU_DEP_2) | instskip(NEXT) | instid1(VALU_DEP_2)
	v_lshrrev_b64 v[10:11], 20, v[10:11]
	v_cmp_gt_i32_e32 vcc_lo, 16, v3
	v_min_i32_e32 v14, 15, v3
	v_cmp_eq_u32_e64 s10, 0, v3
	s_delay_alu instid0(VALU_DEP_4) | instskip(NEXT) | instid1(VALU_DEP_3)
	v_cndmask_b32_e32 v10, 7, v10, vcc_lo
	v_dual_cndmask_b32 v11, 0, v11 :: v_dual_lshlrev_b32 v14, 3, v14
	s_delay_alu instid0(VALU_DEP_1) | instskip(NEXT) | instid1(VALU_DEP_2)
	v_and_b32_e32 v14, 0xf8, v14
	v_cmp_eq_u64_e32 vcc_lo, 0, v[10:11]
	s_delay_alu instid0(VALU_DEP_2)
	v_and_or_b32 v3, v10, 7, v14
	s_and_b32 s10, s10, vcc_lo
	s_delay_alu instid0(VALU_DEP_1) | instid1(SALU_CYCLE_1)
	v_cndmask_b32_e64 v3, v3, 0, s10
	s_delay_alu instid0(VALU_DEP_1)
	v_or_b32_e32 v63, v3, v2
.LBB4_434:                              ;   in Loop: Header=BB4_128 Depth=2
	s_or_b32 exec_lo, exec_lo, s43
                                        ; implicit-def: $vgpr2
.LBB4_435:                              ;   in Loop: Header=BB4_128 Depth=2
	s_and_not1_saveexec_b32 s10, s42
; %bb.436:                              ;   in Loop: Header=BB4_128 Depth=2
	v_or_b32_e32 v63, 0x7e, v2
; %bb.437:                              ;   in Loop: Header=BB4_128 Depth=2
	s_or_b32 exec_lo, exec_lo, s10
                                        ; implicit-def: $vgpr2
.LBB4_438:                              ;   in Loop: Header=BB4_128 Depth=2
	s_and_not1_saveexec_b32 s10, s41
; %bb.439:                              ;   in Loop: Header=BB4_128 Depth=2
	v_or_b32_e32 v63, 0x7f, v2
; %bb.440:                              ;   in Loop: Header=BB4_128 Depth=2
	s_or_b32 exec_lo, exec_lo, s10
	v_lshrrev_b16 v3, 8, v38
	v_mov_b32_e32 v2, 0
	s_mov_b32 s10, exec_lo
	s_delay_alu instid0(VALU_DEP_2)
	v_cmpx_ne_u16_e32 0, v3
	s_cbranch_execz .LBB4_448
; %bb.441:                              ;   in Loop: Header=BB4_128 Depth=2
	v_bfrev_b32_e32 v2, 1
	s_mov_b32 s41, exec_lo
	v_cmpx_ne_u16_e32 0x80, v3
	s_cbranch_execz .LBB4_447
; %bb.442:                              ;   in Loop: Header=BB4_128 Depth=2
	v_and_b32_e32 v10, 0xffff, v3
	v_mov_b32_e32 v2, 0x7f800001
	s_mov_b32 s42, exec_lo
	s_delay_alu instid0(VALU_DEP_2) | instskip(NEXT) | instid1(VALU_DEP_1)
	v_and_b32_e32 v3, 0x7f, v10
	v_cmpx_ne_u32_e32 0x7f, v3
	s_cbranch_execz .LBB4_446
; %bb.443:                              ;   in Loop: Header=BB4_128 Depth=2
	v_dual_mov_b32 v11, v39 :: v_dual_bitop2_b32 v10, 7, v10 bitop3:0x40
	v_lshrrev_b32_e32 v2, 3, v3
	s_mov_b32 s43, exec_lo
	v_cmpx_gt_u32_e32 8, v3
; %bb.444:                              ;   in Loop: Header=BB4_128 Depth=2
	s_delay_alu instid0(VALU_DEP_3) | instskip(NEXT) | instid1(VALU_DEP_1)
	v_clz_i32_u32_e32 v2, v10
	v_min_u32_e32 v2, 32, v2
	s_delay_alu instid0(VALU_DEP_1) | instskip(SKIP_1) | instid1(VALU_DEP_2)
	v_subrev_nc_u32_e32 v3, 28, v2
	v_sub_nc_u32_e32 v2, 29, v2
	v_lshlrev_b64_e32 v[10:11], v3, v[10:11]
	s_delay_alu instid0(VALU_DEP_1)
	v_and_b32_e32 v10, 7, v10
; %bb.445:                              ;   in Loop: Header=BB4_128 Depth=2
	s_or_b32 exec_lo, exec_lo, s43
	v_lshlrev_b32_e32 v3, 16, v38
	s_delay_alu instid0(VALU_DEP_2) | instskip(SKIP_1) | instid1(VALU_DEP_3)
	v_lshlrev_b32_e32 v10, 20, v10
	v_lshl_add_u32 v2, v2, 23, 0x3c000000
	v_and_b32_e32 v3, 0x80000000, v3
	s_delay_alu instid0(VALU_DEP_1)
	v_or3_b32 v2, v10, v3, v2
.LBB4_446:                              ;   in Loop: Header=BB4_128 Depth=2
	s_or_b32 exec_lo, exec_lo, s42
.LBB4_447:                              ;   in Loop: Header=BB4_128 Depth=2
	s_delay_alu instid0(SALU_CYCLE_1)
	s_or_b32 exec_lo, exec_lo, s41
.LBB4_448:                              ;   in Loop: Header=BB4_128 Depth=2
	s_delay_alu instid0(SALU_CYCLE_1) | instskip(NEXT) | instid1(VALU_DEP_1)
	s_or_b32 exec_lo, exec_lo, s10
	v_mul_f32_e32 v3, s40, v2
                                        ; implicit-def: $vgpr76
	s_mov_b32 s10, exec_lo
	s_delay_alu instid0(VALU_DEP_1) | instskip(SKIP_1) | instid1(VALU_DEP_2)
	v_and_b32_e32 v38, 0x7f800000, v3
	v_lshrrev_b32_e32 v2, 24, v3
	v_cmpx_ne_u64_e32 0x7f800000, v[38:39]
	s_xor_b32 s41, exec_lo, s10
	s_cbranch_execz .LBB4_462
; %bb.449:                              ;   in Loop: Header=BB4_128 Depth=2
	v_and_b32_e32 v38, 0x7fffffff, v3
	v_and_b32_e32 v2, 0x80, v2
                                        ; implicit-def: $vgpr76
	s_mov_b32 s10, exec_lo
	s_delay_alu instid0(VALU_DEP_2)
	v_cmpx_gt_u64_e32 0x43e00001, v[38:39]
	s_xor_b32 s42, exec_lo, s10
	s_cbranch_execz .LBB4_459
; %bb.450:                              ;   in Loop: Header=BB4_128 Depth=2
	v_mov_b32_e32 v76, 0
	s_mov_b32 s43, exec_lo
	v_cmpx_ne_u32_e32 0, v3
	s_cbranch_execz .LBB4_458
; %bb.451:                              ;   in Loop: Header=BB4_128 Depth=2
	v_bfe_u32 v16, v3, 23, 8
	v_and_b32_e32 v3, 0x7fffff, v3
	s_delay_alu instid0(VALU_DEP_2) | instskip(SKIP_1) | instid1(VALU_DEP_3)
	v_sub_nc_u32_e32 v10, 0x79, v16
	v_cmp_gt_u32_e32 vcc_lo, 0x7a, v16
	v_or_b32_e32 v14, 0x800000, v3
	s_delay_alu instid0(VALU_DEP_3) | instskip(SKIP_1) | instid1(VALU_DEP_2)
	v_cndmask_b32_e32 v10, 0, v10, vcc_lo
	v_cmp_eq_u32_e32 vcc_lo, 0, v16
	v_cndmask_b32_e64 v17, v10, 0x78, vcc_lo
	s_delay_alu instid0(VALU_DEP_1) | instskip(SKIP_1) | instid1(VALU_DEP_2)
	v_dual_cndmask_b32 v38, v14, v3, vcc_lo :: v_dual_add_nc_u32 v10, 20, v17
	v_add_nc_u32_e32 v15, 19, v17
	v_lshlrev_b64_e64 v[10:11], v10, -1
	s_delay_alu instid0(VALU_DEP_2) | instskip(NEXT) | instid1(VALU_DEP_2)
	v_lshlrev_b64_e64 v[14:15], v15, 1
	v_bfi_b32 v21, v11, 0, 0
	s_delay_alu instid0(VALU_DEP_3) | instskip(SKIP_1) | instid1(VALU_DEP_2)
	v_bfi_b32 v20, v10, 0, v38
	v_lshrrev_b64 v[10:11], v17, v[38:39]
	v_cmp_eq_u64_e64 s10, v[20:21], v[14:15]
	s_delay_alu instid0(VALU_DEP_2)
	v_mov_b64_e32 v[14:15], v[10:11]
	s_and_saveexec_b32 s44, s10
; %bb.452:                              ;   in Loop: Header=BB4_128 Depth=2
	v_bfe_u32 v38, v10, 20, 1
	s_delay_alu instid0(VALU_DEP_1) | instskip(NEXT) | instid1(VALU_DEP_1)
	v_add_nc_u64_e32 v[14:15], v[10:11], v[38:39]
	v_add_nc_u64_e32 v[14:15], -1, v[14:15]
; %bb.453:                              ;   in Loop: Header=BB4_128 Depth=2
	s_or_b32 exec_lo, exec_lo, s44
	v_add_nc_u32_e32 v3, 0xffffff81, v16
	v_lshrrev_b32_e32 v11, 23, v10
	s_mov_b32 s10, exec_lo
	s_delay_alu instid0(VALU_DEP_2) | instskip(NEXT) | instid1(VALU_DEP_1)
	v_cndmask_b32_e64 v3, v3, 0xffffff82, vcc_lo
	v_add3_u32 v15, v17, v3, v11
	v_and_b32_e32 v3, 0xfffff, v14
	s_delay_alu instid0(VALU_DEP_1) | instskip(NEXT) | instid1(VALU_DEP_1)
	v_dual_add_nc_u32 v14, 6, v15 :: v_dual_add_nc_u32 v38, v3, v10
                                        ; implicit-def: $vgpr10_vgpr11
                                        ; implicit-def: $vgpr3
	v_cmpx_ne_u32_e32 0, v14
	s_xor_b32 s10, exec_lo, s10
; %bb.454:                              ;   in Loop: Header=BB4_128 Depth=2
	s_delay_alu instid0(VALU_DEP_2) | instskip(SKIP_2) | instid1(VALU_DEP_2)
	v_cmp_lt_u64_e32 vcc_lo, 0xffffff, v[38:39]
	v_add_nc_u32_e32 v3, 7, v15
	v_cndmask_b32_e64 v10, 0, 1, vcc_lo
	v_cndmask_b32_e32 v3, v14, v3, vcc_lo
	s_delay_alu instid0(VALU_DEP_2)
	v_lshrrev_b64 v[10:11], v10, v[38:39]
; %bb.455:                              ;   in Loop: Header=BB4_128 Depth=2
	s_and_not1_saveexec_b32 s10, s10
; %bb.456:                              ;   in Loop: Header=BB4_128 Depth=2
	v_mov_b64_e32 v[10:11], v[38:39]
	v_bfe_u32 v3, v38, 23, 1
; %bb.457:                              ;   in Loop: Header=BB4_128 Depth=2
	s_or_b32 exec_lo, exec_lo, s10
	s_delay_alu instid0(VALU_DEP_2) | instskip(NEXT) | instid1(VALU_DEP_2)
	v_lshrrev_b64 v[10:11], 20, v[10:11]
	v_cmp_gt_i32_e32 vcc_lo, 16, v3
	v_min_i32_e32 v14, 15, v3
	v_cmp_eq_u32_e64 s10, 0, v3
	s_delay_alu instid0(VALU_DEP_4) | instskip(NEXT) | instid1(VALU_DEP_3)
	v_cndmask_b32_e32 v10, 7, v10, vcc_lo
	v_dual_cndmask_b32 v11, 0, v11 :: v_dual_lshlrev_b32 v14, 3, v14
	s_delay_alu instid0(VALU_DEP_1) | instskip(NEXT) | instid1(VALU_DEP_2)
	v_and_b32_e32 v14, 0xf8, v14
	v_cmp_eq_u64_e32 vcc_lo, 0, v[10:11]
	s_delay_alu instid0(VALU_DEP_2)
	v_and_or_b32 v3, v10, 7, v14
	s_and_b32 s10, s10, vcc_lo
	s_delay_alu instid0(VALU_DEP_1) | instid1(SALU_CYCLE_1)
	v_cndmask_b32_e64 v3, v3, 0, s10
	s_delay_alu instid0(VALU_DEP_1)
	v_or_b32_e32 v76, v3, v2
.LBB4_458:                              ;   in Loop: Header=BB4_128 Depth=2
	s_or_b32 exec_lo, exec_lo, s43
                                        ; implicit-def: $vgpr2
.LBB4_459:                              ;   in Loop: Header=BB4_128 Depth=2
	s_and_not1_saveexec_b32 s10, s42
; %bb.460:                              ;   in Loop: Header=BB4_128 Depth=2
	v_or_b32_e32 v76, 0x7e, v2
; %bb.461:                              ;   in Loop: Header=BB4_128 Depth=2
	s_or_b32 exec_lo, exec_lo, s10
                                        ; implicit-def: $vgpr2
.LBB4_462:                              ;   in Loop: Header=BB4_128 Depth=2
	s_and_not1_saveexec_b32 s10, s41
; %bb.463:                              ;   in Loop: Header=BB4_128 Depth=2
	v_or_b32_e32 v76, 0x7f, v2
; %bb.464:                              ;   in Loop: Header=BB4_128 Depth=2
	s_or_b32 exec_lo, exec_lo, s10
	v_dual_mov_b32 v3, 0 :: v_dual_lshrrev_b32 v2, 16, v13
	s_mov_b32 s10, exec_lo
	s_delay_alu instid0(VALU_DEP_1) | instskip(NEXT) | instid1(VALU_DEP_1)
	v_and_b32_e32 v10, 0xff, v2
	v_cmpx_ne_u16_e32 0, v10
	s_cbranch_execz .LBB4_472
; %bb.465:                              ;   in Loop: Header=BB4_128 Depth=2
	v_bfrev_b32_e32 v3, 1
	s_mov_b32 s41, exec_lo
	v_cmpx_ne_u16_e32 0x80, v10
	s_cbranch_execz .LBB4_471
; %bb.466:                              ;   in Loop: Header=BB4_128 Depth=2
	v_bfe_u32 v10, v13, 16, 7
	v_mov_b32_e32 v3, 0x7f800001
	s_mov_b32 s42, exec_lo
	s_delay_alu instid0(VALU_DEP_2)
	v_cmpx_ne_u32_e32 0x7f, v10
	s_cbranch_execz .LBB4_470
; %bb.467:                              ;   in Loop: Header=BB4_128 Depth=2
	v_and_b32_e32 v38, 7, v2
	v_lshrrev_b32_e32 v3, 3, v10
	s_mov_b32 s43, exec_lo
	v_cmpx_gt_u32_e32 8, v10
; %bb.468:                              ;   in Loop: Header=BB4_128 Depth=2
	s_delay_alu instid0(VALU_DEP_3) | instskip(NEXT) | instid1(VALU_DEP_1)
	v_clz_i32_u32_e32 v3, v38
	v_min_u32_e32 v3, 32, v3
	s_delay_alu instid0(VALU_DEP_1) | instskip(NEXT) | instid1(VALU_DEP_1)
	v_subrev_nc_u32_e32 v10, 28, v3
	v_lshlrev_b64_e32 v[10:11], v10, v[38:39]
	s_delay_alu instid0(VALU_DEP_1)
	v_dual_sub_nc_u32 v3, 29, v3 :: v_dual_bitop2_b32 v38, 7, v10 bitop3:0x40
; %bb.469:                              ;   in Loop: Header=BB4_128 Depth=2
	s_or_b32 exec_lo, exec_lo, s43
	v_lshlrev_b32_e32 v2, 24, v2
	s_delay_alu instid0(VALU_DEP_2) | instskip(NEXT) | instid1(VALU_DEP_3)
	v_lshlrev_b32_e32 v10, 20, v38
	v_lshl_add_u32 v3, v3, 23, 0x3c000000
	s_delay_alu instid0(VALU_DEP_3) | instskip(NEXT) | instid1(VALU_DEP_1)
	v_and_b32_e32 v2, 0x80000000, v2
	v_or3_b32 v3, v10, v2, v3
.LBB4_470:                              ;   in Loop: Header=BB4_128 Depth=2
	s_or_b32 exec_lo, exec_lo, s42
.LBB4_471:                              ;   in Loop: Header=BB4_128 Depth=2
	s_delay_alu instid0(SALU_CYCLE_1)
	s_or_b32 exec_lo, exec_lo, s41
.LBB4_472:                              ;   in Loop: Header=BB4_128 Depth=2
	s_delay_alu instid0(SALU_CYCLE_1) | instskip(NEXT) | instid1(VALU_DEP_1)
	s_or_b32 exec_lo, exec_lo, s10
	v_mul_f32_e32 v3, s40, v3
                                        ; implicit-def: $vgpr79
	s_mov_b32 s10, exec_lo
	s_delay_alu instid0(VALU_DEP_1) | instskip(SKIP_1) | instid1(VALU_DEP_2)
	v_and_b32_e32 v38, 0x7f800000, v3
	v_lshrrev_b32_e32 v2, 24, v3
	v_cmpx_ne_u64_e32 0x7f800000, v[38:39]
	s_xor_b32 s41, exec_lo, s10
	s_cbranch_execz .LBB4_486
; %bb.473:                              ;   in Loop: Header=BB4_128 Depth=2
	v_and_b32_e32 v38, 0x7fffffff, v3
	v_and_b32_e32 v2, 0x80, v2
                                        ; implicit-def: $vgpr79
	s_mov_b32 s10, exec_lo
	s_delay_alu instid0(VALU_DEP_2)
	v_cmpx_gt_u64_e32 0x43e00001, v[38:39]
	s_xor_b32 s42, exec_lo, s10
	s_cbranch_execz .LBB4_483
; %bb.474:                              ;   in Loop: Header=BB4_128 Depth=2
	v_mov_b32_e32 v79, 0
	s_mov_b32 s43, exec_lo
	v_cmpx_ne_u32_e32 0, v3
	s_cbranch_execz .LBB4_482
; %bb.475:                              ;   in Loop: Header=BB4_128 Depth=2
	v_bfe_u32 v16, v3, 23, 8
	v_and_b32_e32 v3, 0x7fffff, v3
	s_delay_alu instid0(VALU_DEP_2) | instskip(SKIP_1) | instid1(VALU_DEP_3)
	v_sub_nc_u32_e32 v10, 0x79, v16
	v_cmp_gt_u32_e32 vcc_lo, 0x7a, v16
	v_or_b32_e32 v14, 0x800000, v3
	s_delay_alu instid0(VALU_DEP_3) | instskip(SKIP_1) | instid1(VALU_DEP_2)
	v_cndmask_b32_e32 v10, 0, v10, vcc_lo
	v_cmp_eq_u32_e32 vcc_lo, 0, v16
	v_cndmask_b32_e64 v17, v10, 0x78, vcc_lo
	s_delay_alu instid0(VALU_DEP_1) | instskip(SKIP_1) | instid1(VALU_DEP_2)
	v_dual_cndmask_b32 v38, v14, v3, vcc_lo :: v_dual_add_nc_u32 v10, 20, v17
	v_add_nc_u32_e32 v15, 19, v17
	v_lshlrev_b64_e64 v[10:11], v10, -1
	s_delay_alu instid0(VALU_DEP_2) | instskip(NEXT) | instid1(VALU_DEP_2)
	v_lshlrev_b64_e64 v[14:15], v15, 1
	v_bfi_b32 v21, v11, 0, 0
	s_delay_alu instid0(VALU_DEP_3) | instskip(SKIP_1) | instid1(VALU_DEP_2)
	v_bfi_b32 v20, v10, 0, v38
	v_lshrrev_b64 v[10:11], v17, v[38:39]
	v_cmp_eq_u64_e64 s10, v[20:21], v[14:15]
	s_delay_alu instid0(VALU_DEP_2)
	v_mov_b64_e32 v[14:15], v[10:11]
	s_and_saveexec_b32 s44, s10
; %bb.476:                              ;   in Loop: Header=BB4_128 Depth=2
	v_bfe_u32 v38, v10, 20, 1
	s_delay_alu instid0(VALU_DEP_1) | instskip(NEXT) | instid1(VALU_DEP_1)
	v_add_nc_u64_e32 v[14:15], v[10:11], v[38:39]
	v_add_nc_u64_e32 v[14:15], -1, v[14:15]
; %bb.477:                              ;   in Loop: Header=BB4_128 Depth=2
	s_or_b32 exec_lo, exec_lo, s44
	v_add_nc_u32_e32 v3, 0xffffff81, v16
	v_lshrrev_b32_e32 v11, 23, v10
	s_mov_b32 s10, exec_lo
	s_delay_alu instid0(VALU_DEP_2) | instskip(NEXT) | instid1(VALU_DEP_1)
	v_cndmask_b32_e64 v3, v3, 0xffffff82, vcc_lo
	v_add3_u32 v15, v17, v3, v11
	v_and_b32_e32 v3, 0xfffff, v14
	s_delay_alu instid0(VALU_DEP_1) | instskip(NEXT) | instid1(VALU_DEP_1)
	v_dual_add_nc_u32 v14, 6, v15 :: v_dual_add_nc_u32 v38, v3, v10
                                        ; implicit-def: $vgpr10_vgpr11
                                        ; implicit-def: $vgpr3
	v_cmpx_ne_u32_e32 0, v14
	s_xor_b32 s10, exec_lo, s10
; %bb.478:                              ;   in Loop: Header=BB4_128 Depth=2
	s_delay_alu instid0(VALU_DEP_2) | instskip(SKIP_2) | instid1(VALU_DEP_2)
	v_cmp_lt_u64_e32 vcc_lo, 0xffffff, v[38:39]
	v_add_nc_u32_e32 v3, 7, v15
	v_cndmask_b32_e64 v10, 0, 1, vcc_lo
	v_cndmask_b32_e32 v3, v14, v3, vcc_lo
	s_delay_alu instid0(VALU_DEP_2)
	v_lshrrev_b64 v[10:11], v10, v[38:39]
; %bb.479:                              ;   in Loop: Header=BB4_128 Depth=2
	s_and_not1_saveexec_b32 s10, s10
; %bb.480:                              ;   in Loop: Header=BB4_128 Depth=2
	v_mov_b64_e32 v[10:11], v[38:39]
	v_bfe_u32 v3, v38, 23, 1
; %bb.481:                              ;   in Loop: Header=BB4_128 Depth=2
	s_or_b32 exec_lo, exec_lo, s10
	s_delay_alu instid0(VALU_DEP_2) | instskip(NEXT) | instid1(VALU_DEP_2)
	v_lshrrev_b64 v[10:11], 20, v[10:11]
	v_cmp_gt_i32_e32 vcc_lo, 16, v3
	v_min_i32_e32 v14, 15, v3
	v_cmp_eq_u32_e64 s10, 0, v3
	s_delay_alu instid0(VALU_DEP_4) | instskip(NEXT) | instid1(VALU_DEP_3)
	v_cndmask_b32_e32 v10, 7, v10, vcc_lo
	v_dual_cndmask_b32 v11, 0, v11 :: v_dual_lshlrev_b32 v14, 3, v14
	s_delay_alu instid0(VALU_DEP_1) | instskip(NEXT) | instid1(VALU_DEP_2)
	v_and_b32_e32 v14, 0xf8, v14
	v_cmp_eq_u64_e32 vcc_lo, 0, v[10:11]
	s_delay_alu instid0(VALU_DEP_2)
	v_and_or_b32 v3, v10, 7, v14
	s_and_b32 s10, s10, vcc_lo
	s_delay_alu instid0(VALU_DEP_1) | instid1(SALU_CYCLE_1)
	v_cndmask_b32_e64 v3, v3, 0, s10
	s_delay_alu instid0(VALU_DEP_1)
	v_or_b32_e32 v79, v3, v2
.LBB4_482:                              ;   in Loop: Header=BB4_128 Depth=2
	s_or_b32 exec_lo, exec_lo, s43
                                        ; implicit-def: $vgpr2
.LBB4_483:                              ;   in Loop: Header=BB4_128 Depth=2
	s_and_not1_saveexec_b32 s10, s42
; %bb.484:                              ;   in Loop: Header=BB4_128 Depth=2
	v_or_b32_e32 v79, 0x7e, v2
; %bb.485:                              ;   in Loop: Header=BB4_128 Depth=2
	s_or_b32 exec_lo, exec_lo, s10
                                        ; implicit-def: $vgpr2
.LBB4_486:                              ;   in Loop: Header=BB4_128 Depth=2
	s_and_not1_saveexec_b32 s10, s41
; %bb.487:                              ;   in Loop: Header=BB4_128 Depth=2
	v_or_b32_e32 v79, 0x7f, v2
; %bb.488:                              ;   in Loop: Header=BB4_128 Depth=2
	s_or_b32 exec_lo, exec_lo, s10
	v_mov_b32_e32 v3, 0
	s_mov_b32 s10, exec_lo
	v_cmpx_lt_u64_e64 s[14:15], v[12:13]
	s_cbranch_execz .LBB4_496
; %bb.489:                              ;   in Loop: Header=BB4_128 Depth=2
	v_lshrrev_b32_e32 v2, 24, v13
	v_bfrev_b32_e32 v3, 1
	s_mov_b32 s41, exec_lo
	s_delay_alu instid0(VALU_DEP_2)
	v_cmpx_ne_u32_e32 0x80, v2
	s_cbranch_execz .LBB4_495
; %bb.490:                              ;   in Loop: Header=BB4_128 Depth=2
	v_bfe_u32 v10, v13, 24, 7
	v_mov_b32_e32 v3, 0x7f800001
	s_mov_b32 s42, exec_lo
	s_delay_alu instid0(VALU_DEP_2)
	v_cmpx_ne_u32_e32 0x7f, v10
	s_cbranch_execz .LBB4_494
; %bb.491:                              ;   in Loop: Header=BB4_128 Depth=2
	v_and_b32_e32 v38, 7, v2
	v_lshrrev_b32_e32 v3, 3, v10
	s_mov_b32 s43, exec_lo
	v_cmpx_gt_u32_e32 8, v10
; %bb.492:                              ;   in Loop: Header=BB4_128 Depth=2
	s_delay_alu instid0(VALU_DEP_3) | instskip(NEXT) | instid1(VALU_DEP_1)
	v_clz_i32_u32_e32 v3, v38
	v_min_u32_e32 v3, 32, v3
	s_delay_alu instid0(VALU_DEP_1) | instskip(NEXT) | instid1(VALU_DEP_1)
	v_subrev_nc_u32_e32 v10, 28, v3
	v_lshlrev_b64_e32 v[10:11], v10, v[38:39]
	s_delay_alu instid0(VALU_DEP_1)
	v_dual_sub_nc_u32 v3, 29, v3 :: v_dual_bitop2_b32 v38, 7, v10 bitop3:0x40
; %bb.493:                              ;   in Loop: Header=BB4_128 Depth=2
	s_or_b32 exec_lo, exec_lo, s43
	v_lshlrev_b32_e32 v2, 24, v2
	s_delay_alu instid0(VALU_DEP_2) | instskip(NEXT) | instid1(VALU_DEP_3)
	v_lshlrev_b32_e32 v10, 20, v38
	v_lshl_add_u32 v3, v3, 23, 0x3c000000
	s_delay_alu instid0(VALU_DEP_3) | instskip(NEXT) | instid1(VALU_DEP_1)
	v_and_b32_e32 v2, 0x80000000, v2
	v_or3_b32 v3, v10, v2, v3
.LBB4_494:                              ;   in Loop: Header=BB4_128 Depth=2
	s_or_b32 exec_lo, exec_lo, s42
.LBB4_495:                              ;   in Loop: Header=BB4_128 Depth=2
	s_delay_alu instid0(SALU_CYCLE_1)
	s_or_b32 exec_lo, exec_lo, s41
.LBB4_496:                              ;   in Loop: Header=BB4_128 Depth=2
	s_delay_alu instid0(SALU_CYCLE_1) | instskip(NEXT) | instid1(VALU_DEP_1)
	s_or_b32 exec_lo, exec_lo, s10
	v_mul_f32_e32 v3, s40, v3
                                        ; implicit-def: $vgpr89
	s_mov_b32 s10, exec_lo
	s_delay_alu instid0(VALU_DEP_1) | instskip(SKIP_1) | instid1(VALU_DEP_2)
	v_and_b32_e32 v38, 0x7f800000, v3
	v_lshrrev_b32_e32 v2, 24, v3
	v_cmpx_ne_u64_e32 0x7f800000, v[38:39]
	s_xor_b32 s41, exec_lo, s10
	s_cbranch_execz .LBB4_510
; %bb.497:                              ;   in Loop: Header=BB4_128 Depth=2
	v_and_b32_e32 v38, 0x7fffffff, v3
	v_and_b32_e32 v2, 0x80, v2
                                        ; implicit-def: $vgpr89
	s_mov_b32 s10, exec_lo
	s_delay_alu instid0(VALU_DEP_2)
	v_cmpx_gt_u64_e32 0x43e00001, v[38:39]
	s_xor_b32 s42, exec_lo, s10
	s_cbranch_execz .LBB4_507
; %bb.498:                              ;   in Loop: Header=BB4_128 Depth=2
	v_mov_b32_e32 v89, 0
	s_mov_b32 s43, exec_lo
	v_cmpx_ne_u32_e32 0, v3
	s_cbranch_execz .LBB4_506
; %bb.499:                              ;   in Loop: Header=BB4_128 Depth=2
	v_bfe_u32 v14, v3, 23, 8
	v_and_b32_e32 v3, 0x7fffff, v3
	s_delay_alu instid0(VALU_DEP_2) | instskip(SKIP_1) | instid1(VALU_DEP_3)
	v_sub_nc_u32_e32 v10, 0x79, v14
	v_cmp_gt_u32_e32 vcc_lo, 0x7a, v14
	v_or_b32_e32 v12, 0x800000, v3
	s_delay_alu instid0(VALU_DEP_3) | instskip(SKIP_1) | instid1(VALU_DEP_2)
	v_cndmask_b32_e32 v10, 0, v10, vcc_lo
	v_cmp_eq_u32_e32 vcc_lo, 0, v14
	v_cndmask_b32_e64 v15, v10, 0x78, vcc_lo
	s_delay_alu instid0(VALU_DEP_4) | instskip(NEXT) | instid1(VALU_DEP_2)
	v_cndmask_b32_e32 v38, v12, v3, vcc_lo
	v_dual_add_nc_u32 v10, 20, v15 :: v_dual_add_nc_u32 v13, 19, v15
	s_delay_alu instid0(VALU_DEP_1) | instskip(NEXT) | instid1(VALU_DEP_2)
	v_lshlrev_b64_e64 v[10:11], v10, -1
	v_lshlrev_b64_e64 v[12:13], v13, 1
	s_delay_alu instid0(VALU_DEP_2) | instskip(NEXT) | instid1(VALU_DEP_3)
	v_bfi_b32 v17, v11, 0, 0
	v_bfi_b32 v16, v10, 0, v38
	v_lshrrev_b64 v[10:11], v15, v[38:39]
	s_delay_alu instid0(VALU_DEP_2) | instskip(NEXT) | instid1(VALU_DEP_2)
	v_cmp_eq_u64_e64 s10, v[16:17], v[12:13]
	v_mov_b64_e32 v[12:13], v[10:11]
	s_and_saveexec_b32 s44, s10
; %bb.500:                              ;   in Loop: Header=BB4_128 Depth=2
	v_bfe_u32 v38, v10, 20, 1
	s_delay_alu instid0(VALU_DEP_1) | instskip(NEXT) | instid1(VALU_DEP_1)
	v_add_nc_u64_e32 v[12:13], v[10:11], v[38:39]
	v_add_nc_u64_e32 v[12:13], -1, v[12:13]
; %bb.501:                              ;   in Loop: Header=BB4_128 Depth=2
	s_or_b32 exec_lo, exec_lo, s44
	v_add_nc_u32_e32 v3, 0xffffff81, v14
	v_lshrrev_b32_e32 v11, 23, v10
	s_mov_b32 s10, exec_lo
	s_delay_alu instid0(VALU_DEP_2) | instskip(NEXT) | instid1(VALU_DEP_1)
	v_cndmask_b32_e64 v3, v3, 0xffffff82, vcc_lo
	v_add3_u32 v13, v15, v3, v11
	v_and_b32_e32 v3, 0xfffff, v12
	s_delay_alu instid0(VALU_DEP_1) | instskip(NEXT) | instid1(VALU_DEP_1)
	v_dual_add_nc_u32 v12, 6, v13 :: v_dual_add_nc_u32 v38, v3, v10
                                        ; implicit-def: $vgpr10_vgpr11
                                        ; implicit-def: $vgpr3
	v_cmpx_ne_u32_e32 0, v12
	s_xor_b32 s10, exec_lo, s10
; %bb.502:                              ;   in Loop: Header=BB4_128 Depth=2
	s_delay_alu instid0(VALU_DEP_2) | instskip(SKIP_2) | instid1(VALU_DEP_2)
	v_cmp_lt_u64_e32 vcc_lo, 0xffffff, v[38:39]
	v_add_nc_u32_e32 v3, 7, v13
	v_cndmask_b32_e64 v10, 0, 1, vcc_lo
	v_cndmask_b32_e32 v3, v12, v3, vcc_lo
	s_delay_alu instid0(VALU_DEP_2)
	v_lshrrev_b64 v[10:11], v10, v[38:39]
; %bb.503:                              ;   in Loop: Header=BB4_128 Depth=2
	s_and_not1_saveexec_b32 s10, s10
; %bb.504:                              ;   in Loop: Header=BB4_128 Depth=2
	v_mov_b64_e32 v[10:11], v[38:39]
	v_bfe_u32 v3, v38, 23, 1
; %bb.505:                              ;   in Loop: Header=BB4_128 Depth=2
	s_or_b32 exec_lo, exec_lo, s10
	s_delay_alu instid0(VALU_DEP_2) | instskip(NEXT) | instid1(VALU_DEP_2)
	v_lshrrev_b64 v[10:11], 20, v[10:11]
	v_cmp_gt_i32_e32 vcc_lo, 16, v3
	v_min_i32_e32 v12, 15, v3
	v_cmp_eq_u32_e64 s10, 0, v3
	s_delay_alu instid0(VALU_DEP_2) | instskip(SKIP_1) | instid1(VALU_DEP_2)
	v_dual_cndmask_b32 v10, 7, v10, vcc_lo :: v_dual_lshlrev_b32 v12, 3, v12
	v_cndmask_b32_e32 v11, 0, v11, vcc_lo
	v_and_b32_e32 v12, 0xf8, v12
	s_delay_alu instid0(VALU_DEP_2) | instskip(NEXT) | instid1(VALU_DEP_2)
	v_cmp_eq_u64_e32 vcc_lo, 0, v[10:11]
	v_and_or_b32 v3, v10, 7, v12
	s_and_b32 s10, s10, vcc_lo
	s_delay_alu instid0(VALU_DEP_1) | instid1(SALU_CYCLE_1)
	v_cndmask_b32_e64 v3, v3, 0, s10
	s_delay_alu instid0(VALU_DEP_1)
	v_or_b32_e32 v89, v3, v2
.LBB4_506:                              ;   in Loop: Header=BB4_128 Depth=2
	s_or_b32 exec_lo, exec_lo, s43
                                        ; implicit-def: $vgpr2
.LBB4_507:                              ;   in Loop: Header=BB4_128 Depth=2
	s_and_not1_saveexec_b32 s10, s42
; %bb.508:                              ;   in Loop: Header=BB4_128 Depth=2
	v_or_b32_e32 v89, 0x7e, v2
; %bb.509:                              ;   in Loop: Header=BB4_128 Depth=2
	s_or_b32 exec_lo, exec_lo, s10
                                        ; implicit-def: $vgpr2
.LBB4_510:                              ;   in Loop: Header=BB4_128 Depth=2
	s_and_not1_saveexec_b32 s10, s41
; %bb.511:                              ;   in Loop: Header=BB4_128 Depth=2
	v_or_b32_e32 v89, 0x7f, v2
; %bb.512:                              ;   in Loop: Header=BB4_128 Depth=2
	s_or_b32 exec_lo, exec_lo, s10
	global_load_b128 v[10:13], v[86:87], off offset:512 th:TH_LOAD_NT
	v_mov_b32_e32 v2, 0
	s_mov_b32 s10, exec_lo
	s_wait_loadcnt 0x0
	v_and_b32_e32 v3, 0xff, v10
	s_wait_xcnt 0x0
	s_delay_alu instid0(VALU_DEP_1)
	v_cmpx_ne_u16_e32 0, v3
	s_cbranch_execz .LBB4_518
; %bb.513:                              ;   in Loop: Header=BB4_128 Depth=2
	v_bfrev_b32_e32 v2, 1
	s_mov_b32 s41, exec_lo
	v_cmpx_ne_u16_e32 0x80, v3
	s_cbranch_execz .LBB4_517
; %bb.514:                              ;   in Loop: Header=BB4_128 Depth=2
	v_and_b32_e32 v3, 0x7f, v10
	v_mov_b32_e32 v2, 0x7f800001
	s_mov_b32 s42, exec_lo
	s_delay_alu instid0(VALU_DEP_2)
	v_cmpx_ne_u32_e32 0x7f, v3
	s_cbranch_execz .LBB4_516
; %bb.515:                              ;   in Loop: Header=BB4_128 Depth=2
	v_dual_lshrrev_b32 v14, 3, v3 :: v_dual_bitop2_b32 v2, 7, v10 bitop3:0x40
	v_cmp_gt_u32_e32 vcc_lo, 8, v3
	s_delay_alu instid0(VALU_DEP_2) | instskip(NEXT) | instid1(VALU_DEP_1)
	v_clz_i32_u32_e32 v2, v2
	v_min_u32_e32 v2, 32, v2
	s_delay_alu instid0(VALU_DEP_1) | instskip(SKIP_1) | instid1(VALU_DEP_1)
	v_subrev_nc_u32_e32 v15, 28, v2
	v_sub_nc_u32_e32 v2, 29, v2
	v_dual_cndmask_b32 v14, v14, v2, vcc_lo :: v_dual_cndmask_b32 v2, 0, v15, vcc_lo
	s_delay_alu instid0(VALU_DEP_1) | instskip(NEXT) | instid1(VALU_DEP_2)
	v_lshl_add_u32 v14, v14, 23, 0x3c000000
	v_lshlrev_b64_e32 v[2:3], v2, v[10:11]
	v_lshlrev_b32_e32 v3, 24, v10
	s_delay_alu instid0(VALU_DEP_1) | instskip(NEXT) | instid1(VALU_DEP_3)
	v_and_b32_e32 v3, 0x80000000, v3
	v_lshlrev_b32_e32 v2, 20, v2
	s_delay_alu instid0(VALU_DEP_1) | instskip(NEXT) | instid1(VALU_DEP_1)
	v_and_b32_e32 v2, 0x700000, v2
	v_or3_b32 v2, v2, v3, v14
.LBB4_516:                              ;   in Loop: Header=BB4_128 Depth=2
	s_or_b32 exec_lo, exec_lo, s42
.LBB4_517:                              ;   in Loop: Header=BB4_128 Depth=2
	s_delay_alu instid0(SALU_CYCLE_1)
	s_or_b32 exec_lo, exec_lo, s41
.LBB4_518:                              ;   in Loop: Header=BB4_128 Depth=2
	s_delay_alu instid0(SALU_CYCLE_1) | instskip(NEXT) | instid1(VALU_DEP_1)
	s_or_b32 exec_lo, exec_lo, s10
	v_mul_f32_e32 v3, s40, v2
                                        ; implicit-def: $vgpr58
	s_mov_b32 s10, exec_lo
	s_delay_alu instid0(VALU_DEP_1) | instskip(SKIP_1) | instid1(VALU_DEP_2)
	v_and_b32_e32 v38, 0x7f800000, v3
	v_lshrrev_b32_e32 v2, 24, v3
	v_cmpx_ne_u64_e32 0x7f800000, v[38:39]
	s_xor_b32 s41, exec_lo, s10
	s_cbranch_execz .LBB4_532
; %bb.519:                              ;   in Loop: Header=BB4_128 Depth=2
	v_and_b32_e32 v38, 0x7fffffff, v3
	v_and_b32_e32 v2, 0x80, v2
                                        ; implicit-def: $vgpr58
	s_mov_b32 s10, exec_lo
	s_delay_alu instid0(VALU_DEP_2)
	v_cmpx_gt_u64_e32 0x43e00001, v[38:39]
	s_xor_b32 s42, exec_lo, s10
	s_cbranch_execz .LBB4_529
; %bb.520:                              ;   in Loop: Header=BB4_128 Depth=2
	v_mov_b32_e32 v58, 0
	s_mov_b32 s43, exec_lo
	v_cmpx_ne_u32_e32 0, v3
	s_cbranch_execz .LBB4_528
; %bb.521:                              ;   in Loop: Header=BB4_128 Depth=2
	v_bfe_u32 v103, v3, 23, 8
	v_and_b32_e32 v3, 0x7fffff, v3
	s_delay_alu instid0(VALU_DEP_2) | instskip(SKIP_1) | instid1(VALU_DEP_3)
	v_sub_nc_u32_e32 v14, 0x79, v103
	v_cmp_gt_u32_e32 vcc_lo, 0x7a, v103
	v_or_b32_e32 v16, 0x800000, v3
	s_delay_alu instid0(VALU_DEP_3) | instskip(SKIP_1) | instid1(VALU_DEP_2)
	v_cndmask_b32_e32 v14, 0, v14, vcc_lo
	v_cmp_eq_u32_e32 vcc_lo, 0, v103
	v_cndmask_b32_e64 v113, v14, 0x78, vcc_lo
	s_delay_alu instid0(VALU_DEP_1) | instskip(SKIP_1) | instid1(VALU_DEP_2)
	v_dual_cndmask_b32 v38, v16, v3, vcc_lo :: v_dual_add_nc_u32 v14, 20, v113
	v_add_nc_u32_e32 v17, 19, v113
	v_lshlrev_b64_e64 v[14:15], v14, -1
	s_delay_alu instid0(VALU_DEP_2) | instskip(NEXT) | instid1(VALU_DEP_2)
	v_lshlrev_b64_e64 v[16:17], v17, 1
	v_bfi_b32 v21, v15, 0, 0
	s_delay_alu instid0(VALU_DEP_3) | instskip(SKIP_1) | instid1(VALU_DEP_2)
	v_bfi_b32 v20, v14, 0, v38
	v_lshrrev_b64 v[14:15], v113, v[38:39]
	v_cmp_eq_u64_e64 s10, v[20:21], v[16:17]
	s_delay_alu instid0(VALU_DEP_2)
	v_mov_b64_e32 v[16:17], v[14:15]
	s_and_saveexec_b32 s44, s10
; %bb.522:                              ;   in Loop: Header=BB4_128 Depth=2
	v_bfe_u32 v38, v14, 20, 1
	s_delay_alu instid0(VALU_DEP_1) | instskip(NEXT) | instid1(VALU_DEP_1)
	v_add_nc_u64_e32 v[16:17], v[14:15], v[38:39]
	v_add_nc_u64_e32 v[16:17], -1, v[16:17]
; %bb.523:                              ;   in Loop: Header=BB4_128 Depth=2
	s_or_b32 exec_lo, exec_lo, s44
	v_add_nc_u32_e32 v3, 0xffffff81, v103
	v_lshrrev_b32_e32 v15, 23, v14
	s_mov_b32 s10, exec_lo
	s_delay_alu instid0(VALU_DEP_2) | instskip(NEXT) | instid1(VALU_DEP_1)
	v_cndmask_b32_e64 v3, v3, 0xffffff82, vcc_lo
	v_add3_u32 v17, v113, v3, v15
	v_and_b32_e32 v3, 0xfffff, v16
	s_delay_alu instid0(VALU_DEP_1) | instskip(NEXT) | instid1(VALU_DEP_1)
	v_dual_add_nc_u32 v16, 6, v17 :: v_dual_add_nc_u32 v38, v3, v14
                                        ; implicit-def: $vgpr14_vgpr15
                                        ; implicit-def: $vgpr3
	v_cmpx_ne_u32_e32 0, v16
	s_xor_b32 s10, exec_lo, s10
; %bb.524:                              ;   in Loop: Header=BB4_128 Depth=2
	s_delay_alu instid0(VALU_DEP_2) | instskip(SKIP_2) | instid1(VALU_DEP_2)
	v_cmp_lt_u64_e32 vcc_lo, 0xffffff, v[38:39]
	v_add_nc_u32_e32 v3, 7, v17
	v_cndmask_b32_e64 v14, 0, 1, vcc_lo
	v_cndmask_b32_e32 v3, v16, v3, vcc_lo
	s_delay_alu instid0(VALU_DEP_2)
	v_lshrrev_b64 v[14:15], v14, v[38:39]
; %bb.525:                              ;   in Loop: Header=BB4_128 Depth=2
	s_and_not1_saveexec_b32 s10, s10
; %bb.526:                              ;   in Loop: Header=BB4_128 Depth=2
	v_mov_b64_e32 v[14:15], v[38:39]
	v_bfe_u32 v3, v38, 23, 1
; %bb.527:                              ;   in Loop: Header=BB4_128 Depth=2
	s_or_b32 exec_lo, exec_lo, s10
	s_delay_alu instid0(VALU_DEP_2) | instskip(NEXT) | instid1(VALU_DEP_2)
	v_lshrrev_b64 v[14:15], 20, v[14:15]
	v_cmp_gt_i32_e32 vcc_lo, 16, v3
	v_min_i32_e32 v16, 15, v3
	v_cmp_eq_u32_e64 s10, 0, v3
	s_delay_alu instid0(VALU_DEP_2) | instskip(SKIP_1) | instid1(VALU_DEP_2)
	v_dual_cndmask_b32 v14, 7, v14, vcc_lo :: v_dual_lshlrev_b32 v16, 3, v16
	v_cndmask_b32_e32 v15, 0, v15, vcc_lo
	v_and_b32_e32 v16, 0xf8, v16
	s_delay_alu instid0(VALU_DEP_2) | instskip(NEXT) | instid1(VALU_DEP_2)
	v_cmp_eq_u64_e32 vcc_lo, 0, v[14:15]
	v_and_or_b32 v3, v14, 7, v16
	s_and_b32 s10, s10, vcc_lo
	s_delay_alu instid0(VALU_DEP_1) | instid1(SALU_CYCLE_1)
	v_cndmask_b32_e64 v3, v3, 0, s10
	s_delay_alu instid0(VALU_DEP_1)
	v_or_b32_e32 v58, v3, v2
.LBB4_528:                              ;   in Loop: Header=BB4_128 Depth=2
	s_or_b32 exec_lo, exec_lo, s43
                                        ; implicit-def: $vgpr2
.LBB4_529:                              ;   in Loop: Header=BB4_128 Depth=2
	s_and_not1_saveexec_b32 s10, s42
; %bb.530:                              ;   in Loop: Header=BB4_128 Depth=2
	v_or_b32_e32 v58, 0x7e, v2
; %bb.531:                              ;   in Loop: Header=BB4_128 Depth=2
	s_or_b32 exec_lo, exec_lo, s10
                                        ; implicit-def: $vgpr2
.LBB4_532:                              ;   in Loop: Header=BB4_128 Depth=2
	s_and_not1_saveexec_b32 s10, s41
; %bb.533:                              ;   in Loop: Header=BB4_128 Depth=2
	v_or_b32_e32 v58, 0x7f, v2
; %bb.534:                              ;   in Loop: Header=BB4_128 Depth=2
	s_or_b32 exec_lo, exec_lo, s10
	v_lshrrev_b16 v3, 8, v10
	v_mov_b32_e32 v2, 0
	s_mov_b32 s10, exec_lo
	s_delay_alu instid0(VALU_DEP_2)
	v_cmpx_ne_u16_e32 0, v3
	s_cbranch_execz .LBB4_542
; %bb.535:                              ;   in Loop: Header=BB4_128 Depth=2
	v_bfrev_b32_e32 v2, 1
	s_mov_b32 s41, exec_lo
	v_cmpx_ne_u16_e32 0x80, v3
	s_cbranch_execz .LBB4_541
; %bb.536:                              ;   in Loop: Header=BB4_128 Depth=2
	v_and_b32_e32 v14, 0xffff, v3
	v_mov_b32_e32 v2, 0x7f800001
	s_mov_b32 s42, exec_lo
	s_delay_alu instid0(VALU_DEP_2) | instskip(NEXT) | instid1(VALU_DEP_1)
	v_and_b32_e32 v3, 0x7f, v14
	v_cmpx_ne_u32_e32 0x7f, v3
	s_cbranch_execz .LBB4_540
; %bb.537:                              ;   in Loop: Header=BB4_128 Depth=2
	v_dual_lshrrev_b32 v2, 3, v3 :: v_dual_bitop2_b32 v38, 7, v14 bitop3:0x40
	s_mov_b32 s43, exec_lo
	v_cmpx_gt_u32_e32 8, v3
; %bb.538:                              ;   in Loop: Header=BB4_128 Depth=2
	s_delay_alu instid0(VALU_DEP_2) | instskip(NEXT) | instid1(VALU_DEP_1)
	v_clz_i32_u32_e32 v2, v38
	v_min_u32_e32 v2, 32, v2
	s_delay_alu instid0(VALU_DEP_1) | instskip(SKIP_1) | instid1(VALU_DEP_2)
	v_subrev_nc_u32_e32 v3, 28, v2
	v_sub_nc_u32_e32 v2, 29, v2
	v_lshlrev_b64_e32 v[14:15], v3, v[38:39]
	s_delay_alu instid0(VALU_DEP_1)
	v_and_b32_e32 v38, 7, v14
; %bb.539:                              ;   in Loop: Header=BB4_128 Depth=2
	s_or_b32 exec_lo, exec_lo, s43
	v_lshlrev_b32_e32 v3, 16, v10
	s_delay_alu instid0(VALU_DEP_2) | instskip(SKIP_1) | instid1(VALU_DEP_3)
	v_lshlrev_b32_e32 v14, 20, v38
	v_lshl_add_u32 v2, v2, 23, 0x3c000000
	v_and_b32_e32 v3, 0x80000000, v3
	s_delay_alu instid0(VALU_DEP_1)
	v_or3_b32 v2, v14, v3, v2
.LBB4_540:                              ;   in Loop: Header=BB4_128 Depth=2
	s_or_b32 exec_lo, exec_lo, s42
.LBB4_541:                              ;   in Loop: Header=BB4_128 Depth=2
	s_delay_alu instid0(SALU_CYCLE_1)
	s_or_b32 exec_lo, exec_lo, s41
.LBB4_542:                              ;   in Loop: Header=BB4_128 Depth=2
	s_delay_alu instid0(SALU_CYCLE_1) | instskip(NEXT) | instid1(VALU_DEP_1)
	s_or_b32 exec_lo, exec_lo, s10
	v_mul_f32_e32 v3, s40, v2
                                        ; implicit-def: $vgpr72
	s_mov_b32 s10, exec_lo
	s_delay_alu instid0(VALU_DEP_1) | instskip(SKIP_1) | instid1(VALU_DEP_2)
	v_and_b32_e32 v38, 0x7f800000, v3
	v_lshrrev_b32_e32 v2, 24, v3
	v_cmpx_ne_u64_e32 0x7f800000, v[38:39]
	s_xor_b32 s41, exec_lo, s10
	s_cbranch_execz .LBB4_556
; %bb.543:                              ;   in Loop: Header=BB4_128 Depth=2
	v_and_b32_e32 v38, 0x7fffffff, v3
	v_and_b32_e32 v2, 0x80, v2
                                        ; implicit-def: $vgpr72
	s_mov_b32 s10, exec_lo
	s_delay_alu instid0(VALU_DEP_2)
	v_cmpx_gt_u64_e32 0x43e00001, v[38:39]
	s_xor_b32 s42, exec_lo, s10
	s_cbranch_execz .LBB4_553
; %bb.544:                              ;   in Loop: Header=BB4_128 Depth=2
	v_mov_b32_e32 v72, 0
	s_mov_b32 s43, exec_lo
	v_cmpx_ne_u32_e32 0, v3
	s_cbranch_execz .LBB4_552
; %bb.545:                              ;   in Loop: Header=BB4_128 Depth=2
	v_bfe_u32 v103, v3, 23, 8
	v_and_b32_e32 v3, 0x7fffff, v3
	s_delay_alu instid0(VALU_DEP_2) | instskip(SKIP_1) | instid1(VALU_DEP_3)
	v_sub_nc_u32_e32 v14, 0x79, v103
	v_cmp_gt_u32_e32 vcc_lo, 0x7a, v103
	v_or_b32_e32 v16, 0x800000, v3
	s_delay_alu instid0(VALU_DEP_3) | instskip(SKIP_1) | instid1(VALU_DEP_2)
	v_cndmask_b32_e32 v14, 0, v14, vcc_lo
	v_cmp_eq_u32_e32 vcc_lo, 0, v103
	v_cndmask_b32_e64 v113, v14, 0x78, vcc_lo
	s_delay_alu instid0(VALU_DEP_1) | instskip(SKIP_1) | instid1(VALU_DEP_2)
	v_dual_cndmask_b32 v38, v16, v3, vcc_lo :: v_dual_add_nc_u32 v14, 20, v113
	v_add_nc_u32_e32 v17, 19, v113
	v_lshlrev_b64_e64 v[14:15], v14, -1
	s_delay_alu instid0(VALU_DEP_2) | instskip(NEXT) | instid1(VALU_DEP_2)
	v_lshlrev_b64_e64 v[16:17], v17, 1
	v_bfi_b32 v21, v15, 0, 0
	s_delay_alu instid0(VALU_DEP_3) | instskip(SKIP_1) | instid1(VALU_DEP_2)
	v_bfi_b32 v20, v14, 0, v38
	v_lshrrev_b64 v[14:15], v113, v[38:39]
	v_cmp_eq_u64_e64 s10, v[20:21], v[16:17]
	s_delay_alu instid0(VALU_DEP_2)
	v_mov_b64_e32 v[16:17], v[14:15]
	s_and_saveexec_b32 s44, s10
; %bb.546:                              ;   in Loop: Header=BB4_128 Depth=2
	v_bfe_u32 v38, v14, 20, 1
	s_delay_alu instid0(VALU_DEP_1) | instskip(NEXT) | instid1(VALU_DEP_1)
	v_add_nc_u64_e32 v[16:17], v[14:15], v[38:39]
	v_add_nc_u64_e32 v[16:17], -1, v[16:17]
; %bb.547:                              ;   in Loop: Header=BB4_128 Depth=2
	s_or_b32 exec_lo, exec_lo, s44
	v_add_nc_u32_e32 v3, 0xffffff81, v103
	v_lshrrev_b32_e32 v15, 23, v14
	s_mov_b32 s10, exec_lo
	s_delay_alu instid0(VALU_DEP_2) | instskip(NEXT) | instid1(VALU_DEP_1)
	v_cndmask_b32_e64 v3, v3, 0xffffff82, vcc_lo
	v_add3_u32 v17, v113, v3, v15
	v_and_b32_e32 v3, 0xfffff, v16
	s_delay_alu instid0(VALU_DEP_1) | instskip(NEXT) | instid1(VALU_DEP_1)
	v_dual_add_nc_u32 v16, 6, v17 :: v_dual_add_nc_u32 v38, v3, v14
                                        ; implicit-def: $vgpr14_vgpr15
                                        ; implicit-def: $vgpr3
	v_cmpx_ne_u32_e32 0, v16
	s_xor_b32 s10, exec_lo, s10
; %bb.548:                              ;   in Loop: Header=BB4_128 Depth=2
	s_delay_alu instid0(VALU_DEP_2) | instskip(SKIP_2) | instid1(VALU_DEP_2)
	v_cmp_lt_u64_e32 vcc_lo, 0xffffff, v[38:39]
	v_add_nc_u32_e32 v3, 7, v17
	v_cndmask_b32_e64 v14, 0, 1, vcc_lo
	v_cndmask_b32_e32 v3, v16, v3, vcc_lo
	s_delay_alu instid0(VALU_DEP_2)
	v_lshrrev_b64 v[14:15], v14, v[38:39]
; %bb.549:                              ;   in Loop: Header=BB4_128 Depth=2
	s_and_not1_saveexec_b32 s10, s10
; %bb.550:                              ;   in Loop: Header=BB4_128 Depth=2
	v_mov_b64_e32 v[14:15], v[38:39]
	v_bfe_u32 v3, v38, 23, 1
; %bb.551:                              ;   in Loop: Header=BB4_128 Depth=2
	s_or_b32 exec_lo, exec_lo, s10
	s_delay_alu instid0(VALU_DEP_2) | instskip(NEXT) | instid1(VALU_DEP_2)
	v_lshrrev_b64 v[14:15], 20, v[14:15]
	v_cmp_gt_i32_e32 vcc_lo, 16, v3
	v_min_i32_e32 v16, 15, v3
	v_cmp_eq_u32_e64 s10, 0, v3
	s_delay_alu instid0(VALU_DEP_2) | instskip(SKIP_1) | instid1(VALU_DEP_2)
	v_dual_cndmask_b32 v14, 7, v14, vcc_lo :: v_dual_lshlrev_b32 v16, 3, v16
	v_cndmask_b32_e32 v15, 0, v15, vcc_lo
	v_and_b32_e32 v16, 0xf8, v16
	s_delay_alu instid0(VALU_DEP_2) | instskip(NEXT) | instid1(VALU_DEP_2)
	v_cmp_eq_u64_e32 vcc_lo, 0, v[14:15]
	v_and_or_b32 v3, v14, 7, v16
	s_and_b32 s10, s10, vcc_lo
	s_delay_alu instid0(VALU_DEP_1) | instid1(SALU_CYCLE_1)
	v_cndmask_b32_e64 v3, v3, 0, s10
	s_delay_alu instid0(VALU_DEP_1)
	v_or_b32_e32 v72, v3, v2
.LBB4_552:                              ;   in Loop: Header=BB4_128 Depth=2
	s_or_b32 exec_lo, exec_lo, s43
                                        ; implicit-def: $vgpr2
.LBB4_553:                              ;   in Loop: Header=BB4_128 Depth=2
	s_and_not1_saveexec_b32 s10, s42
; %bb.554:                              ;   in Loop: Header=BB4_128 Depth=2
	v_or_b32_e32 v72, 0x7e, v2
; %bb.555:                              ;   in Loop: Header=BB4_128 Depth=2
	s_or_b32 exec_lo, exec_lo, s10
                                        ; implicit-def: $vgpr2
.LBB4_556:                              ;   in Loop: Header=BB4_128 Depth=2
	s_and_not1_saveexec_b32 s10, s41
; %bb.557:                              ;   in Loop: Header=BB4_128 Depth=2
	v_or_b32_e32 v72, 0x7f, v2
; %bb.558:                              ;   in Loop: Header=BB4_128 Depth=2
	s_or_b32 exec_lo, exec_lo, s10
	v_dual_mov_b32 v3, 0 :: v_dual_lshrrev_b32 v2, 16, v10
	s_mov_b32 s10, exec_lo
	s_delay_alu instid0(VALU_DEP_1) | instskip(NEXT) | instid1(VALU_DEP_1)
	v_and_b32_e32 v14, 0xff, v2
	v_cmpx_ne_u16_e32 0, v14
	s_cbranch_execz .LBB4_566
; %bb.559:                              ;   in Loop: Header=BB4_128 Depth=2
	v_bfrev_b32_e32 v3, 1
	s_mov_b32 s41, exec_lo
	v_cmpx_ne_u16_e32 0x80, v14
	s_cbranch_execz .LBB4_565
; %bb.560:                              ;   in Loop: Header=BB4_128 Depth=2
	v_bfe_u32 v14, v10, 16, 7
	v_mov_b32_e32 v3, 0x7f800001
	s_mov_b32 s42, exec_lo
	s_delay_alu instid0(VALU_DEP_2)
	v_cmpx_ne_u32_e32 0x7f, v14
	s_cbranch_execz .LBB4_564
; %bb.561:                              ;   in Loop: Header=BB4_128 Depth=2
	v_and_b32_e32 v38, 7, v2
	v_lshrrev_b32_e32 v3, 3, v14
	s_mov_b32 s43, exec_lo
	v_cmpx_gt_u32_e32 8, v14
; %bb.562:                              ;   in Loop: Header=BB4_128 Depth=2
	s_delay_alu instid0(VALU_DEP_3) | instskip(NEXT) | instid1(VALU_DEP_1)
	v_clz_i32_u32_e32 v3, v38
	v_min_u32_e32 v3, 32, v3
	s_delay_alu instid0(VALU_DEP_1) | instskip(NEXT) | instid1(VALU_DEP_1)
	v_subrev_nc_u32_e32 v14, 28, v3
	v_lshlrev_b64_e32 v[14:15], v14, v[38:39]
	s_delay_alu instid0(VALU_DEP_1)
	v_dual_sub_nc_u32 v3, 29, v3 :: v_dual_bitop2_b32 v38, 7, v14 bitop3:0x40
; %bb.563:                              ;   in Loop: Header=BB4_128 Depth=2
	s_or_b32 exec_lo, exec_lo, s43
	v_lshlrev_b32_e32 v2, 24, v2
	s_delay_alu instid0(VALU_DEP_2) | instskip(NEXT) | instid1(VALU_DEP_3)
	v_lshlrev_b32_e32 v14, 20, v38
	v_lshl_add_u32 v3, v3, 23, 0x3c000000
	s_delay_alu instid0(VALU_DEP_3) | instskip(NEXT) | instid1(VALU_DEP_1)
	v_and_b32_e32 v2, 0x80000000, v2
	v_or3_b32 v3, v14, v2, v3
.LBB4_564:                              ;   in Loop: Header=BB4_128 Depth=2
	s_or_b32 exec_lo, exec_lo, s42
.LBB4_565:                              ;   in Loop: Header=BB4_128 Depth=2
	s_delay_alu instid0(SALU_CYCLE_1)
	s_or_b32 exec_lo, exec_lo, s41
.LBB4_566:                              ;   in Loop: Header=BB4_128 Depth=2
	s_delay_alu instid0(SALU_CYCLE_1) | instskip(NEXT) | instid1(VALU_DEP_1)
	s_or_b32 exec_lo, exec_lo, s10
	v_mul_f32_e32 v3, s40, v3
                                        ; implicit-def: $vgpr74
	s_mov_b32 s10, exec_lo
	s_delay_alu instid0(VALU_DEP_1) | instskip(SKIP_1) | instid1(VALU_DEP_2)
	v_and_b32_e32 v38, 0x7f800000, v3
	v_lshrrev_b32_e32 v2, 24, v3
	v_cmpx_ne_u64_e32 0x7f800000, v[38:39]
	s_xor_b32 s41, exec_lo, s10
	s_cbranch_execz .LBB4_580
; %bb.567:                              ;   in Loop: Header=BB4_128 Depth=2
	v_and_b32_e32 v38, 0x7fffffff, v3
	v_and_b32_e32 v2, 0x80, v2
                                        ; implicit-def: $vgpr74
	s_mov_b32 s10, exec_lo
	s_delay_alu instid0(VALU_DEP_2)
	v_cmpx_gt_u64_e32 0x43e00001, v[38:39]
	s_xor_b32 s42, exec_lo, s10
	s_cbranch_execz .LBB4_577
; %bb.568:                              ;   in Loop: Header=BB4_128 Depth=2
	v_mov_b32_e32 v74, 0
	s_mov_b32 s43, exec_lo
	v_cmpx_ne_u32_e32 0, v3
	s_cbranch_execz .LBB4_576
; %bb.569:                              ;   in Loop: Header=BB4_128 Depth=2
	v_bfe_u32 v103, v3, 23, 8
	v_and_b32_e32 v3, 0x7fffff, v3
	s_delay_alu instid0(VALU_DEP_2) | instskip(SKIP_1) | instid1(VALU_DEP_3)
	v_sub_nc_u32_e32 v14, 0x79, v103
	v_cmp_gt_u32_e32 vcc_lo, 0x7a, v103
	v_or_b32_e32 v16, 0x800000, v3
	s_delay_alu instid0(VALU_DEP_3) | instskip(SKIP_1) | instid1(VALU_DEP_2)
	v_cndmask_b32_e32 v14, 0, v14, vcc_lo
	v_cmp_eq_u32_e32 vcc_lo, 0, v103
	v_cndmask_b32_e64 v113, v14, 0x78, vcc_lo
	s_delay_alu instid0(VALU_DEP_1) | instskip(SKIP_1) | instid1(VALU_DEP_2)
	v_dual_cndmask_b32 v38, v16, v3, vcc_lo :: v_dual_add_nc_u32 v14, 20, v113
	v_add_nc_u32_e32 v17, 19, v113
	v_lshlrev_b64_e64 v[14:15], v14, -1
	s_delay_alu instid0(VALU_DEP_2) | instskip(NEXT) | instid1(VALU_DEP_2)
	v_lshlrev_b64_e64 v[16:17], v17, 1
	v_bfi_b32 v21, v15, 0, 0
	s_delay_alu instid0(VALU_DEP_3) | instskip(SKIP_1) | instid1(VALU_DEP_2)
	v_bfi_b32 v20, v14, 0, v38
	v_lshrrev_b64 v[14:15], v113, v[38:39]
	v_cmp_eq_u64_e64 s10, v[20:21], v[16:17]
	s_delay_alu instid0(VALU_DEP_2)
	v_mov_b64_e32 v[16:17], v[14:15]
	s_and_saveexec_b32 s44, s10
; %bb.570:                              ;   in Loop: Header=BB4_128 Depth=2
	v_bfe_u32 v38, v14, 20, 1
	s_delay_alu instid0(VALU_DEP_1) | instskip(NEXT) | instid1(VALU_DEP_1)
	v_add_nc_u64_e32 v[16:17], v[14:15], v[38:39]
	v_add_nc_u64_e32 v[16:17], -1, v[16:17]
; %bb.571:                              ;   in Loop: Header=BB4_128 Depth=2
	s_or_b32 exec_lo, exec_lo, s44
	v_add_nc_u32_e32 v3, 0xffffff81, v103
	v_lshrrev_b32_e32 v15, 23, v14
	s_mov_b32 s10, exec_lo
	s_delay_alu instid0(VALU_DEP_2) | instskip(NEXT) | instid1(VALU_DEP_1)
	v_cndmask_b32_e64 v3, v3, 0xffffff82, vcc_lo
	v_add3_u32 v17, v113, v3, v15
	v_and_b32_e32 v3, 0xfffff, v16
	s_delay_alu instid0(VALU_DEP_1) | instskip(NEXT) | instid1(VALU_DEP_1)
	v_dual_add_nc_u32 v16, 6, v17 :: v_dual_add_nc_u32 v38, v3, v14
                                        ; implicit-def: $vgpr14_vgpr15
                                        ; implicit-def: $vgpr3
	v_cmpx_ne_u32_e32 0, v16
	s_xor_b32 s10, exec_lo, s10
; %bb.572:                              ;   in Loop: Header=BB4_128 Depth=2
	s_delay_alu instid0(VALU_DEP_2) | instskip(SKIP_2) | instid1(VALU_DEP_2)
	v_cmp_lt_u64_e32 vcc_lo, 0xffffff, v[38:39]
	v_add_nc_u32_e32 v3, 7, v17
	v_cndmask_b32_e64 v14, 0, 1, vcc_lo
	v_cndmask_b32_e32 v3, v16, v3, vcc_lo
	s_delay_alu instid0(VALU_DEP_2)
	v_lshrrev_b64 v[14:15], v14, v[38:39]
; %bb.573:                              ;   in Loop: Header=BB4_128 Depth=2
	s_and_not1_saveexec_b32 s10, s10
; %bb.574:                              ;   in Loop: Header=BB4_128 Depth=2
	v_mov_b64_e32 v[14:15], v[38:39]
	v_bfe_u32 v3, v38, 23, 1
; %bb.575:                              ;   in Loop: Header=BB4_128 Depth=2
	s_or_b32 exec_lo, exec_lo, s10
	s_delay_alu instid0(VALU_DEP_2) | instskip(NEXT) | instid1(VALU_DEP_2)
	v_lshrrev_b64 v[14:15], 20, v[14:15]
	v_cmp_gt_i32_e32 vcc_lo, 16, v3
	v_min_i32_e32 v16, 15, v3
	v_cmp_eq_u32_e64 s10, 0, v3
	s_delay_alu instid0(VALU_DEP_2) | instskip(SKIP_1) | instid1(VALU_DEP_2)
	v_dual_cndmask_b32 v14, 7, v14, vcc_lo :: v_dual_lshlrev_b32 v16, 3, v16
	v_cndmask_b32_e32 v15, 0, v15, vcc_lo
	v_and_b32_e32 v16, 0xf8, v16
	s_delay_alu instid0(VALU_DEP_2) | instskip(NEXT) | instid1(VALU_DEP_2)
	v_cmp_eq_u64_e32 vcc_lo, 0, v[14:15]
	v_and_or_b32 v3, v14, 7, v16
	s_and_b32 s10, s10, vcc_lo
	s_delay_alu instid0(VALU_DEP_1) | instid1(SALU_CYCLE_1)
	v_cndmask_b32_e64 v3, v3, 0, s10
	s_delay_alu instid0(VALU_DEP_1)
	v_or_b32_e32 v74, v3, v2
.LBB4_576:                              ;   in Loop: Header=BB4_128 Depth=2
	s_or_b32 exec_lo, exec_lo, s43
                                        ; implicit-def: $vgpr2
.LBB4_577:                              ;   in Loop: Header=BB4_128 Depth=2
	s_and_not1_saveexec_b32 s10, s42
; %bb.578:                              ;   in Loop: Header=BB4_128 Depth=2
	v_or_b32_e32 v74, 0x7e, v2
; %bb.579:                              ;   in Loop: Header=BB4_128 Depth=2
	s_or_b32 exec_lo, exec_lo, s10
                                        ; implicit-def: $vgpr2
.LBB4_580:                              ;   in Loop: Header=BB4_128 Depth=2
	s_and_not1_saveexec_b32 s10, s41
; %bb.581:                              ;   in Loop: Header=BB4_128 Depth=2
	v_or_b32_e32 v74, 0x7f, v2
; %bb.582:                              ;   in Loop: Header=BB4_128 Depth=2
	s_or_b32 exec_lo, exec_lo, s10
	v_mov_b32_e32 v3, 0
	s_mov_b32 s10, exec_lo
	v_cmpx_lt_u32_e32 0xffffff, v10
	s_cbranch_execz .LBB4_590
; %bb.583:                              ;   in Loop: Header=BB4_128 Depth=2
	v_lshrrev_b32_e32 v2, 24, v10
	v_bfrev_b32_e32 v3, 1
	s_mov_b32 s41, exec_lo
	s_delay_alu instid0(VALU_DEP_2)
	v_cmpx_ne_u32_e32 0x80, v2
	s_cbranch_execz .LBB4_589
; %bb.584:                              ;   in Loop: Header=BB4_128 Depth=2
	v_bfe_u32 v14, v10, 24, 7
	v_mov_b32_e32 v3, 0x7f800001
	s_mov_b32 s42, exec_lo
	s_delay_alu instid0(VALU_DEP_2)
	v_cmpx_ne_u32_e32 0x7f, v14
	s_cbranch_execz .LBB4_588
; %bb.585:                              ;   in Loop: Header=BB4_128 Depth=2
	v_and_b32_e32 v38, 7, v2
	v_lshrrev_b32_e32 v3, 3, v14
	s_mov_b32 s43, exec_lo
	v_cmpx_gt_u32_e32 8, v14
; %bb.586:                              ;   in Loop: Header=BB4_128 Depth=2
	s_delay_alu instid0(VALU_DEP_3) | instskip(NEXT) | instid1(VALU_DEP_1)
	v_clz_i32_u32_e32 v3, v38
	v_min_u32_e32 v3, 32, v3
	s_delay_alu instid0(VALU_DEP_1) | instskip(NEXT) | instid1(VALU_DEP_1)
	v_subrev_nc_u32_e32 v14, 28, v3
	v_lshlrev_b64_e32 v[14:15], v14, v[38:39]
	s_delay_alu instid0(VALU_DEP_1)
	v_dual_sub_nc_u32 v3, 29, v3 :: v_dual_bitop2_b32 v38, 7, v14 bitop3:0x40
; %bb.587:                              ;   in Loop: Header=BB4_128 Depth=2
	s_or_b32 exec_lo, exec_lo, s43
	v_lshlrev_b32_e32 v2, 24, v2
	s_delay_alu instid0(VALU_DEP_2) | instskip(NEXT) | instid1(VALU_DEP_3)
	v_lshlrev_b32_e32 v14, 20, v38
	v_lshl_add_u32 v3, v3, 23, 0x3c000000
	s_delay_alu instid0(VALU_DEP_3) | instskip(NEXT) | instid1(VALU_DEP_1)
	v_and_b32_e32 v2, 0x80000000, v2
	v_or3_b32 v3, v14, v2, v3
.LBB4_588:                              ;   in Loop: Header=BB4_128 Depth=2
	s_or_b32 exec_lo, exec_lo, s42
.LBB4_589:                              ;   in Loop: Header=BB4_128 Depth=2
	s_delay_alu instid0(SALU_CYCLE_1)
	s_or_b32 exec_lo, exec_lo, s41
.LBB4_590:                              ;   in Loop: Header=BB4_128 Depth=2
	s_delay_alu instid0(SALU_CYCLE_1) | instskip(NEXT) | instid1(VALU_DEP_1)
	s_or_b32 exec_lo, exec_lo, s10
	v_mul_f32_e32 v3, s40, v3
                                        ; implicit-def: $vgpr78
	s_mov_b32 s10, exec_lo
	s_delay_alu instid0(VALU_DEP_1) | instskip(SKIP_1) | instid1(VALU_DEP_2)
	v_and_b32_e32 v38, 0x7f800000, v3
	v_lshrrev_b32_e32 v2, 24, v3
	v_cmpx_ne_u64_e32 0x7f800000, v[38:39]
	s_xor_b32 s41, exec_lo, s10
	s_cbranch_execz .LBB4_604
; %bb.591:                              ;   in Loop: Header=BB4_128 Depth=2
	v_and_b32_e32 v38, 0x7fffffff, v3
	v_and_b32_e32 v2, 0x80, v2
                                        ; implicit-def: $vgpr78
	s_mov_b32 s10, exec_lo
	s_delay_alu instid0(VALU_DEP_2)
	v_cmpx_gt_u64_e32 0x43e00001, v[38:39]
	s_xor_b32 s42, exec_lo, s10
	s_cbranch_execz .LBB4_601
; %bb.592:                              ;   in Loop: Header=BB4_128 Depth=2
	v_mov_b32_e32 v78, 0
	s_mov_b32 s43, exec_lo
	v_cmpx_ne_u32_e32 0, v3
	s_cbranch_execz .LBB4_600
; %bb.593:                              ;   in Loop: Header=BB4_128 Depth=2
	v_bfe_u32 v103, v3, 23, 8
	v_and_b32_e32 v3, 0x7fffff, v3
	s_delay_alu instid0(VALU_DEP_2) | instskip(SKIP_1) | instid1(VALU_DEP_3)
	v_sub_nc_u32_e32 v14, 0x79, v103
	v_cmp_gt_u32_e32 vcc_lo, 0x7a, v103
	v_or_b32_e32 v16, 0x800000, v3
	s_delay_alu instid0(VALU_DEP_3) | instskip(SKIP_1) | instid1(VALU_DEP_2)
	v_cndmask_b32_e32 v14, 0, v14, vcc_lo
	v_cmp_eq_u32_e32 vcc_lo, 0, v103
	v_cndmask_b32_e64 v113, v14, 0x78, vcc_lo
	s_delay_alu instid0(VALU_DEP_1) | instskip(SKIP_1) | instid1(VALU_DEP_2)
	v_dual_cndmask_b32 v38, v16, v3, vcc_lo :: v_dual_add_nc_u32 v14, 20, v113
	v_add_nc_u32_e32 v17, 19, v113
	v_lshlrev_b64_e64 v[14:15], v14, -1
	s_delay_alu instid0(VALU_DEP_2) | instskip(NEXT) | instid1(VALU_DEP_2)
	v_lshlrev_b64_e64 v[16:17], v17, 1
	v_bfi_b32 v21, v15, 0, 0
	s_delay_alu instid0(VALU_DEP_3) | instskip(SKIP_1) | instid1(VALU_DEP_2)
	v_bfi_b32 v20, v14, 0, v38
	v_lshrrev_b64 v[14:15], v113, v[38:39]
	v_cmp_eq_u64_e64 s10, v[20:21], v[16:17]
	s_delay_alu instid0(VALU_DEP_2)
	v_mov_b64_e32 v[16:17], v[14:15]
	s_and_saveexec_b32 s44, s10
; %bb.594:                              ;   in Loop: Header=BB4_128 Depth=2
	v_bfe_u32 v38, v14, 20, 1
	s_delay_alu instid0(VALU_DEP_1) | instskip(NEXT) | instid1(VALU_DEP_1)
	v_add_nc_u64_e32 v[16:17], v[14:15], v[38:39]
	v_add_nc_u64_e32 v[16:17], -1, v[16:17]
; %bb.595:                              ;   in Loop: Header=BB4_128 Depth=2
	s_or_b32 exec_lo, exec_lo, s44
	v_add_nc_u32_e32 v3, 0xffffff81, v103
	v_lshrrev_b32_e32 v15, 23, v14
	s_mov_b32 s10, exec_lo
	s_delay_alu instid0(VALU_DEP_2) | instskip(NEXT) | instid1(VALU_DEP_1)
	v_cndmask_b32_e64 v3, v3, 0xffffff82, vcc_lo
	v_add3_u32 v17, v113, v3, v15
	v_and_b32_e32 v3, 0xfffff, v16
	s_delay_alu instid0(VALU_DEP_1) | instskip(NEXT) | instid1(VALU_DEP_1)
	v_dual_add_nc_u32 v16, 6, v17 :: v_dual_add_nc_u32 v38, v3, v14
                                        ; implicit-def: $vgpr14_vgpr15
                                        ; implicit-def: $vgpr3
	v_cmpx_ne_u32_e32 0, v16
	s_xor_b32 s10, exec_lo, s10
; %bb.596:                              ;   in Loop: Header=BB4_128 Depth=2
	s_delay_alu instid0(VALU_DEP_2) | instskip(SKIP_2) | instid1(VALU_DEP_2)
	v_cmp_lt_u64_e32 vcc_lo, 0xffffff, v[38:39]
	v_add_nc_u32_e32 v3, 7, v17
	v_cndmask_b32_e64 v14, 0, 1, vcc_lo
	v_cndmask_b32_e32 v3, v16, v3, vcc_lo
	s_delay_alu instid0(VALU_DEP_2)
	v_lshrrev_b64 v[14:15], v14, v[38:39]
; %bb.597:                              ;   in Loop: Header=BB4_128 Depth=2
	s_and_not1_saveexec_b32 s10, s10
; %bb.598:                              ;   in Loop: Header=BB4_128 Depth=2
	v_mov_b64_e32 v[14:15], v[38:39]
	v_bfe_u32 v3, v38, 23, 1
; %bb.599:                              ;   in Loop: Header=BB4_128 Depth=2
	s_or_b32 exec_lo, exec_lo, s10
	s_delay_alu instid0(VALU_DEP_2) | instskip(NEXT) | instid1(VALU_DEP_2)
	v_lshrrev_b64 v[14:15], 20, v[14:15]
	v_cmp_gt_i32_e32 vcc_lo, 16, v3
	v_min_i32_e32 v16, 15, v3
	v_cmp_eq_u32_e64 s10, 0, v3
	s_delay_alu instid0(VALU_DEP_2) | instskip(SKIP_1) | instid1(VALU_DEP_2)
	v_dual_cndmask_b32 v14, 7, v14, vcc_lo :: v_dual_lshlrev_b32 v16, 3, v16
	v_cndmask_b32_e32 v15, 0, v15, vcc_lo
	v_and_b32_e32 v16, 0xf8, v16
	s_delay_alu instid0(VALU_DEP_2) | instskip(NEXT) | instid1(VALU_DEP_2)
	v_cmp_eq_u64_e32 vcc_lo, 0, v[14:15]
	v_and_or_b32 v3, v14, 7, v16
	s_and_b32 s10, s10, vcc_lo
	s_delay_alu instid0(VALU_DEP_1) | instid1(SALU_CYCLE_1)
	v_cndmask_b32_e64 v3, v3, 0, s10
	s_delay_alu instid0(VALU_DEP_1)
	v_or_b32_e32 v78, v3, v2
.LBB4_600:                              ;   in Loop: Header=BB4_128 Depth=2
	s_or_b32 exec_lo, exec_lo, s43
                                        ; implicit-def: $vgpr2
.LBB4_601:                              ;   in Loop: Header=BB4_128 Depth=2
	s_and_not1_saveexec_b32 s10, s42
; %bb.602:                              ;   in Loop: Header=BB4_128 Depth=2
	v_or_b32_e32 v78, 0x7e, v2
; %bb.603:                              ;   in Loop: Header=BB4_128 Depth=2
	s_or_b32 exec_lo, exec_lo, s10
                                        ; implicit-def: $vgpr2
.LBB4_604:                              ;   in Loop: Header=BB4_128 Depth=2
	s_and_not1_saveexec_b32 s10, s41
; %bb.605:                              ;   in Loop: Header=BB4_128 Depth=2
	v_or_b32_e32 v78, 0x7f, v2
; %bb.606:                              ;   in Loop: Header=BB4_128 Depth=2
	s_or_b32 exec_lo, exec_lo, s10
	v_and_b32_e32 v3, 0xff, v11
	v_dual_mov_b32 v38, v11 :: v_dual_mov_b32 v2, 0
	s_mov_b32 s10, exec_lo
	s_delay_alu instid0(VALU_DEP_2)
	v_cmpx_ne_u16_e32 0, v3
	s_cbranch_execz .LBB4_612
; %bb.607:                              ;   in Loop: Header=BB4_128 Depth=2
	v_bfrev_b32_e32 v2, 1
	s_mov_b32 s41, exec_lo
	v_cmpx_ne_u16_e32 0x80, v3
	s_cbranch_execz .LBB4_611
; %bb.608:                              ;   in Loop: Header=BB4_128 Depth=2
	v_and_b32_e32 v3, 0x7f, v11
	v_mov_b32_e32 v2, 0x7f800001
	s_mov_b32 s42, exec_lo
	s_delay_alu instid0(VALU_DEP_2)
	v_cmpx_ne_u32_e32 0x7f, v3
	s_cbranch_execz .LBB4_610
; %bb.609:                              ;   in Loop: Header=BB4_128 Depth=2
	v_and_b32_e32 v2, 7, v11
	v_cmp_gt_u32_e32 vcc_lo, 8, v3
	s_delay_alu instid0(VALU_DEP_2) | instskip(NEXT) | instid1(VALU_DEP_1)
	v_clz_i32_u32_e32 v2, v2
	v_min_u32_e32 v2, 32, v2
	v_lshrrev_b32_e32 v14, 3, v3
	s_delay_alu instid0(VALU_DEP_2) | instskip(SKIP_1) | instid1(VALU_DEP_1)
	v_subrev_nc_u32_e32 v15, 28, v2
	v_sub_nc_u32_e32 v2, 29, v2
	v_dual_cndmask_b32 v14, v14, v2, vcc_lo :: v_dual_cndmask_b32 v2, 0, v15, vcc_lo
	s_delay_alu instid0(VALU_DEP_1) | instskip(NEXT) | instid1(VALU_DEP_2)
	v_lshl_add_u32 v14, v14, 23, 0x3c000000
	v_lshlrev_b64_e32 v[2:3], v2, v[38:39]
	v_lshlrev_b32_e32 v3, 24, v38
	s_delay_alu instid0(VALU_DEP_1) | instskip(NEXT) | instid1(VALU_DEP_3)
	v_and_b32_e32 v3, 0x80000000, v3
	v_lshlrev_b32_e32 v2, 20, v2
	s_delay_alu instid0(VALU_DEP_1) | instskip(NEXT) | instid1(VALU_DEP_1)
	v_and_b32_e32 v2, 0x700000, v2
	v_or3_b32 v2, v2, v3, v14
.LBB4_610:                              ;   in Loop: Header=BB4_128 Depth=2
	s_or_b32 exec_lo, exec_lo, s42
.LBB4_611:                              ;   in Loop: Header=BB4_128 Depth=2
	s_delay_alu instid0(SALU_CYCLE_1)
	s_or_b32 exec_lo, exec_lo, s41
.LBB4_612:                              ;   in Loop: Header=BB4_128 Depth=2
	s_delay_alu instid0(SALU_CYCLE_1) | instskip(NEXT) | instid1(VALU_DEP_1)
	s_or_b32 exec_lo, exec_lo, s10
	v_dual_mul_f32 v3, s40, v2 :: v_dual_mov_b32 v15, v39
                                        ; implicit-def: $vgpr45
	s_mov_b32 s10, exec_lo
	s_delay_alu instid0(VALU_DEP_1) | instskip(SKIP_1) | instid1(VALU_DEP_2)
	v_and_b32_e32 v14, 0x7f800000, v3
	v_lshrrev_b32_e32 v2, 24, v3
	v_cmpx_ne_u64_e32 0x7f800000, v[14:15]
	s_xor_b32 s41, exec_lo, s10
	s_cbranch_execz .LBB4_626
; %bb.613:                              ;   in Loop: Header=BB4_128 Depth=2
	v_and_b32_e32 v14, 0x7fffffff, v3
	v_mov_b32_e32 v15, v39
	v_and_b32_e32 v2, 0x80, v2
                                        ; implicit-def: $vgpr45
	s_mov_b32 s10, exec_lo
	s_delay_alu instid0(VALU_DEP_2)
	v_cmpx_gt_u64_e32 0x43e00001, v[14:15]
	s_xor_b32 s42, exec_lo, s10
	s_cbranch_execz .LBB4_623
; %bb.614:                              ;   in Loop: Header=BB4_128 Depth=2
	v_mov_b32_e32 v45, 0
	s_mov_b32 s43, exec_lo
	v_cmpx_ne_u32_e32 0, v3
	s_cbranch_execz .LBB4_622
; %bb.615:                              ;   in Loop: Header=BB4_128 Depth=2
	v_bfe_u32 v103, v3, 23, 8
	v_and_b32_e32 v3, 0x7fffff, v3
	s_mov_b32 s44, exec_lo
	s_delay_alu instid0(VALU_DEP_2) | instskip(SKIP_1) | instid1(VALU_DEP_3)
	v_dual_mov_b32 v17, v39 :: v_dual_sub_nc_u32 v14, 0x79, v103
	v_cmp_gt_u32_e32 vcc_lo, 0x7a, v103
	v_or_b32_e32 v16, 0x800000, v3
	s_delay_alu instid0(VALU_DEP_3) | instskip(SKIP_1) | instid1(VALU_DEP_2)
	v_cndmask_b32_e32 v14, 0, v14, vcc_lo
	v_cmp_eq_u32_e32 vcc_lo, 0, v103
	v_cndmask_b32_e64 v113, v14, 0x78, vcc_lo
	s_delay_alu instid0(VALU_DEP_1) | instskip(SKIP_1) | instid1(VALU_DEP_2)
	v_dual_cndmask_b32 v16, v16, v3, vcc_lo :: v_dual_add_nc_u32 v14, 20, v113
	v_add_nc_u32_e32 v20, 19, v113
	v_lshlrev_b64_e64 v[14:15], v14, -1
	s_delay_alu instid0(VALU_DEP_2) | instskip(NEXT) | instid1(VALU_DEP_2)
	v_lshlrev_b64_e64 v[20:21], v20, 1
	v_bfi_b32 v41, v15, 0, 0
	s_delay_alu instid0(VALU_DEP_3) | instskip(SKIP_1) | instid1(VALU_DEP_1)
	v_bfi_b32 v40, v14, 0, v16
	v_lshrrev_b64 v[14:15], v113, v[16:17]
	v_mov_b64_e32 v[16:17], v[14:15]
	s_delay_alu instid0(VALU_DEP_3)
	v_cmpx_eq_u64_e64 v[40:41], v[20:21]
; %bb.616:                              ;   in Loop: Header=BB4_128 Depth=2
	v_bfe_u32 v16, v14, 20, 1
	v_mov_b32_e32 v17, v39
	s_delay_alu instid0(VALU_DEP_1) | instskip(NEXT) | instid1(VALU_DEP_1)
	v_add_nc_u64_e32 v[16:17], v[14:15], v[16:17]
	v_add_nc_u64_e32 v[16:17], -1, v[16:17]
; %bb.617:                              ;   in Loop: Header=BB4_128 Depth=2
	s_or_b32 exec_lo, exec_lo, s44
	v_add_nc_u32_e32 v3, 0xffffff81, v103
	v_lshrrev_b32_e32 v15, 23, v14
	s_mov_b32 s10, exec_lo
	s_delay_alu instid0(VALU_DEP_2) | instskip(NEXT) | instid1(VALU_DEP_1)
	v_cndmask_b32_e64 v3, v3, 0xffffff82, vcc_lo
	v_add3_u32 v17, v113, v3, v15
	v_and_b32_e32 v3, 0xfffff, v16
	s_delay_alu instid0(VALU_DEP_2) | instskip(NEXT) | instid1(VALU_DEP_2)
	v_dual_mov_b32 v15, v39 :: v_dual_add_nc_u32 v16, 6, v17
	v_add_nc_u32_e32 v14, v3, v14
                                        ; implicit-def: $vgpr3
	s_delay_alu instid0(VALU_DEP_2)
	v_cmpx_ne_u32_e32 0, v16
	s_xor_b32 s10, exec_lo, s10
; %bb.618:                              ;   in Loop: Header=BB4_128 Depth=2
	s_delay_alu instid0(VALU_DEP_2) | instskip(SKIP_1) | instid1(VALU_DEP_1)
	v_cmp_lt_u64_e32 vcc_lo, 0xffffff, v[14:15]
	v_add_nc_u32_e32 v3, 7, v17
	v_cndmask_b32_e32 v3, v16, v3, vcc_lo
	v_cndmask_b32_e64 v16, 0, 1, vcc_lo
	s_delay_alu instid0(VALU_DEP_1)
	v_lshrrev_b64 v[14:15], v16, v[14:15]
; %bb.619:                              ;   in Loop: Header=BB4_128 Depth=2
	s_and_not1_saveexec_b32 s10, s10
; %bb.620:                              ;   in Loop: Header=BB4_128 Depth=2
	s_delay_alu instid0(VALU_DEP_1)
	v_bfe_u32 v3, v14, 23, 1
; %bb.621:                              ;   in Loop: Header=BB4_128 Depth=2
	s_or_b32 exec_lo, exec_lo, s10
	s_delay_alu instid0(VALU_DEP_2) | instskip(NEXT) | instid1(VALU_DEP_2)
	v_lshrrev_b64 v[14:15], 20, v[14:15]
	v_cmp_gt_i32_e32 vcc_lo, 16, v3
	v_min_i32_e32 v16, 15, v3
	v_cmp_eq_u32_e64 s10, 0, v3
	s_delay_alu instid0(VALU_DEP_2) | instskip(SKIP_1) | instid1(VALU_DEP_2)
	v_dual_cndmask_b32 v14, 7, v14, vcc_lo :: v_dual_lshlrev_b32 v16, 3, v16
	v_cndmask_b32_e32 v15, 0, v15, vcc_lo
	v_and_b32_e32 v16, 0xf8, v16
	s_delay_alu instid0(VALU_DEP_2) | instskip(NEXT) | instid1(VALU_DEP_2)
	v_cmp_eq_u64_e32 vcc_lo, 0, v[14:15]
	v_and_or_b32 v3, v14, 7, v16
	s_and_b32 s10, s10, vcc_lo
	s_delay_alu instid0(VALU_DEP_1) | instid1(SALU_CYCLE_1)
	v_cndmask_b32_e64 v3, v3, 0, s10
	s_delay_alu instid0(VALU_DEP_1)
	v_or_b32_e32 v45, v3, v2
.LBB4_622:                              ;   in Loop: Header=BB4_128 Depth=2
	s_or_b32 exec_lo, exec_lo, s43
                                        ; implicit-def: $vgpr2
.LBB4_623:                              ;   in Loop: Header=BB4_128 Depth=2
	s_and_not1_saveexec_b32 s10, s42
; %bb.624:                              ;   in Loop: Header=BB4_128 Depth=2
	v_or_b32_e32 v45, 0x7e, v2
; %bb.625:                              ;   in Loop: Header=BB4_128 Depth=2
	s_or_b32 exec_lo, exec_lo, s10
                                        ; implicit-def: $vgpr2
.LBB4_626:                              ;   in Loop: Header=BB4_128 Depth=2
	s_and_not1_saveexec_b32 s10, s41
; %bb.627:                              ;   in Loop: Header=BB4_128 Depth=2
	v_or_b32_e32 v45, 0x7f, v2
; %bb.628:                              ;   in Loop: Header=BB4_128 Depth=2
	s_or_b32 exec_lo, exec_lo, s10
	v_lshrrev_b16 v3, 8, v38
	v_mov_b32_e32 v2, 0
	s_mov_b32 s10, exec_lo
	s_delay_alu instid0(VALU_DEP_2)
	v_cmpx_ne_u16_e32 0, v3
	s_cbranch_execz .LBB4_636
; %bb.629:                              ;   in Loop: Header=BB4_128 Depth=2
	v_bfrev_b32_e32 v2, 1
	s_mov_b32 s41, exec_lo
	v_cmpx_ne_u16_e32 0x80, v3
	s_cbranch_execz .LBB4_635
; %bb.630:                              ;   in Loop: Header=BB4_128 Depth=2
	v_and_b32_e32 v14, 0xffff, v3
	v_mov_b32_e32 v2, 0x7f800001
	s_mov_b32 s42, exec_lo
	s_delay_alu instid0(VALU_DEP_2) | instskip(NEXT) | instid1(VALU_DEP_1)
	v_and_b32_e32 v3, 0x7f, v14
	v_cmpx_ne_u32_e32 0x7f, v3
	s_cbranch_execz .LBB4_634
; %bb.631:                              ;   in Loop: Header=BB4_128 Depth=2
	v_dual_mov_b32 v15, v39 :: v_dual_bitop2_b32 v14, 7, v14 bitop3:0x40
	v_lshrrev_b32_e32 v2, 3, v3
	s_mov_b32 s43, exec_lo
	v_cmpx_gt_u32_e32 8, v3
; %bb.632:                              ;   in Loop: Header=BB4_128 Depth=2
	s_delay_alu instid0(VALU_DEP_3) | instskip(NEXT) | instid1(VALU_DEP_1)
	v_clz_i32_u32_e32 v2, v14
	v_min_u32_e32 v2, 32, v2
	s_delay_alu instid0(VALU_DEP_1) | instskip(SKIP_1) | instid1(VALU_DEP_2)
	v_subrev_nc_u32_e32 v3, 28, v2
	v_sub_nc_u32_e32 v2, 29, v2
	v_lshlrev_b64_e32 v[14:15], v3, v[14:15]
	s_delay_alu instid0(VALU_DEP_1)
	v_and_b32_e32 v14, 7, v14
; %bb.633:                              ;   in Loop: Header=BB4_128 Depth=2
	s_or_b32 exec_lo, exec_lo, s43
	v_lshlrev_b32_e32 v3, 16, v38
	s_delay_alu instid0(VALU_DEP_2) | instskip(SKIP_1) | instid1(VALU_DEP_3)
	v_lshlrev_b32_e32 v14, 20, v14
	v_lshl_add_u32 v2, v2, 23, 0x3c000000
	v_and_b32_e32 v3, 0x80000000, v3
	s_delay_alu instid0(VALU_DEP_1)
	v_or3_b32 v2, v14, v3, v2
.LBB4_634:                              ;   in Loop: Header=BB4_128 Depth=2
	s_or_b32 exec_lo, exec_lo, s42
.LBB4_635:                              ;   in Loop: Header=BB4_128 Depth=2
	s_delay_alu instid0(SALU_CYCLE_1)
	s_or_b32 exec_lo, exec_lo, s41
.LBB4_636:                              ;   in Loop: Header=BB4_128 Depth=2
	s_delay_alu instid0(SALU_CYCLE_1) | instskip(NEXT) | instid1(VALU_DEP_1)
	s_or_b32 exec_lo, exec_lo, s10
	v_mul_f32_e32 v3, s40, v2
                                        ; implicit-def: $vgpr59
	s_mov_b32 s10, exec_lo
	s_delay_alu instid0(VALU_DEP_1) | instskip(SKIP_1) | instid1(VALU_DEP_2)
	v_and_b32_e32 v38, 0x7f800000, v3
	v_lshrrev_b32_e32 v2, 24, v3
	v_cmpx_ne_u64_e32 0x7f800000, v[38:39]
	s_xor_b32 s41, exec_lo, s10
	s_cbranch_execz .LBB4_650
; %bb.637:                              ;   in Loop: Header=BB4_128 Depth=2
	v_and_b32_e32 v38, 0x7fffffff, v3
	v_and_b32_e32 v2, 0x80, v2
                                        ; implicit-def: $vgpr59
	s_mov_b32 s10, exec_lo
	s_delay_alu instid0(VALU_DEP_2)
	v_cmpx_gt_u64_e32 0x43e00001, v[38:39]
	s_xor_b32 s42, exec_lo, s10
	s_cbranch_execz .LBB4_647
; %bb.638:                              ;   in Loop: Header=BB4_128 Depth=2
	v_mov_b32_e32 v59, 0
	s_mov_b32 s43, exec_lo
	v_cmpx_ne_u32_e32 0, v3
	s_cbranch_execz .LBB4_646
; %bb.639:                              ;   in Loop: Header=BB4_128 Depth=2
	v_bfe_u32 v103, v3, 23, 8
	v_and_b32_e32 v3, 0x7fffff, v3
	s_delay_alu instid0(VALU_DEP_2) | instskip(SKIP_1) | instid1(VALU_DEP_3)
	v_sub_nc_u32_e32 v14, 0x79, v103
	v_cmp_gt_u32_e32 vcc_lo, 0x7a, v103
	v_or_b32_e32 v16, 0x800000, v3
	s_delay_alu instid0(VALU_DEP_3) | instskip(SKIP_1) | instid1(VALU_DEP_2)
	v_cndmask_b32_e32 v14, 0, v14, vcc_lo
	v_cmp_eq_u32_e32 vcc_lo, 0, v103
	v_cndmask_b32_e64 v113, v14, 0x78, vcc_lo
	s_delay_alu instid0(VALU_DEP_1) | instskip(SKIP_1) | instid1(VALU_DEP_2)
	v_dual_cndmask_b32 v38, v16, v3, vcc_lo :: v_dual_add_nc_u32 v14, 20, v113
	v_add_nc_u32_e32 v17, 19, v113
	v_lshlrev_b64_e64 v[14:15], v14, -1
	s_delay_alu instid0(VALU_DEP_2) | instskip(NEXT) | instid1(VALU_DEP_2)
	v_lshlrev_b64_e64 v[16:17], v17, 1
	v_bfi_b32 v21, v15, 0, 0
	s_delay_alu instid0(VALU_DEP_3) | instskip(SKIP_1) | instid1(VALU_DEP_2)
	v_bfi_b32 v20, v14, 0, v38
	v_lshrrev_b64 v[14:15], v113, v[38:39]
	v_cmp_eq_u64_e64 s10, v[20:21], v[16:17]
	s_delay_alu instid0(VALU_DEP_2)
	v_mov_b64_e32 v[16:17], v[14:15]
	s_and_saveexec_b32 s44, s10
; %bb.640:                              ;   in Loop: Header=BB4_128 Depth=2
	v_bfe_u32 v38, v14, 20, 1
	s_delay_alu instid0(VALU_DEP_1) | instskip(NEXT) | instid1(VALU_DEP_1)
	v_add_nc_u64_e32 v[16:17], v[14:15], v[38:39]
	v_add_nc_u64_e32 v[16:17], -1, v[16:17]
; %bb.641:                              ;   in Loop: Header=BB4_128 Depth=2
	s_or_b32 exec_lo, exec_lo, s44
	v_add_nc_u32_e32 v3, 0xffffff81, v103
	v_lshrrev_b32_e32 v15, 23, v14
	s_mov_b32 s10, exec_lo
	s_delay_alu instid0(VALU_DEP_2) | instskip(NEXT) | instid1(VALU_DEP_1)
	v_cndmask_b32_e64 v3, v3, 0xffffff82, vcc_lo
	v_add3_u32 v17, v113, v3, v15
	v_and_b32_e32 v3, 0xfffff, v16
	s_delay_alu instid0(VALU_DEP_1) | instskip(NEXT) | instid1(VALU_DEP_1)
	v_dual_add_nc_u32 v16, 6, v17 :: v_dual_add_nc_u32 v38, v3, v14
                                        ; implicit-def: $vgpr14_vgpr15
                                        ; implicit-def: $vgpr3
	v_cmpx_ne_u32_e32 0, v16
	s_xor_b32 s10, exec_lo, s10
; %bb.642:                              ;   in Loop: Header=BB4_128 Depth=2
	s_delay_alu instid0(VALU_DEP_2) | instskip(SKIP_2) | instid1(VALU_DEP_2)
	v_cmp_lt_u64_e32 vcc_lo, 0xffffff, v[38:39]
	v_add_nc_u32_e32 v3, 7, v17
	v_cndmask_b32_e64 v14, 0, 1, vcc_lo
	v_cndmask_b32_e32 v3, v16, v3, vcc_lo
	s_delay_alu instid0(VALU_DEP_2)
	v_lshrrev_b64 v[14:15], v14, v[38:39]
; %bb.643:                              ;   in Loop: Header=BB4_128 Depth=2
	s_and_not1_saveexec_b32 s10, s10
; %bb.644:                              ;   in Loop: Header=BB4_128 Depth=2
	v_mov_b64_e32 v[14:15], v[38:39]
	v_bfe_u32 v3, v38, 23, 1
; %bb.645:                              ;   in Loop: Header=BB4_128 Depth=2
	s_or_b32 exec_lo, exec_lo, s10
	s_delay_alu instid0(VALU_DEP_2) | instskip(NEXT) | instid1(VALU_DEP_2)
	v_lshrrev_b64 v[14:15], 20, v[14:15]
	v_cmp_gt_i32_e32 vcc_lo, 16, v3
	v_min_i32_e32 v16, 15, v3
	v_cmp_eq_u32_e64 s10, 0, v3
	s_delay_alu instid0(VALU_DEP_2) | instskip(SKIP_1) | instid1(VALU_DEP_2)
	v_dual_cndmask_b32 v14, 7, v14, vcc_lo :: v_dual_lshlrev_b32 v16, 3, v16
	v_cndmask_b32_e32 v15, 0, v15, vcc_lo
	v_and_b32_e32 v16, 0xf8, v16
	s_delay_alu instid0(VALU_DEP_2) | instskip(NEXT) | instid1(VALU_DEP_2)
	v_cmp_eq_u64_e32 vcc_lo, 0, v[14:15]
	v_and_or_b32 v3, v14, 7, v16
	s_and_b32 s10, s10, vcc_lo
	s_delay_alu instid0(VALU_DEP_1) | instid1(SALU_CYCLE_1)
	v_cndmask_b32_e64 v3, v3, 0, s10
	s_delay_alu instid0(VALU_DEP_1)
	v_or_b32_e32 v59, v3, v2
.LBB4_646:                              ;   in Loop: Header=BB4_128 Depth=2
	s_or_b32 exec_lo, exec_lo, s43
                                        ; implicit-def: $vgpr2
.LBB4_647:                              ;   in Loop: Header=BB4_128 Depth=2
	s_and_not1_saveexec_b32 s10, s42
; %bb.648:                              ;   in Loop: Header=BB4_128 Depth=2
	v_or_b32_e32 v59, 0x7e, v2
; %bb.649:                              ;   in Loop: Header=BB4_128 Depth=2
	s_or_b32 exec_lo, exec_lo, s10
                                        ; implicit-def: $vgpr2
.LBB4_650:                              ;   in Loop: Header=BB4_128 Depth=2
	s_and_not1_saveexec_b32 s10, s41
; %bb.651:                              ;   in Loop: Header=BB4_128 Depth=2
	v_or_b32_e32 v59, 0x7f, v2
; %bb.652:                              ;   in Loop: Header=BB4_128 Depth=2
	s_or_b32 exec_lo, exec_lo, s10
	v_dual_mov_b32 v3, 0 :: v_dual_lshrrev_b32 v2, 16, v11
	s_mov_b32 s10, exec_lo
	s_delay_alu instid0(VALU_DEP_1) | instskip(NEXT) | instid1(VALU_DEP_1)
	v_and_b32_e32 v14, 0xff, v2
	v_cmpx_ne_u16_e32 0, v14
	s_cbranch_execz .LBB4_660
; %bb.653:                              ;   in Loop: Header=BB4_128 Depth=2
	v_bfrev_b32_e32 v3, 1
	s_mov_b32 s41, exec_lo
	v_cmpx_ne_u16_e32 0x80, v14
	s_cbranch_execz .LBB4_659
; %bb.654:                              ;   in Loop: Header=BB4_128 Depth=2
	v_bfe_u32 v14, v11, 16, 7
	v_mov_b32_e32 v3, 0x7f800001
	s_mov_b32 s42, exec_lo
	s_delay_alu instid0(VALU_DEP_2)
	v_cmpx_ne_u32_e32 0x7f, v14
	s_cbranch_execz .LBB4_658
; %bb.655:                              ;   in Loop: Header=BB4_128 Depth=2
	v_and_b32_e32 v38, 7, v2
	v_lshrrev_b32_e32 v3, 3, v14
	s_mov_b32 s43, exec_lo
	v_cmpx_gt_u32_e32 8, v14
; %bb.656:                              ;   in Loop: Header=BB4_128 Depth=2
	s_delay_alu instid0(VALU_DEP_3) | instskip(NEXT) | instid1(VALU_DEP_1)
	v_clz_i32_u32_e32 v3, v38
	v_min_u32_e32 v3, 32, v3
	s_delay_alu instid0(VALU_DEP_1) | instskip(NEXT) | instid1(VALU_DEP_1)
	v_subrev_nc_u32_e32 v14, 28, v3
	v_lshlrev_b64_e32 v[14:15], v14, v[38:39]
	s_delay_alu instid0(VALU_DEP_1)
	v_dual_sub_nc_u32 v3, 29, v3 :: v_dual_bitop2_b32 v38, 7, v14 bitop3:0x40
; %bb.657:                              ;   in Loop: Header=BB4_128 Depth=2
	s_or_b32 exec_lo, exec_lo, s43
	v_lshlrev_b32_e32 v2, 24, v2
	s_delay_alu instid0(VALU_DEP_2) | instskip(NEXT) | instid1(VALU_DEP_3)
	v_lshlrev_b32_e32 v14, 20, v38
	v_lshl_add_u32 v3, v3, 23, 0x3c000000
	s_delay_alu instid0(VALU_DEP_3) | instskip(NEXT) | instid1(VALU_DEP_1)
	v_and_b32_e32 v2, 0x80000000, v2
	v_or3_b32 v3, v14, v2, v3
.LBB4_658:                              ;   in Loop: Header=BB4_128 Depth=2
	s_or_b32 exec_lo, exec_lo, s42
.LBB4_659:                              ;   in Loop: Header=BB4_128 Depth=2
	s_delay_alu instid0(SALU_CYCLE_1)
	s_or_b32 exec_lo, exec_lo, s41
.LBB4_660:                              ;   in Loop: Header=BB4_128 Depth=2
	s_delay_alu instid0(SALU_CYCLE_1) | instskip(NEXT) | instid1(VALU_DEP_1)
	s_or_b32 exec_lo, exec_lo, s10
	v_mul_f32_e32 v3, s40, v3
                                        ; implicit-def: $vgpr61
	s_mov_b32 s10, exec_lo
	s_delay_alu instid0(VALU_DEP_1) | instskip(SKIP_1) | instid1(VALU_DEP_2)
	v_and_b32_e32 v38, 0x7f800000, v3
	v_lshrrev_b32_e32 v2, 24, v3
	v_cmpx_ne_u64_e32 0x7f800000, v[38:39]
	s_xor_b32 s41, exec_lo, s10
	s_cbranch_execz .LBB4_674
; %bb.661:                              ;   in Loop: Header=BB4_128 Depth=2
	v_and_b32_e32 v38, 0x7fffffff, v3
	v_and_b32_e32 v2, 0x80, v2
                                        ; implicit-def: $vgpr61
	s_mov_b32 s10, exec_lo
	s_delay_alu instid0(VALU_DEP_2)
	v_cmpx_gt_u64_e32 0x43e00001, v[38:39]
	s_xor_b32 s42, exec_lo, s10
	s_cbranch_execz .LBB4_671
; %bb.662:                              ;   in Loop: Header=BB4_128 Depth=2
	v_mov_b32_e32 v61, 0
	s_mov_b32 s43, exec_lo
	v_cmpx_ne_u32_e32 0, v3
	s_cbranch_execz .LBB4_670
; %bb.663:                              ;   in Loop: Header=BB4_128 Depth=2
	v_bfe_u32 v103, v3, 23, 8
	v_and_b32_e32 v3, 0x7fffff, v3
	s_delay_alu instid0(VALU_DEP_2) | instskip(SKIP_1) | instid1(VALU_DEP_3)
	v_sub_nc_u32_e32 v14, 0x79, v103
	v_cmp_gt_u32_e32 vcc_lo, 0x7a, v103
	v_or_b32_e32 v16, 0x800000, v3
	s_delay_alu instid0(VALU_DEP_3) | instskip(SKIP_1) | instid1(VALU_DEP_2)
	v_cndmask_b32_e32 v14, 0, v14, vcc_lo
	v_cmp_eq_u32_e32 vcc_lo, 0, v103
	v_cndmask_b32_e64 v113, v14, 0x78, vcc_lo
	s_delay_alu instid0(VALU_DEP_1) | instskip(SKIP_1) | instid1(VALU_DEP_2)
	v_dual_cndmask_b32 v38, v16, v3, vcc_lo :: v_dual_add_nc_u32 v14, 20, v113
	v_add_nc_u32_e32 v17, 19, v113
	v_lshlrev_b64_e64 v[14:15], v14, -1
	s_delay_alu instid0(VALU_DEP_2) | instskip(NEXT) | instid1(VALU_DEP_2)
	v_lshlrev_b64_e64 v[16:17], v17, 1
	v_bfi_b32 v21, v15, 0, 0
	s_delay_alu instid0(VALU_DEP_3) | instskip(SKIP_1) | instid1(VALU_DEP_2)
	v_bfi_b32 v20, v14, 0, v38
	v_lshrrev_b64 v[14:15], v113, v[38:39]
	v_cmp_eq_u64_e64 s10, v[20:21], v[16:17]
	s_delay_alu instid0(VALU_DEP_2)
	v_mov_b64_e32 v[16:17], v[14:15]
	s_and_saveexec_b32 s44, s10
; %bb.664:                              ;   in Loop: Header=BB4_128 Depth=2
	v_bfe_u32 v38, v14, 20, 1
	s_delay_alu instid0(VALU_DEP_1) | instskip(NEXT) | instid1(VALU_DEP_1)
	v_add_nc_u64_e32 v[16:17], v[14:15], v[38:39]
	v_add_nc_u64_e32 v[16:17], -1, v[16:17]
; %bb.665:                              ;   in Loop: Header=BB4_128 Depth=2
	s_or_b32 exec_lo, exec_lo, s44
	v_add_nc_u32_e32 v3, 0xffffff81, v103
	v_lshrrev_b32_e32 v15, 23, v14
	s_mov_b32 s10, exec_lo
	s_delay_alu instid0(VALU_DEP_2) | instskip(NEXT) | instid1(VALU_DEP_1)
	v_cndmask_b32_e64 v3, v3, 0xffffff82, vcc_lo
	v_add3_u32 v17, v113, v3, v15
	v_and_b32_e32 v3, 0xfffff, v16
	s_delay_alu instid0(VALU_DEP_1) | instskip(NEXT) | instid1(VALU_DEP_1)
	v_dual_add_nc_u32 v16, 6, v17 :: v_dual_add_nc_u32 v38, v3, v14
                                        ; implicit-def: $vgpr14_vgpr15
                                        ; implicit-def: $vgpr3
	v_cmpx_ne_u32_e32 0, v16
	s_xor_b32 s10, exec_lo, s10
; %bb.666:                              ;   in Loop: Header=BB4_128 Depth=2
	s_delay_alu instid0(VALU_DEP_2) | instskip(SKIP_2) | instid1(VALU_DEP_2)
	v_cmp_lt_u64_e32 vcc_lo, 0xffffff, v[38:39]
	v_add_nc_u32_e32 v3, 7, v17
	v_cndmask_b32_e64 v14, 0, 1, vcc_lo
	v_cndmask_b32_e32 v3, v16, v3, vcc_lo
	s_delay_alu instid0(VALU_DEP_2)
	v_lshrrev_b64 v[14:15], v14, v[38:39]
; %bb.667:                              ;   in Loop: Header=BB4_128 Depth=2
	s_and_not1_saveexec_b32 s10, s10
; %bb.668:                              ;   in Loop: Header=BB4_128 Depth=2
	v_mov_b64_e32 v[14:15], v[38:39]
	v_bfe_u32 v3, v38, 23, 1
; %bb.669:                              ;   in Loop: Header=BB4_128 Depth=2
	s_or_b32 exec_lo, exec_lo, s10
	s_delay_alu instid0(VALU_DEP_2) | instskip(NEXT) | instid1(VALU_DEP_2)
	v_lshrrev_b64 v[14:15], 20, v[14:15]
	v_cmp_gt_i32_e32 vcc_lo, 16, v3
	v_min_i32_e32 v16, 15, v3
	v_cmp_eq_u32_e64 s10, 0, v3
	s_delay_alu instid0(VALU_DEP_2) | instskip(SKIP_1) | instid1(VALU_DEP_2)
	v_dual_cndmask_b32 v14, 7, v14, vcc_lo :: v_dual_lshlrev_b32 v16, 3, v16
	v_cndmask_b32_e32 v15, 0, v15, vcc_lo
	v_and_b32_e32 v16, 0xf8, v16
	s_delay_alu instid0(VALU_DEP_2) | instskip(NEXT) | instid1(VALU_DEP_2)
	v_cmp_eq_u64_e32 vcc_lo, 0, v[14:15]
	v_and_or_b32 v3, v14, 7, v16
	s_and_b32 s10, s10, vcc_lo
	s_delay_alu instid0(VALU_DEP_1) | instid1(SALU_CYCLE_1)
	v_cndmask_b32_e64 v3, v3, 0, s10
	s_delay_alu instid0(VALU_DEP_1)
	v_or_b32_e32 v61, v3, v2
.LBB4_670:                              ;   in Loop: Header=BB4_128 Depth=2
	s_or_b32 exec_lo, exec_lo, s43
                                        ; implicit-def: $vgpr2
.LBB4_671:                              ;   in Loop: Header=BB4_128 Depth=2
	s_and_not1_saveexec_b32 s10, s42
; %bb.672:                              ;   in Loop: Header=BB4_128 Depth=2
	v_or_b32_e32 v61, 0x7e, v2
; %bb.673:                              ;   in Loop: Header=BB4_128 Depth=2
	s_or_b32 exec_lo, exec_lo, s10
                                        ; implicit-def: $vgpr2
.LBB4_674:                              ;   in Loop: Header=BB4_128 Depth=2
	s_and_not1_saveexec_b32 s10, s41
; %bb.675:                              ;   in Loop: Header=BB4_128 Depth=2
	v_or_b32_e32 v61, 0x7f, v2
; %bb.676:                              ;   in Loop: Header=BB4_128 Depth=2
	s_or_b32 exec_lo, exec_lo, s10
	v_mov_b32_e32 v3, 0
	s_mov_b32 s10, exec_lo
	v_cmpx_lt_u64_e64 s[14:15], v[10:11]
	s_cbranch_execz .LBB4_684
; %bb.677:                              ;   in Loop: Header=BB4_128 Depth=2
	v_lshrrev_b32_e32 v2, 24, v11
	v_bfrev_b32_e32 v3, 1
	s_mov_b32 s41, exec_lo
	s_delay_alu instid0(VALU_DEP_2)
	v_cmpx_ne_u32_e32 0x80, v2
	s_cbranch_execz .LBB4_683
; %bb.678:                              ;   in Loop: Header=BB4_128 Depth=2
	v_bfe_u32 v10, v11, 24, 7
	v_mov_b32_e32 v3, 0x7f800001
	s_mov_b32 s42, exec_lo
	s_delay_alu instid0(VALU_DEP_2)
	v_cmpx_ne_u32_e32 0x7f, v10
	s_cbranch_execz .LBB4_682
; %bb.679:                              ;   in Loop: Header=BB4_128 Depth=2
	v_and_b32_e32 v38, 7, v2
	v_lshrrev_b32_e32 v3, 3, v10
	s_mov_b32 s43, exec_lo
	v_cmpx_gt_u32_e32 8, v10
; %bb.680:                              ;   in Loop: Header=BB4_128 Depth=2
	s_delay_alu instid0(VALU_DEP_3) | instskip(NEXT) | instid1(VALU_DEP_1)
	v_clz_i32_u32_e32 v3, v38
	v_min_u32_e32 v3, 32, v3
	s_delay_alu instid0(VALU_DEP_1) | instskip(NEXT) | instid1(VALU_DEP_1)
	v_subrev_nc_u32_e32 v10, 28, v3
	v_lshlrev_b64_e32 v[10:11], v10, v[38:39]
	s_delay_alu instid0(VALU_DEP_1)
	v_dual_sub_nc_u32 v3, 29, v3 :: v_dual_bitop2_b32 v38, 7, v10 bitop3:0x40
; %bb.681:                              ;   in Loop: Header=BB4_128 Depth=2
	s_or_b32 exec_lo, exec_lo, s43
	v_lshlrev_b32_e32 v2, 24, v2
	s_delay_alu instid0(VALU_DEP_2) | instskip(NEXT) | instid1(VALU_DEP_3)
	v_lshlrev_b32_e32 v10, 20, v38
	v_lshl_add_u32 v3, v3, 23, 0x3c000000
	s_delay_alu instid0(VALU_DEP_3) | instskip(NEXT) | instid1(VALU_DEP_1)
	v_and_b32_e32 v2, 0x80000000, v2
	v_or3_b32 v3, v10, v2, v3
.LBB4_682:                              ;   in Loop: Header=BB4_128 Depth=2
	s_or_b32 exec_lo, exec_lo, s42
.LBB4_683:                              ;   in Loop: Header=BB4_128 Depth=2
	s_delay_alu instid0(SALU_CYCLE_1)
	s_or_b32 exec_lo, exec_lo, s41
.LBB4_684:                              ;   in Loop: Header=BB4_128 Depth=2
	s_delay_alu instid0(SALU_CYCLE_1) | instskip(NEXT) | instid1(VALU_DEP_1)
	s_or_b32 exec_lo, exec_lo, s10
	v_mul_f32_e32 v3, s40, v3
                                        ; implicit-def: $vgpr73
	s_mov_b32 s10, exec_lo
	s_delay_alu instid0(VALU_DEP_1) | instskip(SKIP_1) | instid1(VALU_DEP_2)
	v_and_b32_e32 v38, 0x7f800000, v3
	v_lshrrev_b32_e32 v2, 24, v3
	v_cmpx_ne_u64_e32 0x7f800000, v[38:39]
	s_xor_b32 s41, exec_lo, s10
	s_cbranch_execz .LBB4_698
; %bb.685:                              ;   in Loop: Header=BB4_128 Depth=2
	v_and_b32_e32 v38, 0x7fffffff, v3
	v_and_b32_e32 v2, 0x80, v2
                                        ; implicit-def: $vgpr73
	s_mov_b32 s10, exec_lo
	s_delay_alu instid0(VALU_DEP_2)
	v_cmpx_gt_u64_e32 0x43e00001, v[38:39]
	s_xor_b32 s42, exec_lo, s10
	s_cbranch_execz .LBB4_695
; %bb.686:                              ;   in Loop: Header=BB4_128 Depth=2
	v_mov_b32_e32 v73, 0
	s_mov_b32 s43, exec_lo
	v_cmpx_ne_u32_e32 0, v3
	s_cbranch_execz .LBB4_694
; %bb.687:                              ;   in Loop: Header=BB4_128 Depth=2
	v_bfe_u32 v16, v3, 23, 8
	v_and_b32_e32 v3, 0x7fffff, v3
	s_delay_alu instid0(VALU_DEP_2) | instskip(SKIP_1) | instid1(VALU_DEP_3)
	v_sub_nc_u32_e32 v10, 0x79, v16
	v_cmp_gt_u32_e32 vcc_lo, 0x7a, v16
	v_or_b32_e32 v14, 0x800000, v3
	s_delay_alu instid0(VALU_DEP_3) | instskip(SKIP_1) | instid1(VALU_DEP_2)
	v_cndmask_b32_e32 v10, 0, v10, vcc_lo
	v_cmp_eq_u32_e32 vcc_lo, 0, v16
	v_cndmask_b32_e64 v17, v10, 0x78, vcc_lo
	s_delay_alu instid0(VALU_DEP_1) | instskip(SKIP_1) | instid1(VALU_DEP_2)
	v_dual_cndmask_b32 v38, v14, v3, vcc_lo :: v_dual_add_nc_u32 v10, 20, v17
	v_add_nc_u32_e32 v15, 19, v17
	v_lshlrev_b64_e64 v[10:11], v10, -1
	s_delay_alu instid0(VALU_DEP_2) | instskip(NEXT) | instid1(VALU_DEP_2)
	v_lshlrev_b64_e64 v[14:15], v15, 1
	v_bfi_b32 v21, v11, 0, 0
	s_delay_alu instid0(VALU_DEP_3) | instskip(SKIP_1) | instid1(VALU_DEP_2)
	v_bfi_b32 v20, v10, 0, v38
	v_lshrrev_b64 v[10:11], v17, v[38:39]
	v_cmp_eq_u64_e64 s10, v[20:21], v[14:15]
	s_delay_alu instid0(VALU_DEP_2)
	v_mov_b64_e32 v[14:15], v[10:11]
	s_and_saveexec_b32 s44, s10
; %bb.688:                              ;   in Loop: Header=BB4_128 Depth=2
	v_bfe_u32 v38, v10, 20, 1
	s_delay_alu instid0(VALU_DEP_1) | instskip(NEXT) | instid1(VALU_DEP_1)
	v_add_nc_u64_e32 v[14:15], v[10:11], v[38:39]
	v_add_nc_u64_e32 v[14:15], -1, v[14:15]
; %bb.689:                              ;   in Loop: Header=BB4_128 Depth=2
	s_or_b32 exec_lo, exec_lo, s44
	v_add_nc_u32_e32 v3, 0xffffff81, v16
	v_lshrrev_b32_e32 v11, 23, v10
	s_mov_b32 s10, exec_lo
	s_delay_alu instid0(VALU_DEP_2) | instskip(NEXT) | instid1(VALU_DEP_1)
	v_cndmask_b32_e64 v3, v3, 0xffffff82, vcc_lo
	v_add3_u32 v15, v17, v3, v11
	v_and_b32_e32 v3, 0xfffff, v14
	s_delay_alu instid0(VALU_DEP_1) | instskip(NEXT) | instid1(VALU_DEP_1)
	v_dual_add_nc_u32 v14, 6, v15 :: v_dual_add_nc_u32 v38, v3, v10
                                        ; implicit-def: $vgpr10_vgpr11
                                        ; implicit-def: $vgpr3
	v_cmpx_ne_u32_e32 0, v14
	s_xor_b32 s10, exec_lo, s10
; %bb.690:                              ;   in Loop: Header=BB4_128 Depth=2
	s_delay_alu instid0(VALU_DEP_2) | instskip(SKIP_2) | instid1(VALU_DEP_2)
	v_cmp_lt_u64_e32 vcc_lo, 0xffffff, v[38:39]
	v_add_nc_u32_e32 v3, 7, v15
	v_cndmask_b32_e64 v10, 0, 1, vcc_lo
	v_cndmask_b32_e32 v3, v14, v3, vcc_lo
	s_delay_alu instid0(VALU_DEP_2)
	v_lshrrev_b64 v[10:11], v10, v[38:39]
; %bb.691:                              ;   in Loop: Header=BB4_128 Depth=2
	s_and_not1_saveexec_b32 s10, s10
; %bb.692:                              ;   in Loop: Header=BB4_128 Depth=2
	v_mov_b64_e32 v[10:11], v[38:39]
	v_bfe_u32 v3, v38, 23, 1
; %bb.693:                              ;   in Loop: Header=BB4_128 Depth=2
	s_or_b32 exec_lo, exec_lo, s10
	s_delay_alu instid0(VALU_DEP_2) | instskip(NEXT) | instid1(VALU_DEP_2)
	v_lshrrev_b64 v[10:11], 20, v[10:11]
	v_cmp_gt_i32_e32 vcc_lo, 16, v3
	v_min_i32_e32 v14, 15, v3
	v_cmp_eq_u32_e64 s10, 0, v3
	s_delay_alu instid0(VALU_DEP_4) | instskip(NEXT) | instid1(VALU_DEP_3)
	v_cndmask_b32_e32 v10, 7, v10, vcc_lo
	v_dual_cndmask_b32 v11, 0, v11 :: v_dual_lshlrev_b32 v14, 3, v14
	s_delay_alu instid0(VALU_DEP_1) | instskip(NEXT) | instid1(VALU_DEP_2)
	v_and_b32_e32 v14, 0xf8, v14
	v_cmp_eq_u64_e32 vcc_lo, 0, v[10:11]
	s_delay_alu instid0(VALU_DEP_2)
	v_and_or_b32 v3, v10, 7, v14
	s_and_b32 s10, s10, vcc_lo
	s_delay_alu instid0(VALU_DEP_1) | instid1(SALU_CYCLE_1)
	v_cndmask_b32_e64 v3, v3, 0, s10
	s_delay_alu instid0(VALU_DEP_1)
	v_or_b32_e32 v73, v3, v2
.LBB4_694:                              ;   in Loop: Header=BB4_128 Depth=2
	s_or_b32 exec_lo, exec_lo, s43
                                        ; implicit-def: $vgpr2
.LBB4_695:                              ;   in Loop: Header=BB4_128 Depth=2
	s_and_not1_saveexec_b32 s10, s42
; %bb.696:                              ;   in Loop: Header=BB4_128 Depth=2
	v_or_b32_e32 v73, 0x7e, v2
; %bb.697:                              ;   in Loop: Header=BB4_128 Depth=2
	s_or_b32 exec_lo, exec_lo, s10
                                        ; implicit-def: $vgpr2
.LBB4_698:                              ;   in Loop: Header=BB4_128 Depth=2
	s_and_not1_saveexec_b32 s10, s41
; %bb.699:                              ;   in Loop: Header=BB4_128 Depth=2
	v_or_b32_e32 v73, 0x7f, v2
; %bb.700:                              ;   in Loop: Header=BB4_128 Depth=2
	s_or_b32 exec_lo, exec_lo, s10
	v_and_b32_e32 v3, 0xff, v12
	v_mov_b32_e32 v2, 0
	s_mov_b32 s10, exec_lo
	s_delay_alu instid0(VALU_DEP_2)
	v_cmpx_ne_u16_e32 0, v3
	s_cbranch_execz .LBB4_706
; %bb.701:                              ;   in Loop: Header=BB4_128 Depth=2
	v_bfrev_b32_e32 v2, 1
	s_mov_b32 s41, exec_lo
	v_cmpx_ne_u16_e32 0x80, v3
	s_cbranch_execz .LBB4_705
; %bb.702:                              ;   in Loop: Header=BB4_128 Depth=2
	v_and_b32_e32 v3, 0x7f, v12
	v_mov_b32_e32 v2, 0x7f800001
	s_mov_b32 s42, exec_lo
	s_delay_alu instid0(VALU_DEP_2)
	v_cmpx_ne_u32_e32 0x7f, v3
	s_cbranch_execz .LBB4_704
; %bb.703:                              ;   in Loop: Header=BB4_128 Depth=2
	v_dual_lshrrev_b32 v10, 3, v3 :: v_dual_bitop2_b32 v2, 7, v12 bitop3:0x40
	v_cmp_gt_u32_e32 vcc_lo, 8, v3
	s_delay_alu instid0(VALU_DEP_2) | instskip(NEXT) | instid1(VALU_DEP_1)
	v_clz_i32_u32_e32 v2, v2
	v_min_u32_e32 v2, 32, v2
	s_delay_alu instid0(VALU_DEP_1) | instskip(SKIP_1) | instid1(VALU_DEP_1)
	v_subrev_nc_u32_e32 v11, 28, v2
	v_sub_nc_u32_e32 v2, 29, v2
	v_dual_cndmask_b32 v10, v10, v2, vcc_lo :: v_dual_cndmask_b32 v2, 0, v11, vcc_lo
	s_delay_alu instid0(VALU_DEP_1) | instskip(NEXT) | instid1(VALU_DEP_2)
	v_lshl_add_u32 v10, v10, 23, 0x3c000000
	v_lshlrev_b64_e32 v[2:3], v2, v[12:13]
	v_lshlrev_b32_e32 v3, 24, v12
	s_delay_alu instid0(VALU_DEP_1) | instskip(NEXT) | instid1(VALU_DEP_3)
	v_and_b32_e32 v3, 0x80000000, v3
	v_lshlrev_b32_e32 v2, 20, v2
	s_delay_alu instid0(VALU_DEP_1) | instskip(NEXT) | instid1(VALU_DEP_1)
	v_and_b32_e32 v2, 0x700000, v2
	v_or3_b32 v2, v2, v3, v10
.LBB4_704:                              ;   in Loop: Header=BB4_128 Depth=2
	s_or_b32 exec_lo, exec_lo, s42
.LBB4_705:                              ;   in Loop: Header=BB4_128 Depth=2
	s_delay_alu instid0(SALU_CYCLE_1)
	s_or_b32 exec_lo, exec_lo, s41
.LBB4_706:                              ;   in Loop: Header=BB4_128 Depth=2
	s_delay_alu instid0(SALU_CYCLE_1) | instskip(NEXT) | instid1(VALU_DEP_1)
	s_or_b32 exec_lo, exec_lo, s10
	v_mul_f32_e32 v3, s40, v2
                                        ; implicit-def: $vgpr41
	s_mov_b32 s10, exec_lo
	s_delay_alu instid0(VALU_DEP_1) | instskip(SKIP_1) | instid1(VALU_DEP_2)
	v_and_b32_e32 v38, 0x7f800000, v3
	v_lshrrev_b32_e32 v2, 24, v3
	v_cmpx_ne_u64_e32 0x7f800000, v[38:39]
	s_xor_b32 s41, exec_lo, s10
	s_cbranch_execz .LBB4_720
; %bb.707:                              ;   in Loop: Header=BB4_128 Depth=2
	v_and_b32_e32 v38, 0x7fffffff, v3
	v_and_b32_e32 v2, 0x80, v2
                                        ; implicit-def: $vgpr41
	s_mov_b32 s10, exec_lo
	s_delay_alu instid0(VALU_DEP_2)
	v_cmpx_gt_u64_e32 0x43e00001, v[38:39]
	s_xor_b32 s42, exec_lo, s10
	s_cbranch_execz .LBB4_717
; %bb.708:                              ;   in Loop: Header=BB4_128 Depth=2
	v_mov_b32_e32 v41, 0
	s_mov_b32 s43, exec_lo
	v_cmpx_ne_u32_e32 0, v3
	s_cbranch_execz .LBB4_716
; %bb.709:                              ;   in Loop: Header=BB4_128 Depth=2
	v_bfe_u32 v16, v3, 23, 8
	v_and_b32_e32 v3, 0x7fffff, v3
	s_delay_alu instid0(VALU_DEP_2) | instskip(SKIP_1) | instid1(VALU_DEP_3)
	v_sub_nc_u32_e32 v10, 0x79, v16
	v_cmp_gt_u32_e32 vcc_lo, 0x7a, v16
	v_or_b32_e32 v14, 0x800000, v3
	s_delay_alu instid0(VALU_DEP_3) | instskip(SKIP_1) | instid1(VALU_DEP_2)
	v_cndmask_b32_e32 v10, 0, v10, vcc_lo
	v_cmp_eq_u32_e32 vcc_lo, 0, v16
	v_cndmask_b32_e64 v17, v10, 0x78, vcc_lo
	s_delay_alu instid0(VALU_DEP_1) | instskip(SKIP_1) | instid1(VALU_DEP_2)
	v_dual_cndmask_b32 v38, v14, v3, vcc_lo :: v_dual_add_nc_u32 v10, 20, v17
	v_add_nc_u32_e32 v15, 19, v17
	v_lshlrev_b64_e64 v[10:11], v10, -1
	s_delay_alu instid0(VALU_DEP_2) | instskip(NEXT) | instid1(VALU_DEP_2)
	v_lshlrev_b64_e64 v[14:15], v15, 1
	v_bfi_b32 v21, v11, 0, 0
	s_delay_alu instid0(VALU_DEP_3) | instskip(SKIP_1) | instid1(VALU_DEP_2)
	v_bfi_b32 v20, v10, 0, v38
	v_lshrrev_b64 v[10:11], v17, v[38:39]
	v_cmp_eq_u64_e64 s10, v[20:21], v[14:15]
	s_delay_alu instid0(VALU_DEP_2)
	v_mov_b64_e32 v[14:15], v[10:11]
	s_and_saveexec_b32 s44, s10
; %bb.710:                              ;   in Loop: Header=BB4_128 Depth=2
	v_bfe_u32 v38, v10, 20, 1
	s_delay_alu instid0(VALU_DEP_1) | instskip(NEXT) | instid1(VALU_DEP_1)
	v_add_nc_u64_e32 v[14:15], v[10:11], v[38:39]
	v_add_nc_u64_e32 v[14:15], -1, v[14:15]
; %bb.711:                              ;   in Loop: Header=BB4_128 Depth=2
	s_or_b32 exec_lo, exec_lo, s44
	v_add_nc_u32_e32 v3, 0xffffff81, v16
	v_lshrrev_b32_e32 v11, 23, v10
	s_mov_b32 s10, exec_lo
	s_delay_alu instid0(VALU_DEP_2) | instskip(NEXT) | instid1(VALU_DEP_1)
	v_cndmask_b32_e64 v3, v3, 0xffffff82, vcc_lo
	v_add3_u32 v15, v17, v3, v11
	v_and_b32_e32 v3, 0xfffff, v14
	s_delay_alu instid0(VALU_DEP_1) | instskip(NEXT) | instid1(VALU_DEP_1)
	v_dual_add_nc_u32 v14, 6, v15 :: v_dual_add_nc_u32 v38, v3, v10
                                        ; implicit-def: $vgpr10_vgpr11
                                        ; implicit-def: $vgpr3
	v_cmpx_ne_u32_e32 0, v14
	s_xor_b32 s10, exec_lo, s10
; %bb.712:                              ;   in Loop: Header=BB4_128 Depth=2
	s_delay_alu instid0(VALU_DEP_2) | instskip(SKIP_2) | instid1(VALU_DEP_2)
	v_cmp_lt_u64_e32 vcc_lo, 0xffffff, v[38:39]
	v_add_nc_u32_e32 v3, 7, v15
	v_cndmask_b32_e64 v10, 0, 1, vcc_lo
	v_cndmask_b32_e32 v3, v14, v3, vcc_lo
	s_delay_alu instid0(VALU_DEP_2)
	v_lshrrev_b64 v[10:11], v10, v[38:39]
; %bb.713:                              ;   in Loop: Header=BB4_128 Depth=2
	s_and_not1_saveexec_b32 s10, s10
; %bb.714:                              ;   in Loop: Header=BB4_128 Depth=2
	v_mov_b64_e32 v[10:11], v[38:39]
	v_bfe_u32 v3, v38, 23, 1
; %bb.715:                              ;   in Loop: Header=BB4_128 Depth=2
	s_or_b32 exec_lo, exec_lo, s10
	s_delay_alu instid0(VALU_DEP_2) | instskip(NEXT) | instid1(VALU_DEP_2)
	v_lshrrev_b64 v[10:11], 20, v[10:11]
	v_cmp_gt_i32_e32 vcc_lo, 16, v3
	v_min_i32_e32 v14, 15, v3
	v_cmp_eq_u32_e64 s10, 0, v3
	s_delay_alu instid0(VALU_DEP_4) | instskip(NEXT) | instid1(VALU_DEP_3)
	v_cndmask_b32_e32 v10, 7, v10, vcc_lo
	v_dual_cndmask_b32 v11, 0, v11 :: v_dual_lshlrev_b32 v14, 3, v14
	s_delay_alu instid0(VALU_DEP_1) | instskip(NEXT) | instid1(VALU_DEP_2)
	v_and_b32_e32 v14, 0xf8, v14
	v_cmp_eq_u64_e32 vcc_lo, 0, v[10:11]
	s_delay_alu instid0(VALU_DEP_2)
	v_and_or_b32 v3, v10, 7, v14
	s_and_b32 s10, s10, vcc_lo
	s_delay_alu instid0(VALU_DEP_1) | instid1(SALU_CYCLE_1)
	v_cndmask_b32_e64 v3, v3, 0, s10
	s_delay_alu instid0(VALU_DEP_1)
	v_or_b32_e32 v41, v3, v2
.LBB4_716:                              ;   in Loop: Header=BB4_128 Depth=2
	s_or_b32 exec_lo, exec_lo, s43
                                        ; implicit-def: $vgpr2
.LBB4_717:                              ;   in Loop: Header=BB4_128 Depth=2
	s_and_not1_saveexec_b32 s10, s42
; %bb.718:                              ;   in Loop: Header=BB4_128 Depth=2
	v_or_b32_e32 v41, 0x7e, v2
; %bb.719:                              ;   in Loop: Header=BB4_128 Depth=2
	s_or_b32 exec_lo, exec_lo, s10
                                        ; implicit-def: $vgpr2
.LBB4_720:                              ;   in Loop: Header=BB4_128 Depth=2
	s_and_not1_saveexec_b32 s10, s41
; %bb.721:                              ;   in Loop: Header=BB4_128 Depth=2
	v_or_b32_e32 v41, 0x7f, v2
; %bb.722:                              ;   in Loop: Header=BB4_128 Depth=2
	s_or_b32 exec_lo, exec_lo, s10
	v_lshrrev_b16 v3, 8, v12
	v_mov_b32_e32 v2, 0
	s_mov_b32 s10, exec_lo
	s_delay_alu instid0(VALU_DEP_2)
	v_cmpx_ne_u16_e32 0, v3
	s_cbranch_execz .LBB4_730
; %bb.723:                              ;   in Loop: Header=BB4_128 Depth=2
	v_bfrev_b32_e32 v2, 1
	s_mov_b32 s41, exec_lo
	v_cmpx_ne_u16_e32 0x80, v3
	s_cbranch_execz .LBB4_729
; %bb.724:                              ;   in Loop: Header=BB4_128 Depth=2
	v_and_b32_e32 v10, 0xffff, v3
	v_mov_b32_e32 v2, 0x7f800001
	s_mov_b32 s42, exec_lo
	s_delay_alu instid0(VALU_DEP_2) | instskip(NEXT) | instid1(VALU_DEP_1)
	v_and_b32_e32 v3, 0x7f, v10
	v_cmpx_ne_u32_e32 0x7f, v3
	s_cbranch_execz .LBB4_728
; %bb.725:                              ;   in Loop: Header=BB4_128 Depth=2
	v_dual_lshrrev_b32 v2, 3, v3 :: v_dual_bitop2_b32 v38, 7, v10 bitop3:0x40
	s_mov_b32 s43, exec_lo
	v_cmpx_gt_u32_e32 8, v3
; %bb.726:                              ;   in Loop: Header=BB4_128 Depth=2
	s_delay_alu instid0(VALU_DEP_2) | instskip(NEXT) | instid1(VALU_DEP_1)
	v_clz_i32_u32_e32 v2, v38
	v_min_u32_e32 v2, 32, v2
	s_delay_alu instid0(VALU_DEP_1) | instskip(SKIP_1) | instid1(VALU_DEP_2)
	v_subrev_nc_u32_e32 v3, 28, v2
	v_sub_nc_u32_e32 v2, 29, v2
	v_lshlrev_b64_e32 v[10:11], v3, v[38:39]
	s_delay_alu instid0(VALU_DEP_1)
	v_and_b32_e32 v38, 7, v10
; %bb.727:                              ;   in Loop: Header=BB4_128 Depth=2
	s_or_b32 exec_lo, exec_lo, s43
	s_delay_alu instid0(VALU_DEP_1) | instskip(SKIP_1) | instid1(VALU_DEP_2)
	v_dual_lshlrev_b32 v3, 16, v12 :: v_dual_lshlrev_b32 v10, 20, v38
	v_lshl_add_u32 v2, v2, 23, 0x3c000000
	v_and_b32_e32 v3, 0x80000000, v3
	s_delay_alu instid0(VALU_DEP_1)
	v_or3_b32 v2, v10, v3, v2
.LBB4_728:                              ;   in Loop: Header=BB4_128 Depth=2
	s_or_b32 exec_lo, exec_lo, s42
.LBB4_729:                              ;   in Loop: Header=BB4_128 Depth=2
	s_delay_alu instid0(SALU_CYCLE_1)
	s_or_b32 exec_lo, exec_lo, s41
.LBB4_730:                              ;   in Loop: Header=BB4_128 Depth=2
	s_delay_alu instid0(SALU_CYCLE_1) | instskip(NEXT) | instid1(VALU_DEP_1)
	s_or_b32 exec_lo, exec_lo, s10
	v_mul_f32_e32 v3, s40, v2
                                        ; implicit-def: $vgpr46
	s_mov_b32 s10, exec_lo
	s_delay_alu instid0(VALU_DEP_1) | instskip(SKIP_1) | instid1(VALU_DEP_2)
	v_and_b32_e32 v38, 0x7f800000, v3
	v_lshrrev_b32_e32 v2, 24, v3
	v_cmpx_ne_u64_e32 0x7f800000, v[38:39]
	s_xor_b32 s41, exec_lo, s10
	s_cbranch_execz .LBB4_744
; %bb.731:                              ;   in Loop: Header=BB4_128 Depth=2
	v_and_b32_e32 v38, 0x7fffffff, v3
	v_and_b32_e32 v2, 0x80, v2
                                        ; implicit-def: $vgpr46
	s_mov_b32 s10, exec_lo
	s_delay_alu instid0(VALU_DEP_2)
	v_cmpx_gt_u64_e32 0x43e00001, v[38:39]
	s_xor_b32 s42, exec_lo, s10
	s_cbranch_execz .LBB4_741
; %bb.732:                              ;   in Loop: Header=BB4_128 Depth=2
	v_mov_b32_e32 v46, 0
	s_mov_b32 s43, exec_lo
	v_cmpx_ne_u32_e32 0, v3
	s_cbranch_execz .LBB4_740
; %bb.733:                              ;   in Loop: Header=BB4_128 Depth=2
	v_bfe_u32 v16, v3, 23, 8
	v_and_b32_e32 v3, 0x7fffff, v3
	s_delay_alu instid0(VALU_DEP_2) | instskip(SKIP_1) | instid1(VALU_DEP_3)
	v_sub_nc_u32_e32 v10, 0x79, v16
	v_cmp_gt_u32_e32 vcc_lo, 0x7a, v16
	v_or_b32_e32 v14, 0x800000, v3
	s_delay_alu instid0(VALU_DEP_3) | instskip(SKIP_1) | instid1(VALU_DEP_2)
	v_cndmask_b32_e32 v10, 0, v10, vcc_lo
	v_cmp_eq_u32_e32 vcc_lo, 0, v16
	v_cndmask_b32_e64 v17, v10, 0x78, vcc_lo
	s_delay_alu instid0(VALU_DEP_1) | instskip(SKIP_1) | instid1(VALU_DEP_2)
	v_dual_cndmask_b32 v38, v14, v3, vcc_lo :: v_dual_add_nc_u32 v10, 20, v17
	v_add_nc_u32_e32 v15, 19, v17
	v_lshlrev_b64_e64 v[10:11], v10, -1
	s_delay_alu instid0(VALU_DEP_2) | instskip(NEXT) | instid1(VALU_DEP_2)
	v_lshlrev_b64_e64 v[14:15], v15, 1
	v_bfi_b32 v21, v11, 0, 0
	s_delay_alu instid0(VALU_DEP_3) | instskip(SKIP_1) | instid1(VALU_DEP_2)
	v_bfi_b32 v20, v10, 0, v38
	v_lshrrev_b64 v[10:11], v17, v[38:39]
	v_cmp_eq_u64_e64 s10, v[20:21], v[14:15]
	s_delay_alu instid0(VALU_DEP_2)
	v_mov_b64_e32 v[14:15], v[10:11]
	s_and_saveexec_b32 s44, s10
; %bb.734:                              ;   in Loop: Header=BB4_128 Depth=2
	v_bfe_u32 v38, v10, 20, 1
	s_delay_alu instid0(VALU_DEP_1) | instskip(NEXT) | instid1(VALU_DEP_1)
	v_add_nc_u64_e32 v[14:15], v[10:11], v[38:39]
	v_add_nc_u64_e32 v[14:15], -1, v[14:15]
; %bb.735:                              ;   in Loop: Header=BB4_128 Depth=2
	s_or_b32 exec_lo, exec_lo, s44
	v_add_nc_u32_e32 v3, 0xffffff81, v16
	v_lshrrev_b32_e32 v11, 23, v10
	s_mov_b32 s10, exec_lo
	s_delay_alu instid0(VALU_DEP_2) | instskip(NEXT) | instid1(VALU_DEP_1)
	v_cndmask_b32_e64 v3, v3, 0xffffff82, vcc_lo
	v_add3_u32 v15, v17, v3, v11
	v_and_b32_e32 v3, 0xfffff, v14
	s_delay_alu instid0(VALU_DEP_1) | instskip(NEXT) | instid1(VALU_DEP_1)
	v_dual_add_nc_u32 v14, 6, v15 :: v_dual_add_nc_u32 v38, v3, v10
                                        ; implicit-def: $vgpr10_vgpr11
                                        ; implicit-def: $vgpr3
	v_cmpx_ne_u32_e32 0, v14
	s_xor_b32 s10, exec_lo, s10
; %bb.736:                              ;   in Loop: Header=BB4_128 Depth=2
	s_delay_alu instid0(VALU_DEP_2) | instskip(SKIP_2) | instid1(VALU_DEP_2)
	v_cmp_lt_u64_e32 vcc_lo, 0xffffff, v[38:39]
	v_add_nc_u32_e32 v3, 7, v15
	v_cndmask_b32_e64 v10, 0, 1, vcc_lo
	v_cndmask_b32_e32 v3, v14, v3, vcc_lo
	s_delay_alu instid0(VALU_DEP_2)
	v_lshrrev_b64 v[10:11], v10, v[38:39]
; %bb.737:                              ;   in Loop: Header=BB4_128 Depth=2
	s_and_not1_saveexec_b32 s10, s10
; %bb.738:                              ;   in Loop: Header=BB4_128 Depth=2
	v_mov_b64_e32 v[10:11], v[38:39]
	v_bfe_u32 v3, v38, 23, 1
; %bb.739:                              ;   in Loop: Header=BB4_128 Depth=2
	s_or_b32 exec_lo, exec_lo, s10
	s_delay_alu instid0(VALU_DEP_2) | instskip(NEXT) | instid1(VALU_DEP_2)
	v_lshrrev_b64 v[10:11], 20, v[10:11]
	v_cmp_gt_i32_e32 vcc_lo, 16, v3
	v_min_i32_e32 v14, 15, v3
	v_cmp_eq_u32_e64 s10, 0, v3
	s_delay_alu instid0(VALU_DEP_4) | instskip(NEXT) | instid1(VALU_DEP_3)
	v_cndmask_b32_e32 v10, 7, v10, vcc_lo
	v_dual_cndmask_b32 v11, 0, v11 :: v_dual_lshlrev_b32 v14, 3, v14
	s_delay_alu instid0(VALU_DEP_1) | instskip(NEXT) | instid1(VALU_DEP_2)
	v_and_b32_e32 v14, 0xf8, v14
	v_cmp_eq_u64_e32 vcc_lo, 0, v[10:11]
	s_delay_alu instid0(VALU_DEP_2)
	v_and_or_b32 v3, v10, 7, v14
	s_and_b32 s10, s10, vcc_lo
	s_delay_alu instid0(VALU_DEP_1) | instid1(SALU_CYCLE_1)
	v_cndmask_b32_e64 v3, v3, 0, s10
	s_delay_alu instid0(VALU_DEP_1)
	v_or_b32_e32 v46, v3, v2
.LBB4_740:                              ;   in Loop: Header=BB4_128 Depth=2
	s_or_b32 exec_lo, exec_lo, s43
                                        ; implicit-def: $vgpr2
.LBB4_741:                              ;   in Loop: Header=BB4_128 Depth=2
	s_and_not1_saveexec_b32 s10, s42
; %bb.742:                              ;   in Loop: Header=BB4_128 Depth=2
	v_or_b32_e32 v46, 0x7e, v2
; %bb.743:                              ;   in Loop: Header=BB4_128 Depth=2
	s_or_b32 exec_lo, exec_lo, s10
                                        ; implicit-def: $vgpr2
.LBB4_744:                              ;   in Loop: Header=BB4_128 Depth=2
	s_and_not1_saveexec_b32 s10, s41
; %bb.745:                              ;   in Loop: Header=BB4_128 Depth=2
	v_or_b32_e32 v46, 0x7f, v2
; %bb.746:                              ;   in Loop: Header=BB4_128 Depth=2
	s_or_b32 exec_lo, exec_lo, s10
	v_dual_mov_b32 v3, 0 :: v_dual_lshrrev_b32 v2, 16, v12
	s_mov_b32 s10, exec_lo
	s_delay_alu instid0(VALU_DEP_1) | instskip(NEXT) | instid1(VALU_DEP_1)
	v_and_b32_e32 v10, 0xff, v2
	v_cmpx_ne_u16_e32 0, v10
	s_cbranch_execz .LBB4_754
; %bb.747:                              ;   in Loop: Header=BB4_128 Depth=2
	v_bfrev_b32_e32 v3, 1
	s_mov_b32 s41, exec_lo
	v_cmpx_ne_u16_e32 0x80, v10
	s_cbranch_execz .LBB4_753
; %bb.748:                              ;   in Loop: Header=BB4_128 Depth=2
	v_bfe_u32 v10, v12, 16, 7
	v_mov_b32_e32 v3, 0x7f800001
	s_mov_b32 s42, exec_lo
	s_delay_alu instid0(VALU_DEP_2)
	v_cmpx_ne_u32_e32 0x7f, v10
	s_cbranch_execz .LBB4_752
; %bb.749:                              ;   in Loop: Header=BB4_128 Depth=2
	v_and_b32_e32 v38, 7, v2
	v_lshrrev_b32_e32 v3, 3, v10
	s_mov_b32 s43, exec_lo
	v_cmpx_gt_u32_e32 8, v10
; %bb.750:                              ;   in Loop: Header=BB4_128 Depth=2
	s_delay_alu instid0(VALU_DEP_3) | instskip(NEXT) | instid1(VALU_DEP_1)
	v_clz_i32_u32_e32 v3, v38
	v_min_u32_e32 v3, 32, v3
	s_delay_alu instid0(VALU_DEP_1) | instskip(NEXT) | instid1(VALU_DEP_1)
	v_subrev_nc_u32_e32 v10, 28, v3
	v_lshlrev_b64_e32 v[10:11], v10, v[38:39]
	s_delay_alu instid0(VALU_DEP_1)
	v_dual_sub_nc_u32 v3, 29, v3 :: v_dual_bitop2_b32 v38, 7, v10 bitop3:0x40
; %bb.751:                              ;   in Loop: Header=BB4_128 Depth=2
	s_or_b32 exec_lo, exec_lo, s43
	v_lshlrev_b32_e32 v2, 24, v2
	s_delay_alu instid0(VALU_DEP_2) | instskip(NEXT) | instid1(VALU_DEP_3)
	v_lshlrev_b32_e32 v10, 20, v38
	v_lshl_add_u32 v3, v3, 23, 0x3c000000
	s_delay_alu instid0(VALU_DEP_3) | instskip(NEXT) | instid1(VALU_DEP_1)
	v_and_b32_e32 v2, 0x80000000, v2
	v_or3_b32 v3, v10, v2, v3
.LBB4_752:                              ;   in Loop: Header=BB4_128 Depth=2
	s_or_b32 exec_lo, exec_lo, s42
.LBB4_753:                              ;   in Loop: Header=BB4_128 Depth=2
	s_delay_alu instid0(SALU_CYCLE_1)
	s_or_b32 exec_lo, exec_lo, s41
.LBB4_754:                              ;   in Loop: Header=BB4_128 Depth=2
	s_delay_alu instid0(SALU_CYCLE_1) | instskip(NEXT) | instid1(VALU_DEP_1)
	s_or_b32 exec_lo, exec_lo, s10
	v_mul_f32_e32 v3, s40, v3
                                        ; implicit-def: $vgpr57
	s_mov_b32 s10, exec_lo
	s_delay_alu instid0(VALU_DEP_1) | instskip(SKIP_1) | instid1(VALU_DEP_2)
	v_and_b32_e32 v38, 0x7f800000, v3
	v_lshrrev_b32_e32 v2, 24, v3
	v_cmpx_ne_u64_e32 0x7f800000, v[38:39]
	s_xor_b32 s41, exec_lo, s10
	s_cbranch_execz .LBB4_768
; %bb.755:                              ;   in Loop: Header=BB4_128 Depth=2
	v_and_b32_e32 v38, 0x7fffffff, v3
	v_and_b32_e32 v2, 0x80, v2
                                        ; implicit-def: $vgpr57
	s_mov_b32 s10, exec_lo
	s_delay_alu instid0(VALU_DEP_2)
	v_cmpx_gt_u64_e32 0x43e00001, v[38:39]
	s_xor_b32 s42, exec_lo, s10
	s_cbranch_execz .LBB4_765
; %bb.756:                              ;   in Loop: Header=BB4_128 Depth=2
	v_mov_b32_e32 v57, 0
	s_mov_b32 s43, exec_lo
	v_cmpx_ne_u32_e32 0, v3
	s_cbranch_execz .LBB4_764
; %bb.757:                              ;   in Loop: Header=BB4_128 Depth=2
	v_bfe_u32 v16, v3, 23, 8
	v_and_b32_e32 v3, 0x7fffff, v3
	s_delay_alu instid0(VALU_DEP_2) | instskip(SKIP_1) | instid1(VALU_DEP_3)
	v_sub_nc_u32_e32 v10, 0x79, v16
	v_cmp_gt_u32_e32 vcc_lo, 0x7a, v16
	v_or_b32_e32 v14, 0x800000, v3
	s_delay_alu instid0(VALU_DEP_3) | instskip(SKIP_1) | instid1(VALU_DEP_2)
	v_cndmask_b32_e32 v10, 0, v10, vcc_lo
	v_cmp_eq_u32_e32 vcc_lo, 0, v16
	v_cndmask_b32_e64 v17, v10, 0x78, vcc_lo
	s_delay_alu instid0(VALU_DEP_1) | instskip(SKIP_1) | instid1(VALU_DEP_2)
	v_dual_cndmask_b32 v38, v14, v3, vcc_lo :: v_dual_add_nc_u32 v10, 20, v17
	v_add_nc_u32_e32 v15, 19, v17
	v_lshlrev_b64_e64 v[10:11], v10, -1
	s_delay_alu instid0(VALU_DEP_2) | instskip(NEXT) | instid1(VALU_DEP_2)
	v_lshlrev_b64_e64 v[14:15], v15, 1
	v_bfi_b32 v21, v11, 0, 0
	s_delay_alu instid0(VALU_DEP_3) | instskip(SKIP_1) | instid1(VALU_DEP_2)
	v_bfi_b32 v20, v10, 0, v38
	v_lshrrev_b64 v[10:11], v17, v[38:39]
	v_cmp_eq_u64_e64 s10, v[20:21], v[14:15]
	s_delay_alu instid0(VALU_DEP_2)
	v_mov_b64_e32 v[14:15], v[10:11]
	s_and_saveexec_b32 s44, s10
; %bb.758:                              ;   in Loop: Header=BB4_128 Depth=2
	v_bfe_u32 v38, v10, 20, 1
	s_delay_alu instid0(VALU_DEP_1) | instskip(NEXT) | instid1(VALU_DEP_1)
	v_add_nc_u64_e32 v[14:15], v[10:11], v[38:39]
	v_add_nc_u64_e32 v[14:15], -1, v[14:15]
; %bb.759:                              ;   in Loop: Header=BB4_128 Depth=2
	s_or_b32 exec_lo, exec_lo, s44
	v_add_nc_u32_e32 v3, 0xffffff81, v16
	v_lshrrev_b32_e32 v11, 23, v10
	s_mov_b32 s10, exec_lo
	s_delay_alu instid0(VALU_DEP_2) | instskip(NEXT) | instid1(VALU_DEP_1)
	v_cndmask_b32_e64 v3, v3, 0xffffff82, vcc_lo
	v_add3_u32 v15, v17, v3, v11
	v_and_b32_e32 v3, 0xfffff, v14
	s_delay_alu instid0(VALU_DEP_1) | instskip(NEXT) | instid1(VALU_DEP_1)
	v_dual_add_nc_u32 v14, 6, v15 :: v_dual_add_nc_u32 v38, v3, v10
                                        ; implicit-def: $vgpr10_vgpr11
                                        ; implicit-def: $vgpr3
	v_cmpx_ne_u32_e32 0, v14
	s_xor_b32 s10, exec_lo, s10
; %bb.760:                              ;   in Loop: Header=BB4_128 Depth=2
	s_delay_alu instid0(VALU_DEP_2) | instskip(SKIP_2) | instid1(VALU_DEP_2)
	v_cmp_lt_u64_e32 vcc_lo, 0xffffff, v[38:39]
	v_add_nc_u32_e32 v3, 7, v15
	v_cndmask_b32_e64 v10, 0, 1, vcc_lo
	v_cndmask_b32_e32 v3, v14, v3, vcc_lo
	s_delay_alu instid0(VALU_DEP_2)
	v_lshrrev_b64 v[10:11], v10, v[38:39]
; %bb.761:                              ;   in Loop: Header=BB4_128 Depth=2
	s_and_not1_saveexec_b32 s10, s10
; %bb.762:                              ;   in Loop: Header=BB4_128 Depth=2
	v_mov_b64_e32 v[10:11], v[38:39]
	v_bfe_u32 v3, v38, 23, 1
; %bb.763:                              ;   in Loop: Header=BB4_128 Depth=2
	s_or_b32 exec_lo, exec_lo, s10
	s_delay_alu instid0(VALU_DEP_2) | instskip(NEXT) | instid1(VALU_DEP_2)
	v_lshrrev_b64 v[10:11], 20, v[10:11]
	v_cmp_gt_i32_e32 vcc_lo, 16, v3
	v_min_i32_e32 v14, 15, v3
	v_cmp_eq_u32_e64 s10, 0, v3
	s_delay_alu instid0(VALU_DEP_4) | instskip(NEXT) | instid1(VALU_DEP_3)
	v_cndmask_b32_e32 v10, 7, v10, vcc_lo
	v_dual_cndmask_b32 v11, 0, v11 :: v_dual_lshlrev_b32 v14, 3, v14
	s_delay_alu instid0(VALU_DEP_1) | instskip(NEXT) | instid1(VALU_DEP_2)
	v_and_b32_e32 v14, 0xf8, v14
	v_cmp_eq_u64_e32 vcc_lo, 0, v[10:11]
	s_delay_alu instid0(VALU_DEP_2)
	v_and_or_b32 v3, v10, 7, v14
	s_and_b32 s10, s10, vcc_lo
	s_delay_alu instid0(VALU_DEP_1) | instid1(SALU_CYCLE_1)
	v_cndmask_b32_e64 v3, v3, 0, s10
	s_delay_alu instid0(VALU_DEP_1)
	v_or_b32_e32 v57, v3, v2
.LBB4_764:                              ;   in Loop: Header=BB4_128 Depth=2
	s_or_b32 exec_lo, exec_lo, s43
                                        ; implicit-def: $vgpr2
.LBB4_765:                              ;   in Loop: Header=BB4_128 Depth=2
	s_and_not1_saveexec_b32 s10, s42
; %bb.766:                              ;   in Loop: Header=BB4_128 Depth=2
	v_or_b32_e32 v57, 0x7e, v2
; %bb.767:                              ;   in Loop: Header=BB4_128 Depth=2
	s_or_b32 exec_lo, exec_lo, s10
                                        ; implicit-def: $vgpr2
.LBB4_768:                              ;   in Loop: Header=BB4_128 Depth=2
	s_and_not1_saveexec_b32 s10, s41
; %bb.769:                              ;   in Loop: Header=BB4_128 Depth=2
	v_or_b32_e32 v57, 0x7f, v2
; %bb.770:                              ;   in Loop: Header=BB4_128 Depth=2
	s_or_b32 exec_lo, exec_lo, s10
	v_mov_b32_e32 v3, 0
	s_mov_b32 s10, exec_lo
	v_cmpx_lt_u32_e32 0xffffff, v12
	s_cbranch_execz .LBB4_778
; %bb.771:                              ;   in Loop: Header=BB4_128 Depth=2
	v_lshrrev_b32_e32 v2, 24, v12
	v_bfrev_b32_e32 v3, 1
	s_mov_b32 s41, exec_lo
	s_delay_alu instid0(VALU_DEP_2)
	v_cmpx_ne_u32_e32 0x80, v2
	s_cbranch_execz .LBB4_777
; %bb.772:                              ;   in Loop: Header=BB4_128 Depth=2
	v_bfe_u32 v10, v12, 24, 7
	v_mov_b32_e32 v3, 0x7f800001
	s_mov_b32 s42, exec_lo
	s_delay_alu instid0(VALU_DEP_2)
	v_cmpx_ne_u32_e32 0x7f, v10
	s_cbranch_execz .LBB4_776
; %bb.773:                              ;   in Loop: Header=BB4_128 Depth=2
	v_and_b32_e32 v38, 7, v2
	v_lshrrev_b32_e32 v3, 3, v10
	s_mov_b32 s43, exec_lo
	v_cmpx_gt_u32_e32 8, v10
; %bb.774:                              ;   in Loop: Header=BB4_128 Depth=2
	s_delay_alu instid0(VALU_DEP_3) | instskip(NEXT) | instid1(VALU_DEP_1)
	v_clz_i32_u32_e32 v3, v38
	v_min_u32_e32 v3, 32, v3
	s_delay_alu instid0(VALU_DEP_1) | instskip(NEXT) | instid1(VALU_DEP_1)
	v_subrev_nc_u32_e32 v10, 28, v3
	v_lshlrev_b64_e32 v[10:11], v10, v[38:39]
	s_delay_alu instid0(VALU_DEP_1)
	v_dual_sub_nc_u32 v3, 29, v3 :: v_dual_bitop2_b32 v38, 7, v10 bitop3:0x40
; %bb.775:                              ;   in Loop: Header=BB4_128 Depth=2
	s_or_b32 exec_lo, exec_lo, s43
	v_lshlrev_b32_e32 v2, 24, v2
	s_delay_alu instid0(VALU_DEP_2) | instskip(NEXT) | instid1(VALU_DEP_3)
	v_lshlrev_b32_e32 v10, 20, v38
	v_lshl_add_u32 v3, v3, 23, 0x3c000000
	s_delay_alu instid0(VALU_DEP_3) | instskip(NEXT) | instid1(VALU_DEP_1)
	v_and_b32_e32 v2, 0x80000000, v2
	v_or3_b32 v3, v10, v2, v3
.LBB4_776:                              ;   in Loop: Header=BB4_128 Depth=2
	s_or_b32 exec_lo, exec_lo, s42
.LBB4_777:                              ;   in Loop: Header=BB4_128 Depth=2
	s_delay_alu instid0(SALU_CYCLE_1)
	s_or_b32 exec_lo, exec_lo, s41
.LBB4_778:                              ;   in Loop: Header=BB4_128 Depth=2
	s_delay_alu instid0(SALU_CYCLE_1) | instskip(NEXT) | instid1(VALU_DEP_1)
	s_or_b32 exec_lo, exec_lo, s10
	v_mul_f32_e32 v3, s40, v3
                                        ; implicit-def: $vgpr60
	s_mov_b32 s10, exec_lo
	s_delay_alu instid0(VALU_DEP_1) | instskip(SKIP_1) | instid1(VALU_DEP_2)
	v_and_b32_e32 v38, 0x7f800000, v3
	v_lshrrev_b32_e32 v2, 24, v3
	v_cmpx_ne_u64_e32 0x7f800000, v[38:39]
	s_xor_b32 s41, exec_lo, s10
	s_cbranch_execz .LBB4_792
; %bb.779:                              ;   in Loop: Header=BB4_128 Depth=2
	v_and_b32_e32 v38, 0x7fffffff, v3
	v_and_b32_e32 v2, 0x80, v2
                                        ; implicit-def: $vgpr60
	s_mov_b32 s10, exec_lo
	s_delay_alu instid0(VALU_DEP_2)
	v_cmpx_gt_u64_e32 0x43e00001, v[38:39]
	s_xor_b32 s42, exec_lo, s10
	s_cbranch_execz .LBB4_789
; %bb.780:                              ;   in Loop: Header=BB4_128 Depth=2
	v_mov_b32_e32 v60, 0
	s_mov_b32 s43, exec_lo
	v_cmpx_ne_u32_e32 0, v3
	s_cbranch_execz .LBB4_788
; %bb.781:                              ;   in Loop: Header=BB4_128 Depth=2
	v_bfe_u32 v16, v3, 23, 8
	v_and_b32_e32 v3, 0x7fffff, v3
	s_delay_alu instid0(VALU_DEP_2) | instskip(SKIP_1) | instid1(VALU_DEP_3)
	v_sub_nc_u32_e32 v10, 0x79, v16
	v_cmp_gt_u32_e32 vcc_lo, 0x7a, v16
	v_or_b32_e32 v14, 0x800000, v3
	s_delay_alu instid0(VALU_DEP_3) | instskip(SKIP_1) | instid1(VALU_DEP_2)
	v_cndmask_b32_e32 v10, 0, v10, vcc_lo
	v_cmp_eq_u32_e32 vcc_lo, 0, v16
	v_cndmask_b32_e64 v17, v10, 0x78, vcc_lo
	s_delay_alu instid0(VALU_DEP_1) | instskip(SKIP_1) | instid1(VALU_DEP_2)
	v_dual_cndmask_b32 v38, v14, v3, vcc_lo :: v_dual_add_nc_u32 v10, 20, v17
	v_add_nc_u32_e32 v15, 19, v17
	v_lshlrev_b64_e64 v[10:11], v10, -1
	s_delay_alu instid0(VALU_DEP_2) | instskip(NEXT) | instid1(VALU_DEP_2)
	v_lshlrev_b64_e64 v[14:15], v15, 1
	v_bfi_b32 v21, v11, 0, 0
	s_delay_alu instid0(VALU_DEP_3) | instskip(SKIP_1) | instid1(VALU_DEP_2)
	v_bfi_b32 v20, v10, 0, v38
	v_lshrrev_b64 v[10:11], v17, v[38:39]
	v_cmp_eq_u64_e64 s10, v[20:21], v[14:15]
	s_delay_alu instid0(VALU_DEP_2)
	v_mov_b64_e32 v[14:15], v[10:11]
	s_and_saveexec_b32 s44, s10
; %bb.782:                              ;   in Loop: Header=BB4_128 Depth=2
	v_bfe_u32 v38, v10, 20, 1
	s_delay_alu instid0(VALU_DEP_1) | instskip(NEXT) | instid1(VALU_DEP_1)
	v_add_nc_u64_e32 v[14:15], v[10:11], v[38:39]
	v_add_nc_u64_e32 v[14:15], -1, v[14:15]
; %bb.783:                              ;   in Loop: Header=BB4_128 Depth=2
	s_or_b32 exec_lo, exec_lo, s44
	v_add_nc_u32_e32 v3, 0xffffff81, v16
	v_lshrrev_b32_e32 v11, 23, v10
	s_mov_b32 s10, exec_lo
	s_delay_alu instid0(VALU_DEP_2) | instskip(NEXT) | instid1(VALU_DEP_1)
	v_cndmask_b32_e64 v3, v3, 0xffffff82, vcc_lo
	v_add3_u32 v15, v17, v3, v11
	v_and_b32_e32 v3, 0xfffff, v14
	s_delay_alu instid0(VALU_DEP_1) | instskip(NEXT) | instid1(VALU_DEP_1)
	v_dual_add_nc_u32 v14, 6, v15 :: v_dual_add_nc_u32 v38, v3, v10
                                        ; implicit-def: $vgpr10_vgpr11
                                        ; implicit-def: $vgpr3
	v_cmpx_ne_u32_e32 0, v14
	s_xor_b32 s10, exec_lo, s10
; %bb.784:                              ;   in Loop: Header=BB4_128 Depth=2
	s_delay_alu instid0(VALU_DEP_2) | instskip(SKIP_2) | instid1(VALU_DEP_2)
	v_cmp_lt_u64_e32 vcc_lo, 0xffffff, v[38:39]
	v_add_nc_u32_e32 v3, 7, v15
	v_cndmask_b32_e64 v10, 0, 1, vcc_lo
	v_cndmask_b32_e32 v3, v14, v3, vcc_lo
	s_delay_alu instid0(VALU_DEP_2)
	v_lshrrev_b64 v[10:11], v10, v[38:39]
; %bb.785:                              ;   in Loop: Header=BB4_128 Depth=2
	s_and_not1_saveexec_b32 s10, s10
; %bb.786:                              ;   in Loop: Header=BB4_128 Depth=2
	v_mov_b64_e32 v[10:11], v[38:39]
	v_bfe_u32 v3, v38, 23, 1
; %bb.787:                              ;   in Loop: Header=BB4_128 Depth=2
	s_or_b32 exec_lo, exec_lo, s10
	s_delay_alu instid0(VALU_DEP_2) | instskip(NEXT) | instid1(VALU_DEP_2)
	v_lshrrev_b64 v[10:11], 20, v[10:11]
	v_cmp_gt_i32_e32 vcc_lo, 16, v3
	v_min_i32_e32 v14, 15, v3
	v_cmp_eq_u32_e64 s10, 0, v3
	s_delay_alu instid0(VALU_DEP_4) | instskip(NEXT) | instid1(VALU_DEP_3)
	v_cndmask_b32_e32 v10, 7, v10, vcc_lo
	v_dual_cndmask_b32 v11, 0, v11 :: v_dual_lshlrev_b32 v14, 3, v14
	s_delay_alu instid0(VALU_DEP_1) | instskip(NEXT) | instid1(VALU_DEP_2)
	v_and_b32_e32 v14, 0xf8, v14
	v_cmp_eq_u64_e32 vcc_lo, 0, v[10:11]
	s_delay_alu instid0(VALU_DEP_2)
	v_and_or_b32 v3, v10, 7, v14
	s_and_b32 s10, s10, vcc_lo
	s_delay_alu instid0(VALU_DEP_1) | instid1(SALU_CYCLE_1)
	v_cndmask_b32_e64 v3, v3, 0, s10
	s_delay_alu instid0(VALU_DEP_1)
	v_or_b32_e32 v60, v3, v2
.LBB4_788:                              ;   in Loop: Header=BB4_128 Depth=2
	s_or_b32 exec_lo, exec_lo, s43
                                        ; implicit-def: $vgpr2
.LBB4_789:                              ;   in Loop: Header=BB4_128 Depth=2
	s_and_not1_saveexec_b32 s10, s42
; %bb.790:                              ;   in Loop: Header=BB4_128 Depth=2
	v_or_b32_e32 v60, 0x7e, v2
; %bb.791:                              ;   in Loop: Header=BB4_128 Depth=2
	s_or_b32 exec_lo, exec_lo, s10
                                        ; implicit-def: $vgpr2
.LBB4_792:                              ;   in Loop: Header=BB4_128 Depth=2
	s_and_not1_saveexec_b32 s10, s41
; %bb.793:                              ;   in Loop: Header=BB4_128 Depth=2
	v_or_b32_e32 v60, 0x7f, v2
; %bb.794:                              ;   in Loop: Header=BB4_128 Depth=2
	s_or_b32 exec_lo, exec_lo, s10
	v_and_b32_e32 v3, 0xff, v13
	v_dual_mov_b32 v38, v13 :: v_dual_mov_b32 v2, 0
	s_mov_b32 s10, exec_lo
	s_delay_alu instid0(VALU_DEP_2)
	v_cmpx_ne_u16_e32 0, v3
	s_cbranch_execz .LBB4_800
; %bb.795:                              ;   in Loop: Header=BB4_128 Depth=2
	v_bfrev_b32_e32 v2, 1
	s_mov_b32 s41, exec_lo
	v_cmpx_ne_u16_e32 0x80, v3
	s_cbranch_execz .LBB4_799
; %bb.796:                              ;   in Loop: Header=BB4_128 Depth=2
	v_and_b32_e32 v3, 0x7f, v13
	v_mov_b32_e32 v2, 0x7f800001
	s_mov_b32 s42, exec_lo
	s_delay_alu instid0(VALU_DEP_2)
	v_cmpx_ne_u32_e32 0x7f, v3
	s_cbranch_execz .LBB4_798
; %bb.797:                              ;   in Loop: Header=BB4_128 Depth=2
	v_dual_lshrrev_b32 v10, 3, v3 :: v_dual_bitop2_b32 v2, 7, v13 bitop3:0x40
	v_cmp_gt_u32_e32 vcc_lo, 8, v3
	s_delay_alu instid0(VALU_DEP_2) | instskip(NEXT) | instid1(VALU_DEP_1)
	v_clz_i32_u32_e32 v2, v2
	v_min_u32_e32 v2, 32, v2
	s_delay_alu instid0(VALU_DEP_1) | instskip(SKIP_1) | instid1(VALU_DEP_1)
	v_subrev_nc_u32_e32 v11, 28, v2
	v_sub_nc_u32_e32 v2, 29, v2
	v_dual_cndmask_b32 v10, v10, v2, vcc_lo :: v_dual_cndmask_b32 v2, 0, v11, vcc_lo
	s_delay_alu instid0(VALU_DEP_1) | instskip(NEXT) | instid1(VALU_DEP_2)
	v_lshl_add_u32 v10, v10, 23, 0x3c000000
	v_lshlrev_b64_e32 v[2:3], v2, v[38:39]
	v_lshlrev_b32_e32 v3, 24, v38
	s_delay_alu instid0(VALU_DEP_1) | instskip(NEXT) | instid1(VALU_DEP_3)
	v_and_b32_e32 v3, 0x80000000, v3
	v_lshlrev_b32_e32 v2, 20, v2
	s_delay_alu instid0(VALU_DEP_1) | instskip(NEXT) | instid1(VALU_DEP_1)
	v_and_b32_e32 v2, 0x700000, v2
	v_or3_b32 v2, v2, v3, v10
.LBB4_798:                              ;   in Loop: Header=BB4_128 Depth=2
	s_or_b32 exec_lo, exec_lo, s42
.LBB4_799:                              ;   in Loop: Header=BB4_128 Depth=2
	s_delay_alu instid0(SALU_CYCLE_1)
	s_or_b32 exec_lo, exec_lo, s41
.LBB4_800:                              ;   in Loop: Header=BB4_128 Depth=2
	s_delay_alu instid0(SALU_CYCLE_1) | instskip(NEXT) | instid1(VALU_DEP_1)
	s_or_b32 exec_lo, exec_lo, s10
	v_dual_mul_f32 v3, s40, v2 :: v_dual_mov_b32 v11, v39
                                        ; implicit-def: $vgpr119
	s_mov_b32 s10, exec_lo
	s_delay_alu instid0(VALU_DEP_1) | instskip(SKIP_1) | instid1(VALU_DEP_2)
	v_and_b32_e32 v10, 0x7f800000, v3
	v_lshrrev_b32_e32 v2, 24, v3
	v_cmpx_ne_u64_e32 0x7f800000, v[10:11]
	s_xor_b32 s41, exec_lo, s10
	s_cbranch_execz .LBB4_814
; %bb.801:                              ;   in Loop: Header=BB4_128 Depth=2
	v_and_b32_e32 v10, 0x7fffffff, v3
	v_mov_b32_e32 v11, v39
	v_and_b32_e32 v2, 0x80, v2
                                        ; implicit-def: $vgpr119
	s_mov_b32 s10, exec_lo
	s_delay_alu instid0(VALU_DEP_2)
	v_cmpx_gt_u64_e32 0x43e00001, v[10:11]
	s_xor_b32 s42, exec_lo, s10
	s_cbranch_execz .LBB4_811
; %bb.802:                              ;   in Loop: Header=BB4_128 Depth=2
	v_mov_b32_e32 v119, 0
	s_mov_b32 s43, exec_lo
	v_cmpx_ne_u32_e32 0, v3
	s_cbranch_execz .LBB4_810
; %bb.803:                              ;   in Loop: Header=BB4_128 Depth=2
	v_bfe_u32 v16, v3, 23, 8
	v_and_b32_e32 v3, 0x7fffff, v3
	s_mov_b32 s44, exec_lo
	s_delay_alu instid0(VALU_DEP_2) | instskip(SKIP_1) | instid1(VALU_DEP_3)
	v_dual_mov_b32 v15, v39 :: v_dual_sub_nc_u32 v10, 0x79, v16
	v_cmp_gt_u32_e32 vcc_lo, 0x7a, v16
	v_or_b32_e32 v14, 0x800000, v3
	s_delay_alu instid0(VALU_DEP_3) | instskip(SKIP_1) | instid1(VALU_DEP_2)
	v_cndmask_b32_e32 v10, 0, v10, vcc_lo
	v_cmp_eq_u32_e32 vcc_lo, 0, v16
	v_cndmask_b32_e64 v17, v10, 0x78, vcc_lo
	s_delay_alu instid0(VALU_DEP_1) | instskip(SKIP_1) | instid1(VALU_DEP_2)
	v_dual_cndmask_b32 v14, v14, v3, vcc_lo :: v_dual_add_nc_u32 v10, 20, v17
	v_add_nc_u32_e32 v20, 19, v17
	v_lshlrev_b64_e64 v[10:11], v10, -1
	s_delay_alu instid0(VALU_DEP_2) | instskip(NEXT) | instid1(VALU_DEP_2)
	v_lshlrev_b64_e64 v[20:21], v20, 1
	v_bfi_b32 v43, v11, 0, 0
	s_delay_alu instid0(VALU_DEP_3) | instskip(SKIP_1) | instid1(VALU_DEP_1)
	v_bfi_b32 v42, v10, 0, v14
	v_lshrrev_b64 v[10:11], v17, v[14:15]
	v_mov_b64_e32 v[14:15], v[10:11]
	s_delay_alu instid0(VALU_DEP_3)
	v_cmpx_eq_u64_e64 v[42:43], v[20:21]
; %bb.804:                              ;   in Loop: Header=BB4_128 Depth=2
	v_bfe_u32 v14, v10, 20, 1
	v_mov_b32_e32 v15, v39
	s_delay_alu instid0(VALU_DEP_1) | instskip(NEXT) | instid1(VALU_DEP_1)
	v_add_nc_u64_e32 v[14:15], v[10:11], v[14:15]
	v_add_nc_u64_e32 v[14:15], -1, v[14:15]
; %bb.805:                              ;   in Loop: Header=BB4_128 Depth=2
	s_or_b32 exec_lo, exec_lo, s44
	v_add_nc_u32_e32 v3, 0xffffff81, v16
	v_lshrrev_b32_e32 v11, 23, v10
	s_mov_b32 s10, exec_lo
	s_delay_alu instid0(VALU_DEP_2) | instskip(NEXT) | instid1(VALU_DEP_1)
	v_cndmask_b32_e64 v3, v3, 0xffffff82, vcc_lo
	v_add3_u32 v15, v17, v3, v11
	v_and_b32_e32 v3, 0xfffff, v14
	s_delay_alu instid0(VALU_DEP_2) | instskip(NEXT) | instid1(VALU_DEP_2)
	v_dual_mov_b32 v11, v39 :: v_dual_add_nc_u32 v14, 6, v15
	v_add_nc_u32_e32 v10, v3, v10
                                        ; implicit-def: $vgpr3
	s_delay_alu instid0(VALU_DEP_2)
	v_cmpx_ne_u32_e32 0, v14
	s_xor_b32 s10, exec_lo, s10
; %bb.806:                              ;   in Loop: Header=BB4_128 Depth=2
	s_delay_alu instid0(VALU_DEP_2) | instskip(SKIP_1) | instid1(VALU_DEP_1)
	v_cmp_lt_u64_e32 vcc_lo, 0xffffff, v[10:11]
	v_add_nc_u32_e32 v3, 7, v15
	v_cndmask_b32_e32 v3, v14, v3, vcc_lo
	v_cndmask_b32_e64 v14, 0, 1, vcc_lo
	s_delay_alu instid0(VALU_DEP_1)
	v_lshrrev_b64 v[10:11], v14, v[10:11]
; %bb.807:                              ;   in Loop: Header=BB4_128 Depth=2
	s_and_not1_saveexec_b32 s10, s10
; %bb.808:                              ;   in Loop: Header=BB4_128 Depth=2
	s_delay_alu instid0(VALU_DEP_1)
	v_bfe_u32 v3, v10, 23, 1
; %bb.809:                              ;   in Loop: Header=BB4_128 Depth=2
	s_or_b32 exec_lo, exec_lo, s10
	s_delay_alu instid0(VALU_DEP_2) | instskip(NEXT) | instid1(VALU_DEP_2)
	v_lshrrev_b64 v[10:11], 20, v[10:11]
	v_cmp_gt_i32_e32 vcc_lo, 16, v3
	v_min_i32_e32 v14, 15, v3
	v_cmp_eq_u32_e64 s10, 0, v3
	s_delay_alu instid0(VALU_DEP_4) | instskip(NEXT) | instid1(VALU_DEP_3)
	v_cndmask_b32_e32 v10, 7, v10, vcc_lo
	v_dual_cndmask_b32 v11, 0, v11 :: v_dual_lshlrev_b32 v14, 3, v14
	s_delay_alu instid0(VALU_DEP_1) | instskip(NEXT) | instid1(VALU_DEP_2)
	v_and_b32_e32 v14, 0xf8, v14
	v_cmp_eq_u64_e32 vcc_lo, 0, v[10:11]
	s_delay_alu instid0(VALU_DEP_2)
	v_and_or_b32 v3, v10, 7, v14
	s_and_b32 s10, s10, vcc_lo
	s_delay_alu instid0(VALU_DEP_1) | instid1(SALU_CYCLE_1)
	v_cndmask_b32_e64 v3, v3, 0, s10
	s_delay_alu instid0(VALU_DEP_1)
	v_or_b32_e32 v119, v3, v2
.LBB4_810:                              ;   in Loop: Header=BB4_128 Depth=2
	s_or_b32 exec_lo, exec_lo, s43
                                        ; implicit-def: $vgpr2
.LBB4_811:                              ;   in Loop: Header=BB4_128 Depth=2
	s_and_not1_saveexec_b32 s10, s42
; %bb.812:                              ;   in Loop: Header=BB4_128 Depth=2
	v_or_b32_e32 v119, 0x7e, v2
; %bb.813:                              ;   in Loop: Header=BB4_128 Depth=2
	s_or_b32 exec_lo, exec_lo, s10
                                        ; implicit-def: $vgpr2
.LBB4_814:                              ;   in Loop: Header=BB4_128 Depth=2
	s_and_not1_saveexec_b32 s10, s41
; %bb.815:                              ;   in Loop: Header=BB4_128 Depth=2
	v_or_b32_e32 v119, 0x7f, v2
; %bb.816:                              ;   in Loop: Header=BB4_128 Depth=2
	s_or_b32 exec_lo, exec_lo, s10
	v_lshrrev_b16 v3, 8, v38
	v_mov_b32_e32 v2, 0
	s_mov_b32 s10, exec_lo
	s_delay_alu instid0(VALU_DEP_2)
	v_cmpx_ne_u16_e32 0, v3
	s_cbranch_execz .LBB4_824
; %bb.817:                              ;   in Loop: Header=BB4_128 Depth=2
	v_bfrev_b32_e32 v2, 1
	s_mov_b32 s41, exec_lo
	v_cmpx_ne_u16_e32 0x80, v3
	s_cbranch_execz .LBB4_823
; %bb.818:                              ;   in Loop: Header=BB4_128 Depth=2
	v_and_b32_e32 v10, 0xffff, v3
	v_mov_b32_e32 v2, 0x7f800001
	s_mov_b32 s42, exec_lo
	s_delay_alu instid0(VALU_DEP_2) | instskip(NEXT) | instid1(VALU_DEP_1)
	v_and_b32_e32 v3, 0x7f, v10
	v_cmpx_ne_u32_e32 0x7f, v3
	s_cbranch_execz .LBB4_822
; %bb.819:                              ;   in Loop: Header=BB4_128 Depth=2
	v_dual_mov_b32 v11, v39 :: v_dual_bitop2_b32 v10, 7, v10 bitop3:0x40
	v_lshrrev_b32_e32 v2, 3, v3
	s_mov_b32 s43, exec_lo
	v_cmpx_gt_u32_e32 8, v3
; %bb.820:                              ;   in Loop: Header=BB4_128 Depth=2
	s_delay_alu instid0(VALU_DEP_3) | instskip(NEXT) | instid1(VALU_DEP_1)
	v_clz_i32_u32_e32 v2, v10
	v_min_u32_e32 v2, 32, v2
	s_delay_alu instid0(VALU_DEP_1) | instskip(SKIP_1) | instid1(VALU_DEP_2)
	v_subrev_nc_u32_e32 v3, 28, v2
	v_sub_nc_u32_e32 v2, 29, v2
	v_lshlrev_b64_e32 v[10:11], v3, v[10:11]
	s_delay_alu instid0(VALU_DEP_1)
	v_and_b32_e32 v10, 7, v10
; %bb.821:                              ;   in Loop: Header=BB4_128 Depth=2
	s_or_b32 exec_lo, exec_lo, s43
	v_lshlrev_b32_e32 v3, 16, v38
	s_delay_alu instid0(VALU_DEP_2) | instskip(SKIP_1) | instid1(VALU_DEP_3)
	v_lshlrev_b32_e32 v10, 20, v10
	v_lshl_add_u32 v2, v2, 23, 0x3c000000
	v_and_b32_e32 v3, 0x80000000, v3
	s_delay_alu instid0(VALU_DEP_1)
	v_or3_b32 v2, v10, v3, v2
.LBB4_822:                              ;   in Loop: Header=BB4_128 Depth=2
	s_or_b32 exec_lo, exec_lo, s42
.LBB4_823:                              ;   in Loop: Header=BB4_128 Depth=2
	s_delay_alu instid0(SALU_CYCLE_1)
	s_or_b32 exec_lo, exec_lo, s41
.LBB4_824:                              ;   in Loop: Header=BB4_128 Depth=2
	s_delay_alu instid0(SALU_CYCLE_1) | instskip(NEXT) | instid1(VALU_DEP_1)
	s_or_b32 exec_lo, exec_lo, s10
	v_mul_f32_e32 v3, s40, v2
                                        ; implicit-def: $vgpr42
	s_mov_b32 s10, exec_lo
	s_delay_alu instid0(VALU_DEP_1) | instskip(SKIP_1) | instid1(VALU_DEP_2)
	v_and_b32_e32 v38, 0x7f800000, v3
	v_lshrrev_b32_e32 v2, 24, v3
	v_cmpx_ne_u64_e32 0x7f800000, v[38:39]
	s_xor_b32 s41, exec_lo, s10
	s_cbranch_execz .LBB4_838
; %bb.825:                              ;   in Loop: Header=BB4_128 Depth=2
	v_and_b32_e32 v38, 0x7fffffff, v3
	v_and_b32_e32 v2, 0x80, v2
                                        ; implicit-def: $vgpr42
	s_mov_b32 s10, exec_lo
	s_delay_alu instid0(VALU_DEP_2)
	v_cmpx_gt_u64_e32 0x43e00001, v[38:39]
	s_xor_b32 s42, exec_lo, s10
	s_cbranch_execz .LBB4_835
; %bb.826:                              ;   in Loop: Header=BB4_128 Depth=2
	v_mov_b32_e32 v42, 0
	s_mov_b32 s43, exec_lo
	v_cmpx_ne_u32_e32 0, v3
	s_cbranch_execz .LBB4_834
; %bb.827:                              ;   in Loop: Header=BB4_128 Depth=2
	v_bfe_u32 v16, v3, 23, 8
	v_and_b32_e32 v3, 0x7fffff, v3
	s_delay_alu instid0(VALU_DEP_2) | instskip(SKIP_1) | instid1(VALU_DEP_3)
	v_sub_nc_u32_e32 v10, 0x79, v16
	v_cmp_gt_u32_e32 vcc_lo, 0x7a, v16
	v_or_b32_e32 v14, 0x800000, v3
	s_delay_alu instid0(VALU_DEP_3) | instskip(SKIP_1) | instid1(VALU_DEP_2)
	v_cndmask_b32_e32 v10, 0, v10, vcc_lo
	v_cmp_eq_u32_e32 vcc_lo, 0, v16
	v_cndmask_b32_e64 v17, v10, 0x78, vcc_lo
	s_delay_alu instid0(VALU_DEP_1) | instskip(SKIP_1) | instid1(VALU_DEP_2)
	v_dual_cndmask_b32 v38, v14, v3, vcc_lo :: v_dual_add_nc_u32 v10, 20, v17
	v_add_nc_u32_e32 v15, 19, v17
	v_lshlrev_b64_e64 v[10:11], v10, -1
	s_delay_alu instid0(VALU_DEP_2) | instskip(NEXT) | instid1(VALU_DEP_2)
	v_lshlrev_b64_e64 v[14:15], v15, 1
	v_bfi_b32 v21, v11, 0, 0
	s_delay_alu instid0(VALU_DEP_3) | instskip(SKIP_1) | instid1(VALU_DEP_2)
	v_bfi_b32 v20, v10, 0, v38
	v_lshrrev_b64 v[10:11], v17, v[38:39]
	v_cmp_eq_u64_e64 s10, v[20:21], v[14:15]
	s_delay_alu instid0(VALU_DEP_2)
	v_mov_b64_e32 v[14:15], v[10:11]
	s_and_saveexec_b32 s44, s10
; %bb.828:                              ;   in Loop: Header=BB4_128 Depth=2
	v_bfe_u32 v38, v10, 20, 1
	s_delay_alu instid0(VALU_DEP_1) | instskip(NEXT) | instid1(VALU_DEP_1)
	v_add_nc_u64_e32 v[14:15], v[10:11], v[38:39]
	v_add_nc_u64_e32 v[14:15], -1, v[14:15]
; %bb.829:                              ;   in Loop: Header=BB4_128 Depth=2
	s_or_b32 exec_lo, exec_lo, s44
	v_add_nc_u32_e32 v3, 0xffffff81, v16
	v_lshrrev_b32_e32 v11, 23, v10
	s_mov_b32 s10, exec_lo
	s_delay_alu instid0(VALU_DEP_2) | instskip(NEXT) | instid1(VALU_DEP_1)
	v_cndmask_b32_e64 v3, v3, 0xffffff82, vcc_lo
	v_add3_u32 v15, v17, v3, v11
	v_and_b32_e32 v3, 0xfffff, v14
	s_delay_alu instid0(VALU_DEP_1) | instskip(NEXT) | instid1(VALU_DEP_1)
	v_dual_add_nc_u32 v14, 6, v15 :: v_dual_add_nc_u32 v38, v3, v10
                                        ; implicit-def: $vgpr10_vgpr11
                                        ; implicit-def: $vgpr3
	v_cmpx_ne_u32_e32 0, v14
	s_xor_b32 s10, exec_lo, s10
; %bb.830:                              ;   in Loop: Header=BB4_128 Depth=2
	s_delay_alu instid0(VALU_DEP_2) | instskip(SKIP_2) | instid1(VALU_DEP_2)
	v_cmp_lt_u64_e32 vcc_lo, 0xffffff, v[38:39]
	v_add_nc_u32_e32 v3, 7, v15
	v_cndmask_b32_e64 v10, 0, 1, vcc_lo
	v_cndmask_b32_e32 v3, v14, v3, vcc_lo
	s_delay_alu instid0(VALU_DEP_2)
	v_lshrrev_b64 v[10:11], v10, v[38:39]
; %bb.831:                              ;   in Loop: Header=BB4_128 Depth=2
	s_and_not1_saveexec_b32 s10, s10
; %bb.832:                              ;   in Loop: Header=BB4_128 Depth=2
	v_mov_b64_e32 v[10:11], v[38:39]
	v_bfe_u32 v3, v38, 23, 1
; %bb.833:                              ;   in Loop: Header=BB4_128 Depth=2
	s_or_b32 exec_lo, exec_lo, s10
	s_delay_alu instid0(VALU_DEP_2) | instskip(NEXT) | instid1(VALU_DEP_2)
	v_lshrrev_b64 v[10:11], 20, v[10:11]
	v_cmp_gt_i32_e32 vcc_lo, 16, v3
	v_min_i32_e32 v14, 15, v3
	v_cmp_eq_u32_e64 s10, 0, v3
	s_delay_alu instid0(VALU_DEP_4) | instskip(NEXT) | instid1(VALU_DEP_3)
	v_cndmask_b32_e32 v10, 7, v10, vcc_lo
	v_dual_cndmask_b32 v11, 0, v11 :: v_dual_lshlrev_b32 v14, 3, v14
	s_delay_alu instid0(VALU_DEP_1) | instskip(NEXT) | instid1(VALU_DEP_2)
	v_and_b32_e32 v14, 0xf8, v14
	v_cmp_eq_u64_e32 vcc_lo, 0, v[10:11]
	s_delay_alu instid0(VALU_DEP_2)
	v_and_or_b32 v3, v10, 7, v14
	s_and_b32 s10, s10, vcc_lo
	s_delay_alu instid0(VALU_DEP_1) | instid1(SALU_CYCLE_1)
	v_cndmask_b32_e64 v3, v3, 0, s10
	s_delay_alu instid0(VALU_DEP_1)
	v_or_b32_e32 v42, v3, v2
.LBB4_834:                              ;   in Loop: Header=BB4_128 Depth=2
	s_or_b32 exec_lo, exec_lo, s43
                                        ; implicit-def: $vgpr2
.LBB4_835:                              ;   in Loop: Header=BB4_128 Depth=2
	s_and_not1_saveexec_b32 s10, s42
; %bb.836:                              ;   in Loop: Header=BB4_128 Depth=2
	v_or_b32_e32 v42, 0x7e, v2
; %bb.837:                              ;   in Loop: Header=BB4_128 Depth=2
	s_or_b32 exec_lo, exec_lo, s10
                                        ; implicit-def: $vgpr2
.LBB4_838:                              ;   in Loop: Header=BB4_128 Depth=2
	s_and_not1_saveexec_b32 s10, s41
; %bb.839:                              ;   in Loop: Header=BB4_128 Depth=2
	v_or_b32_e32 v42, 0x7f, v2
; %bb.840:                              ;   in Loop: Header=BB4_128 Depth=2
	s_or_b32 exec_lo, exec_lo, s10
	v_dual_mov_b32 v3, 0 :: v_dual_lshrrev_b32 v2, 16, v13
	s_mov_b32 s10, exec_lo
	s_delay_alu instid0(VALU_DEP_1) | instskip(NEXT) | instid1(VALU_DEP_1)
	v_and_b32_e32 v10, 0xff, v2
	v_cmpx_ne_u16_e32 0, v10
	s_cbranch_execz .LBB4_848
; %bb.841:                              ;   in Loop: Header=BB4_128 Depth=2
	v_bfrev_b32_e32 v3, 1
	s_mov_b32 s41, exec_lo
	v_cmpx_ne_u16_e32 0x80, v10
	s_cbranch_execz .LBB4_847
; %bb.842:                              ;   in Loop: Header=BB4_128 Depth=2
	v_bfe_u32 v10, v13, 16, 7
	v_mov_b32_e32 v3, 0x7f800001
	s_mov_b32 s42, exec_lo
	s_delay_alu instid0(VALU_DEP_2)
	v_cmpx_ne_u32_e32 0x7f, v10
	s_cbranch_execz .LBB4_846
; %bb.843:                              ;   in Loop: Header=BB4_128 Depth=2
	v_and_b32_e32 v38, 7, v2
	v_lshrrev_b32_e32 v3, 3, v10
	s_mov_b32 s43, exec_lo
	v_cmpx_gt_u32_e32 8, v10
; %bb.844:                              ;   in Loop: Header=BB4_128 Depth=2
	s_delay_alu instid0(VALU_DEP_3) | instskip(NEXT) | instid1(VALU_DEP_1)
	v_clz_i32_u32_e32 v3, v38
	v_min_u32_e32 v3, 32, v3
	s_delay_alu instid0(VALU_DEP_1) | instskip(NEXT) | instid1(VALU_DEP_1)
	v_subrev_nc_u32_e32 v10, 28, v3
	v_lshlrev_b64_e32 v[10:11], v10, v[38:39]
	s_delay_alu instid0(VALU_DEP_1)
	v_dual_sub_nc_u32 v3, 29, v3 :: v_dual_bitop2_b32 v38, 7, v10 bitop3:0x40
; %bb.845:                              ;   in Loop: Header=BB4_128 Depth=2
	s_or_b32 exec_lo, exec_lo, s43
	v_lshlrev_b32_e32 v2, 24, v2
	s_delay_alu instid0(VALU_DEP_2) | instskip(NEXT) | instid1(VALU_DEP_3)
	v_lshlrev_b32_e32 v10, 20, v38
	v_lshl_add_u32 v3, v3, 23, 0x3c000000
	s_delay_alu instid0(VALU_DEP_3) | instskip(NEXT) | instid1(VALU_DEP_1)
	v_and_b32_e32 v2, 0x80000000, v2
	v_or3_b32 v3, v10, v2, v3
.LBB4_846:                              ;   in Loop: Header=BB4_128 Depth=2
	s_or_b32 exec_lo, exec_lo, s42
.LBB4_847:                              ;   in Loop: Header=BB4_128 Depth=2
	s_delay_alu instid0(SALU_CYCLE_1)
	s_or_b32 exec_lo, exec_lo, s41
.LBB4_848:                              ;   in Loop: Header=BB4_128 Depth=2
	s_delay_alu instid0(SALU_CYCLE_1) | instskip(NEXT) | instid1(VALU_DEP_1)
	s_or_b32 exec_lo, exec_lo, s10
	v_mul_f32_e32 v3, s40, v3
                                        ; implicit-def: $vgpr44
	s_mov_b32 s10, exec_lo
	s_delay_alu instid0(VALU_DEP_1) | instskip(SKIP_1) | instid1(VALU_DEP_2)
	v_and_b32_e32 v38, 0x7f800000, v3
	v_lshrrev_b32_e32 v2, 24, v3
	v_cmpx_ne_u64_e32 0x7f800000, v[38:39]
	s_xor_b32 s41, exec_lo, s10
	s_cbranch_execz .LBB4_862
; %bb.849:                              ;   in Loop: Header=BB4_128 Depth=2
	v_and_b32_e32 v38, 0x7fffffff, v3
	v_and_b32_e32 v2, 0x80, v2
                                        ; implicit-def: $vgpr44
	s_mov_b32 s10, exec_lo
	s_delay_alu instid0(VALU_DEP_2)
	v_cmpx_gt_u64_e32 0x43e00001, v[38:39]
	s_xor_b32 s42, exec_lo, s10
	s_cbranch_execz .LBB4_859
; %bb.850:                              ;   in Loop: Header=BB4_128 Depth=2
	v_mov_b32_e32 v44, 0
	s_mov_b32 s43, exec_lo
	v_cmpx_ne_u32_e32 0, v3
	s_cbranch_execz .LBB4_858
; %bb.851:                              ;   in Loop: Header=BB4_128 Depth=2
	v_bfe_u32 v16, v3, 23, 8
	v_and_b32_e32 v3, 0x7fffff, v3
	s_delay_alu instid0(VALU_DEP_2) | instskip(SKIP_1) | instid1(VALU_DEP_3)
	v_sub_nc_u32_e32 v10, 0x79, v16
	v_cmp_gt_u32_e32 vcc_lo, 0x7a, v16
	v_or_b32_e32 v14, 0x800000, v3
	s_delay_alu instid0(VALU_DEP_3) | instskip(SKIP_1) | instid1(VALU_DEP_2)
	v_cndmask_b32_e32 v10, 0, v10, vcc_lo
	v_cmp_eq_u32_e32 vcc_lo, 0, v16
	v_cndmask_b32_e64 v17, v10, 0x78, vcc_lo
	s_delay_alu instid0(VALU_DEP_1) | instskip(SKIP_1) | instid1(VALU_DEP_2)
	v_dual_cndmask_b32 v38, v14, v3, vcc_lo :: v_dual_add_nc_u32 v10, 20, v17
	v_add_nc_u32_e32 v15, 19, v17
	v_lshlrev_b64_e64 v[10:11], v10, -1
	s_delay_alu instid0(VALU_DEP_2) | instskip(NEXT) | instid1(VALU_DEP_2)
	v_lshlrev_b64_e64 v[14:15], v15, 1
	v_bfi_b32 v21, v11, 0, 0
	s_delay_alu instid0(VALU_DEP_3) | instskip(SKIP_1) | instid1(VALU_DEP_2)
	v_bfi_b32 v20, v10, 0, v38
	v_lshrrev_b64 v[10:11], v17, v[38:39]
	v_cmp_eq_u64_e64 s10, v[20:21], v[14:15]
	s_delay_alu instid0(VALU_DEP_2)
	v_mov_b64_e32 v[14:15], v[10:11]
	s_and_saveexec_b32 s44, s10
; %bb.852:                              ;   in Loop: Header=BB4_128 Depth=2
	v_bfe_u32 v38, v10, 20, 1
	s_delay_alu instid0(VALU_DEP_1) | instskip(NEXT) | instid1(VALU_DEP_1)
	v_add_nc_u64_e32 v[14:15], v[10:11], v[38:39]
	v_add_nc_u64_e32 v[14:15], -1, v[14:15]
; %bb.853:                              ;   in Loop: Header=BB4_128 Depth=2
	s_or_b32 exec_lo, exec_lo, s44
	v_add_nc_u32_e32 v3, 0xffffff81, v16
	v_lshrrev_b32_e32 v11, 23, v10
	s_mov_b32 s10, exec_lo
	s_delay_alu instid0(VALU_DEP_2) | instskip(NEXT) | instid1(VALU_DEP_1)
	v_cndmask_b32_e64 v3, v3, 0xffffff82, vcc_lo
	v_add3_u32 v15, v17, v3, v11
	v_and_b32_e32 v3, 0xfffff, v14
	s_delay_alu instid0(VALU_DEP_1) | instskip(NEXT) | instid1(VALU_DEP_1)
	v_dual_add_nc_u32 v14, 6, v15 :: v_dual_add_nc_u32 v38, v3, v10
                                        ; implicit-def: $vgpr10_vgpr11
                                        ; implicit-def: $vgpr3
	v_cmpx_ne_u32_e32 0, v14
	s_xor_b32 s10, exec_lo, s10
; %bb.854:                              ;   in Loop: Header=BB4_128 Depth=2
	s_delay_alu instid0(VALU_DEP_2) | instskip(SKIP_2) | instid1(VALU_DEP_2)
	v_cmp_lt_u64_e32 vcc_lo, 0xffffff, v[38:39]
	v_add_nc_u32_e32 v3, 7, v15
	v_cndmask_b32_e64 v10, 0, 1, vcc_lo
	v_cndmask_b32_e32 v3, v14, v3, vcc_lo
	s_delay_alu instid0(VALU_DEP_2)
	v_lshrrev_b64 v[10:11], v10, v[38:39]
; %bb.855:                              ;   in Loop: Header=BB4_128 Depth=2
	s_and_not1_saveexec_b32 s10, s10
; %bb.856:                              ;   in Loop: Header=BB4_128 Depth=2
	v_mov_b64_e32 v[10:11], v[38:39]
	v_bfe_u32 v3, v38, 23, 1
; %bb.857:                              ;   in Loop: Header=BB4_128 Depth=2
	s_or_b32 exec_lo, exec_lo, s10
	s_delay_alu instid0(VALU_DEP_2) | instskip(NEXT) | instid1(VALU_DEP_2)
	v_lshrrev_b64 v[10:11], 20, v[10:11]
	v_cmp_gt_i32_e32 vcc_lo, 16, v3
	v_min_i32_e32 v14, 15, v3
	v_cmp_eq_u32_e64 s10, 0, v3
	s_delay_alu instid0(VALU_DEP_4) | instskip(NEXT) | instid1(VALU_DEP_3)
	v_cndmask_b32_e32 v10, 7, v10, vcc_lo
	v_dual_cndmask_b32 v11, 0, v11 :: v_dual_lshlrev_b32 v14, 3, v14
	s_delay_alu instid0(VALU_DEP_1) | instskip(NEXT) | instid1(VALU_DEP_2)
	v_and_b32_e32 v14, 0xf8, v14
	v_cmp_eq_u64_e32 vcc_lo, 0, v[10:11]
	s_delay_alu instid0(VALU_DEP_2)
	v_and_or_b32 v3, v10, 7, v14
	s_and_b32 s10, s10, vcc_lo
	s_delay_alu instid0(VALU_DEP_1) | instid1(SALU_CYCLE_1)
	v_cndmask_b32_e64 v3, v3, 0, s10
	s_delay_alu instid0(VALU_DEP_1)
	v_or_b32_e32 v44, v3, v2
.LBB4_858:                              ;   in Loop: Header=BB4_128 Depth=2
	s_or_b32 exec_lo, exec_lo, s43
                                        ; implicit-def: $vgpr2
.LBB4_859:                              ;   in Loop: Header=BB4_128 Depth=2
	s_and_not1_saveexec_b32 s10, s42
; %bb.860:                              ;   in Loop: Header=BB4_128 Depth=2
	v_or_b32_e32 v44, 0x7e, v2
; %bb.861:                              ;   in Loop: Header=BB4_128 Depth=2
	s_or_b32 exec_lo, exec_lo, s10
                                        ; implicit-def: $vgpr2
.LBB4_862:                              ;   in Loop: Header=BB4_128 Depth=2
	s_and_not1_saveexec_b32 s10, s41
; %bb.863:                              ;   in Loop: Header=BB4_128 Depth=2
	v_or_b32_e32 v44, 0x7f, v2
; %bb.864:                              ;   in Loop: Header=BB4_128 Depth=2
	s_or_b32 exec_lo, exec_lo, s10
	v_mov_b32_e32 v3, 0
	s_mov_b32 s10, exec_lo
	v_cmpx_lt_u64_e64 s[14:15], v[12:13]
	s_cbranch_execz .LBB4_872
; %bb.865:                              ;   in Loop: Header=BB4_128 Depth=2
	v_lshrrev_b32_e32 v2, 24, v13
	v_bfrev_b32_e32 v3, 1
	s_mov_b32 s41, exec_lo
	s_delay_alu instid0(VALU_DEP_2)
	v_cmpx_ne_u32_e32 0x80, v2
	s_cbranch_execz .LBB4_871
; %bb.866:                              ;   in Loop: Header=BB4_128 Depth=2
	v_bfe_u32 v10, v13, 24, 7
	v_mov_b32_e32 v3, 0x7f800001
	s_mov_b32 s42, exec_lo
	s_delay_alu instid0(VALU_DEP_2)
	v_cmpx_ne_u32_e32 0x7f, v10
	s_cbranch_execz .LBB4_870
; %bb.867:                              ;   in Loop: Header=BB4_128 Depth=2
	v_and_b32_e32 v38, 7, v2
	v_lshrrev_b32_e32 v3, 3, v10
	s_mov_b32 s43, exec_lo
	v_cmpx_gt_u32_e32 8, v10
; %bb.868:                              ;   in Loop: Header=BB4_128 Depth=2
	s_delay_alu instid0(VALU_DEP_3) | instskip(NEXT) | instid1(VALU_DEP_1)
	v_clz_i32_u32_e32 v3, v38
	v_min_u32_e32 v3, 32, v3
	s_delay_alu instid0(VALU_DEP_1) | instskip(NEXT) | instid1(VALU_DEP_1)
	v_subrev_nc_u32_e32 v10, 28, v3
	v_lshlrev_b64_e32 v[10:11], v10, v[38:39]
	s_delay_alu instid0(VALU_DEP_1)
	v_dual_sub_nc_u32 v3, 29, v3 :: v_dual_bitop2_b32 v38, 7, v10 bitop3:0x40
; %bb.869:                              ;   in Loop: Header=BB4_128 Depth=2
	s_or_b32 exec_lo, exec_lo, s43
	v_lshlrev_b32_e32 v2, 24, v2
	s_delay_alu instid0(VALU_DEP_2) | instskip(NEXT) | instid1(VALU_DEP_3)
	v_lshlrev_b32_e32 v10, 20, v38
	v_lshl_add_u32 v3, v3, 23, 0x3c000000
	s_delay_alu instid0(VALU_DEP_3) | instskip(NEXT) | instid1(VALU_DEP_1)
	v_and_b32_e32 v2, 0x80000000, v2
	v_or3_b32 v3, v10, v2, v3
.LBB4_870:                              ;   in Loop: Header=BB4_128 Depth=2
	s_or_b32 exec_lo, exec_lo, s42
.LBB4_871:                              ;   in Loop: Header=BB4_128 Depth=2
	s_delay_alu instid0(SALU_CYCLE_1)
	s_or_b32 exec_lo, exec_lo, s41
.LBB4_872:                              ;   in Loop: Header=BB4_128 Depth=2
	s_delay_alu instid0(SALU_CYCLE_1) | instskip(NEXT) | instid1(VALU_DEP_1)
	s_or_b32 exec_lo, exec_lo, s10
	v_mul_f32_e32 v3, s40, v3
                                        ; implicit-def: $vgpr47
	s_mov_b32 s10, exec_lo
	s_delay_alu instid0(VALU_DEP_1) | instskip(SKIP_1) | instid1(VALU_DEP_2)
	v_and_b32_e32 v38, 0x7f800000, v3
	v_lshrrev_b32_e32 v2, 24, v3
	v_cmpx_ne_u64_e32 0x7f800000, v[38:39]
	s_xor_b32 s40, exec_lo, s10
	s_cbranch_execz .LBB4_886
; %bb.873:                              ;   in Loop: Header=BB4_128 Depth=2
	v_and_b32_e32 v38, 0x7fffffff, v3
	v_and_b32_e32 v2, 0x80, v2
                                        ; implicit-def: $vgpr47
	s_mov_b32 s10, exec_lo
	s_delay_alu instid0(VALU_DEP_2)
	v_cmpx_gt_u64_e32 0x43e00001, v[38:39]
	s_xor_b32 s41, exec_lo, s10
	s_cbranch_execz .LBB4_883
; %bb.874:                              ;   in Loop: Header=BB4_128 Depth=2
	v_mov_b32_e32 v47, 0
	s_mov_b32 s42, exec_lo
	v_cmpx_ne_u32_e32 0, v3
	s_cbranch_execz .LBB4_882
; %bb.875:                              ;   in Loop: Header=BB4_128 Depth=2
	v_bfe_u32 v14, v3, 23, 8
	v_and_b32_e32 v3, 0x7fffff, v3
	s_delay_alu instid0(VALU_DEP_2) | instskip(SKIP_1) | instid1(VALU_DEP_3)
	v_sub_nc_u32_e32 v10, 0x79, v14
	v_cmp_gt_u32_e32 vcc_lo, 0x7a, v14
	v_or_b32_e32 v12, 0x800000, v3
	s_delay_alu instid0(VALU_DEP_3) | instskip(SKIP_1) | instid1(VALU_DEP_2)
	v_cndmask_b32_e32 v10, 0, v10, vcc_lo
	v_cmp_eq_u32_e32 vcc_lo, 0, v14
	v_cndmask_b32_e64 v15, v10, 0x78, vcc_lo
	s_delay_alu instid0(VALU_DEP_4) | instskip(NEXT) | instid1(VALU_DEP_2)
	v_cndmask_b32_e32 v38, v12, v3, vcc_lo
	v_dual_add_nc_u32 v10, 20, v15 :: v_dual_add_nc_u32 v13, 19, v15
	s_delay_alu instid0(VALU_DEP_1) | instskip(NEXT) | instid1(VALU_DEP_2)
	v_lshlrev_b64_e64 v[10:11], v10, -1
	v_lshlrev_b64_e64 v[12:13], v13, 1
	s_delay_alu instid0(VALU_DEP_2) | instskip(NEXT) | instid1(VALU_DEP_3)
	v_bfi_b32 v17, v11, 0, 0
	v_bfi_b32 v16, v10, 0, v38
	v_lshrrev_b64 v[10:11], v15, v[38:39]
	s_delay_alu instid0(VALU_DEP_2) | instskip(NEXT) | instid1(VALU_DEP_2)
	v_cmp_eq_u64_e64 s10, v[16:17], v[12:13]
	v_mov_b64_e32 v[12:13], v[10:11]
	s_and_saveexec_b32 s43, s10
; %bb.876:                              ;   in Loop: Header=BB4_128 Depth=2
	v_bfe_u32 v38, v10, 20, 1
	s_delay_alu instid0(VALU_DEP_1) | instskip(NEXT) | instid1(VALU_DEP_1)
	v_add_nc_u64_e32 v[12:13], v[10:11], v[38:39]
	v_add_nc_u64_e32 v[12:13], -1, v[12:13]
; %bb.877:                              ;   in Loop: Header=BB4_128 Depth=2
	s_or_b32 exec_lo, exec_lo, s43
	v_add_nc_u32_e32 v3, 0xffffff81, v14
	v_lshrrev_b32_e32 v11, 23, v10
	s_mov_b32 s10, exec_lo
	s_delay_alu instid0(VALU_DEP_2) | instskip(NEXT) | instid1(VALU_DEP_1)
	v_cndmask_b32_e64 v3, v3, 0xffffff82, vcc_lo
	v_add3_u32 v13, v15, v3, v11
	v_and_b32_e32 v3, 0xfffff, v12
	s_delay_alu instid0(VALU_DEP_1) | instskip(NEXT) | instid1(VALU_DEP_1)
	v_dual_add_nc_u32 v12, 6, v13 :: v_dual_add_nc_u32 v38, v3, v10
                                        ; implicit-def: $vgpr10_vgpr11
                                        ; implicit-def: $vgpr3
	v_cmpx_ne_u32_e32 0, v12
	s_xor_b32 s10, exec_lo, s10
; %bb.878:                              ;   in Loop: Header=BB4_128 Depth=2
	s_delay_alu instid0(VALU_DEP_2) | instskip(SKIP_2) | instid1(VALU_DEP_2)
	v_cmp_lt_u64_e32 vcc_lo, 0xffffff, v[38:39]
	v_add_nc_u32_e32 v3, 7, v13
	v_cndmask_b32_e64 v10, 0, 1, vcc_lo
	v_cndmask_b32_e32 v3, v12, v3, vcc_lo
	s_delay_alu instid0(VALU_DEP_2)
	v_lshrrev_b64 v[10:11], v10, v[38:39]
; %bb.879:                              ;   in Loop: Header=BB4_128 Depth=2
	s_and_not1_saveexec_b32 s10, s10
; %bb.880:                              ;   in Loop: Header=BB4_128 Depth=2
	v_mov_b64_e32 v[10:11], v[38:39]
	v_bfe_u32 v3, v38, 23, 1
; %bb.881:                              ;   in Loop: Header=BB4_128 Depth=2
	s_or_b32 exec_lo, exec_lo, s10
	s_delay_alu instid0(VALU_DEP_2) | instskip(NEXT) | instid1(VALU_DEP_2)
	v_lshrrev_b64 v[10:11], 20, v[10:11]
	v_cmp_gt_i32_e32 vcc_lo, 16, v3
	v_min_i32_e32 v12, 15, v3
	v_cmp_eq_u32_e64 s10, 0, v3
	s_delay_alu instid0(VALU_DEP_2) | instskip(SKIP_1) | instid1(VALU_DEP_2)
	v_dual_cndmask_b32 v10, 7, v10, vcc_lo :: v_dual_lshlrev_b32 v12, 3, v12
	v_cndmask_b32_e32 v11, 0, v11, vcc_lo
	v_and_b32_e32 v12, 0xf8, v12
	s_delay_alu instid0(VALU_DEP_2) | instskip(NEXT) | instid1(VALU_DEP_2)
	v_cmp_eq_u64_e32 vcc_lo, 0, v[10:11]
	v_and_or_b32 v3, v10, 7, v12
	s_and_b32 s10, s10, vcc_lo
	s_delay_alu instid0(VALU_DEP_1) | instid1(SALU_CYCLE_1)
	v_cndmask_b32_e64 v3, v3, 0, s10
	s_delay_alu instid0(VALU_DEP_1)
	v_or_b32_e32 v47, v3, v2
.LBB4_882:                              ;   in Loop: Header=BB4_128 Depth=2
	s_or_b32 exec_lo, exec_lo, s42
                                        ; implicit-def: $vgpr2
.LBB4_883:                              ;   in Loop: Header=BB4_128 Depth=2
	s_and_not1_saveexec_b32 s10, s41
; %bb.884:                              ;   in Loop: Header=BB4_128 Depth=2
	v_or_b32_e32 v47, 0x7e, v2
; %bb.885:                              ;   in Loop: Header=BB4_128 Depth=2
	s_or_b32 exec_lo, exec_lo, s10
                                        ; implicit-def: $vgpr2
.LBB4_886:                              ;   in Loop: Header=BB4_128 Depth=2
	s_and_not1_saveexec_b32 s10, s40
; %bb.887:                              ;   in Loop: Header=BB4_128 Depth=2
	v_or_b32_e32 v47, 0x7f, v2
; %bb.888:                              ;   in Loop: Header=BB4_128 Depth=2
	s_or_b32 exec_lo, exec_lo, s10
	s_clause 0x1
	global_load_b128 v[14:17], v[98:99], off th:TH_LOAD_NT
	global_load_b128 v[10:13], v[98:99], off offset:512 th:TH_LOAD_NT
	v_lshl_or_b32 v2, v100, 8, v81
	v_dual_lshlrev_b32 v3, 16, v101 :: v_dual_lshlrev_b32 v20, 24, v102
	s_mov_b32 s10, exec_lo
	v_mov_b32_e32 v100, 0
	s_delay_alu instid0(VALU_DEP_2)
	v_or3_b32 v38, v3, v20, v2
	v_mov_b32_e32 v3, 0
	s_wait_xcnt 0x0
	v_cmpx_ne_u32_e32 0, v81
	s_cbranch_execz .LBB4_894
; %bb.889:                              ;   in Loop: Header=BB4_128 Depth=2
	v_bfrev_b32_e32 v100, 1
	s_mov_b32 s40, exec_lo
	v_cmpx_ne_u32_e32 0x80, v81
	s_cbranch_execz .LBB4_893
; %bb.890:                              ;   in Loop: Header=BB4_128 Depth=2
	v_and_b32_e32 v101, 0x7f, v81
	v_mov_b32_e32 v100, 0x7f800001
	s_mov_b32 s41, exec_lo
	s_delay_alu instid0(VALU_DEP_2)
	v_cmpx_ne_u32_e32 0x7f, v101
	s_cbranch_execz .LBB4_892
; %bb.891:                              ;   in Loop: Header=BB4_128 Depth=2
	v_and_b32_e32 v20, 7, v81
	v_cmp_gt_u32_e32 vcc_lo, 8, v101
	s_delay_alu instid0(VALU_DEP_2) | instskip(NEXT) | instid1(VALU_DEP_1)
	v_clz_i32_u32_e32 v20, v20
	v_min_u32_e32 v20, 32, v20
	v_lshrrev_b32_e32 v21, 3, v101
	s_delay_alu instid0(VALU_DEP_2) | instskip(SKIP_1) | instid1(VALU_DEP_1)
	v_subrev_nc_u32_e32 v81, 28, v20
	v_sub_nc_u32_e32 v20, 29, v20
	v_dual_cndmask_b32 v100, v21, v20, vcc_lo :: v_dual_cndmask_b32 v20, 0, v81, vcc_lo
	s_delay_alu instid0(VALU_DEP_1) | instskip(NEXT) | instid1(VALU_DEP_2)
	v_lshl_add_u32 v81, v100, 23, 0x3c000000
	v_lshlrev_b64_e32 v[20:21], v20, v[38:39]
	v_lshlrev_b32_e32 v21, 24, v38
	s_delay_alu instid0(VALU_DEP_1) | instskip(NEXT) | instid1(VALU_DEP_3)
	v_and_b32_e32 v21, 0x80000000, v21
	v_lshlrev_b32_e32 v20, 20, v20
	s_delay_alu instid0(VALU_DEP_1) | instskip(NEXT) | instid1(VALU_DEP_1)
	v_and_b32_e32 v20, 0x700000, v20
	v_or3_b32 v100, v20, v21, v81
.LBB4_892:                              ;   in Loop: Header=BB4_128 Depth=2
	s_or_b32 exec_lo, exec_lo, s41
.LBB4_893:                              ;   in Loop: Header=BB4_128 Depth=2
	s_delay_alu instid0(SALU_CYCLE_1)
	s_or_b32 exec_lo, exec_lo, s40
.LBB4_894:                              ;   in Loop: Header=BB4_128 Depth=2
	s_delay_alu instid0(SALU_CYCLE_1) | instskip(SKIP_3) | instid1(VALU_DEP_1)
	s_or_b32 exec_lo, exec_lo, s10
	s_wait_loadcnt 0x1
	v_and_b32_e32 v81, 0xff, v14
	s_mov_b32 s10, exec_lo
	v_cmpx_ne_u16_e32 0, v81
	s_cbranch_execz .LBB4_900
; %bb.895:                              ;   in Loop: Header=BB4_128 Depth=2
	v_bfrev_b32_e32 v3, 1
	s_mov_b32 s40, exec_lo
	v_cmpx_ne_u16_e32 0x80, v81
	s_cbranch_execz .LBB4_899
; %bb.896:                              ;   in Loop: Header=BB4_128 Depth=2
	v_and_b32_e32 v81, 0x7f, v14
	v_mov_b32_e32 v3, 0x7f800001
	s_mov_b32 s41, exec_lo
	s_delay_alu instid0(VALU_DEP_2)
	v_cmpx_ne_u32_e32 0x7f, v81
	s_cbranch_execz .LBB4_898
; %bb.897:                              ;   in Loop: Header=BB4_128 Depth=2
	v_dual_lshrrev_b32 v20, 3, v81 :: v_dual_bitop2_b32 v3, 7, v14 bitop3:0x40
	v_cmp_gt_u32_e32 vcc_lo, 8, v81
	s_delay_alu instid0(VALU_DEP_2) | instskip(NEXT) | instid1(VALU_DEP_1)
	v_clz_i32_u32_e32 v3, v3
	v_min_u32_e32 v3, 32, v3
	s_delay_alu instid0(VALU_DEP_1) | instskip(SKIP_1) | instid1(VALU_DEP_1)
	v_subrev_nc_u32_e32 v21, 28, v3
	v_sub_nc_u32_e32 v3, 29, v3
	v_dual_cndmask_b32 v3, v20, v3 :: v_dual_cndmask_b32 v20, 0, v21
	s_delay_alu instid0(VALU_DEP_1) | instskip(SKIP_1) | instid1(VALU_DEP_3)
	v_lshlrev_b64_e32 v[20:21], v20, v[14:15]
	v_lshlrev_b32_e32 v21, 24, v14
	v_lshl_add_u32 v3, v3, 23, 0x3c000000
	s_delay_alu instid0(VALU_DEP_2) | instskip(NEXT) | instid1(VALU_DEP_4)
	v_and_b32_e32 v21, 0x80000000, v21
	v_lshlrev_b32_e32 v20, 20, v20
	s_delay_alu instid0(VALU_DEP_1) | instskip(NEXT) | instid1(VALU_DEP_1)
	v_and_b32_e32 v20, 0x700000, v20
	v_or3_b32 v3, v20, v21, v3
.LBB4_898:                              ;   in Loop: Header=BB4_128 Depth=2
	s_or_b32 exec_lo, exec_lo, s41
.LBB4_899:                              ;   in Loop: Header=BB4_128 Depth=2
	s_delay_alu instid0(SALU_CYCLE_1)
	s_or_b32 exec_lo, exec_lo, s40
.LBB4_900:                              ;   in Loop: Header=BB4_128 Depth=2
	s_delay_alu instid0(SALU_CYCLE_1) | instskip(NEXT) | instid1(VALU_DEP_1)
	s_or_b32 exec_lo, exec_lo, s10
	v_dual_add_f32 v100, v100, v3 :: v_dual_mov_b32 v21, v39
                                        ; implicit-def: $vgpr81
	s_mov_b32 s10, exec_lo
	s_delay_alu instid0(VALU_DEP_1) | instskip(SKIP_1) | instid1(VALU_DEP_2)
	v_and_b32_e32 v20, 0x7f800000, v100
	v_lshrrev_b32_e32 v3, 24, v100
	v_cmpx_ne_u64_e32 0x7f800000, v[20:21]
	s_xor_b32 s40, exec_lo, s10
	s_cbranch_execz .LBB4_914
; %bb.901:                              ;   in Loop: Header=BB4_128 Depth=2
	v_and_b32_e32 v20, 0x7fffffff, v100
	v_mov_b32_e32 v21, v39
	v_and_b32_e32 v3, 0x80, v3
                                        ; implicit-def: $vgpr81
	s_mov_b32 s10, exec_lo
	s_delay_alu instid0(VALU_DEP_2)
	v_cmpx_gt_u64_e32 0x43e00001, v[20:21]
	s_xor_b32 s41, exec_lo, s10
	s_cbranch_execz .LBB4_911
; %bb.902:                              ;   in Loop: Header=BB4_128 Depth=2
	v_mov_b32_e32 v81, 0
	s_mov_b32 s42, exec_lo
	v_cmpx_ne_u32_e32 0, v100
	s_cbranch_execz .LBB4_910
; %bb.903:                              ;   in Loop: Header=BB4_128 Depth=2
	v_bfe_u32 v81, v100, 23, 8
	v_and_b32_e32 v100, 0x7fffff, v100
	s_delay_alu instid0(VALU_DEP_2) | instskip(SKIP_1) | instid1(VALU_DEP_3)
	v_sub_nc_u32_e32 v20, 0x79, v81
	v_cmp_gt_u32_e32 vcc_lo, 0x7a, v81
	v_or_b32_e32 v101, 0x800000, v100
	s_delay_alu instid0(VALU_DEP_3) | instskip(SKIP_1) | instid1(VALU_DEP_2)
	v_cndmask_b32_e32 v20, 0, v20, vcc_lo
	v_cmp_eq_u32_e32 vcc_lo, 0, v81
	v_cndmask_b32_e64 v113, v20, 0x78, vcc_lo
	s_delay_alu instid0(VALU_DEP_4) | instskip(NEXT) | instid1(VALU_DEP_2)
	v_dual_cndmask_b32 v100, v101, v100 :: v_dual_mov_b32 v101, v39
	v_dual_add_nc_u32 v20, 20, v113 :: v_dual_add_nc_u32 v102, 19, v113
	s_delay_alu instid0(VALU_DEP_1) | instskip(NEXT) | instid1(VALU_DEP_2)
	v_lshlrev_b64_e64 v[20:21], v20, -1
	v_lshlrev_b64_e64 v[102:103], v102, 1
	s_delay_alu instid0(VALU_DEP_2) | instskip(SKIP_1) | instid1(VALU_DEP_4)
	v_bfi_b32 v20, v20, 0, v100
	v_lshrrev_b64 v[100:101], v113, v[100:101]
	v_bfi_b32 v21, v21, 0, 0
	s_delay_alu instid0(VALU_DEP_1) | instskip(NEXT) | instid1(VALU_DEP_3)
	v_cmp_eq_u64_e64 s10, v[20:21], v[102:103]
	v_mov_b64_e32 v[102:103], v[100:101]
	s_and_saveexec_b32 s43, s10
; %bb.904:                              ;   in Loop: Header=BB4_128 Depth=2
	v_bfe_u32 v20, v100, 20, 1
	v_mov_b32_e32 v21, v39
	s_delay_alu instid0(VALU_DEP_1) | instskip(NEXT) | instid1(VALU_DEP_1)
	v_add_nc_u64_e32 v[20:21], v[100:101], v[20:21]
	v_add_nc_u64_e32 v[102:103], -1, v[20:21]
; %bb.905:                              ;   in Loop: Header=BB4_128 Depth=2
	s_or_b32 exec_lo, exec_lo, s43
	v_dual_mov_b32 v101, v39 :: v_dual_add_nc_u32 v20, 0xffffff81, v81
	v_lshrrev_b32_e32 v21, 23, v100
	s_mov_b32 s10, exec_lo
                                        ; implicit-def: $vgpr81
	s_delay_alu instid0(VALU_DEP_2) | instskip(NEXT) | instid1(VALU_DEP_1)
	v_cndmask_b32_e64 v20, v20, 0xffffff82, vcc_lo
	v_add3_u32 v103, v113, v20, v21
	v_and_b32_e32 v20, 0xfffff, v102
	s_delay_alu instid0(VALU_DEP_1) | instskip(NEXT) | instid1(VALU_DEP_1)
	v_dual_add_nc_u32 v102, 6, v103 :: v_dual_add_nc_u32 v100, v20, v100
	v_cmpx_ne_u32_e32 0, v102
	s_xor_b32 s10, exec_lo, s10
; %bb.906:                              ;   in Loop: Header=BB4_128 Depth=2
	s_delay_alu instid0(VALU_DEP_2) | instskip(SKIP_1) | instid1(VALU_DEP_1)
	v_cmp_lt_u64_e32 vcc_lo, 0xffffff, v[100:101]
	v_add_nc_u32_e32 v20, 7, v103
	v_cndmask_b32_e32 v81, v102, v20, vcc_lo
	v_cndmask_b32_e64 v20, 0, 1, vcc_lo
	s_delay_alu instid0(VALU_DEP_1)
	v_lshrrev_b64 v[100:101], v20, v[100:101]
; %bb.907:                              ;   in Loop: Header=BB4_128 Depth=2
	s_and_not1_saveexec_b32 s10, s10
; %bb.908:                              ;   in Loop: Header=BB4_128 Depth=2
	s_delay_alu instid0(VALU_DEP_1)
	v_bfe_u32 v81, v100, 23, 1
; %bb.909:                              ;   in Loop: Header=BB4_128 Depth=2
	s_or_b32 exec_lo, exec_lo, s10
	s_delay_alu instid0(VALU_DEP_2) | instskip(NEXT) | instid1(VALU_DEP_2)
	v_lshrrev_b64 v[20:21], 20, v[100:101]
	v_cmp_gt_i32_e32 vcc_lo, 16, v81
	v_min_i32_e32 v100, 15, v81
	v_cmp_eq_u32_e64 s10, 0, v81
	s_delay_alu instid0(VALU_DEP_4) | instskip(NEXT) | instid1(VALU_DEP_3)
	v_cndmask_b32_e32 v20, 7, v20, vcc_lo
	v_dual_cndmask_b32 v21, 0, v21 :: v_dual_lshlrev_b32 v100, 3, v100
	s_delay_alu instid0(VALU_DEP_1) | instskip(NEXT) | instid1(VALU_DEP_2)
	v_and_b32_e32 v100, 0xf8, v100
	v_cmp_eq_u64_e32 vcc_lo, 0, v[20:21]
	s_delay_alu instid0(VALU_DEP_2)
	v_and_or_b32 v20, v20, 7, v100
	s_and_b32 s10, s10, vcc_lo
	s_delay_alu instid0(VALU_DEP_1) | instid1(SALU_CYCLE_1)
	v_cndmask_b32_e64 v20, v20, 0, s10
	s_delay_alu instid0(VALU_DEP_1)
	v_or_b32_e32 v81, v20, v3
.LBB4_910:                              ;   in Loop: Header=BB4_128 Depth=2
	s_or_b32 exec_lo, exec_lo, s42
                                        ; implicit-def: $vgpr3
.LBB4_911:                              ;   in Loop: Header=BB4_128 Depth=2
	s_and_not1_saveexec_b32 s10, s41
; %bb.912:                              ;   in Loop: Header=BB4_128 Depth=2
	v_or_b32_e32 v81, 0x7e, v3
; %bb.913:                              ;   in Loop: Header=BB4_128 Depth=2
	s_or_b32 exec_lo, exec_lo, s10
                                        ; implicit-def: $vgpr3
.LBB4_914:                              ;   in Loop: Header=BB4_128 Depth=2
	s_and_not1_saveexec_b32 s10, s40
; %bb.915:                              ;   in Loop: Header=BB4_128 Depth=2
	v_or_b32_e32 v81, 0x7f, v3
; %bb.916:                              ;   in Loop: Header=BB4_128 Depth=2
	s_or_b32 exec_lo, exec_lo, s10
	v_lshrrev_b16 v100, 8, v2
	v_dual_mov_b32 v3, 0 :: v_dual_mov_b32 v102, 0
	s_mov_b32 s10, exec_lo
	s_delay_alu instid0(VALU_DEP_2)
	v_cmpx_ne_u16_e32 0, v100
	s_cbranch_execz .LBB4_924
; %bb.917:                              ;   in Loop: Header=BB4_128 Depth=2
	v_bfrev_b32_e32 v102, 1
	s_mov_b32 s40, exec_lo
	v_cmpx_ne_u16_e32 0x80, v100
	s_cbranch_execz .LBB4_923
; %bb.918:                              ;   in Loop: Header=BB4_128 Depth=2
	v_and_b32_e32 v100, 0xffff, v100
	v_mov_b32_e32 v102, 0x7f800001
	s_mov_b32 s41, exec_lo
	s_delay_alu instid0(VALU_DEP_2) | instskip(NEXT) | instid1(VALU_DEP_1)
	v_and_b32_e32 v103, 0x7f, v100
	v_cmpx_ne_u32_e32 0x7f, v103
	s_cbranch_execz .LBB4_922
; %bb.919:                              ;   in Loop: Header=BB4_128 Depth=2
	v_dual_mov_b32 v101, v39 :: v_dual_bitop2_b32 v100, 7, v100 bitop3:0x40
	v_lshrrev_b32_e32 v102, 3, v103
	s_mov_b32 s42, exec_lo
	v_cmpx_gt_u32_e32 8, v103
; %bb.920:                              ;   in Loop: Header=BB4_128 Depth=2
	s_delay_alu instid0(VALU_DEP_3) | instskip(NEXT) | instid1(VALU_DEP_1)
	v_clz_i32_u32_e32 v20, v100
	v_min_u32_e32 v102, 32, v20
	s_delay_alu instid0(VALU_DEP_1) | instskip(NEXT) | instid1(VALU_DEP_1)
	v_subrev_nc_u32_e32 v20, 28, v102
	v_lshlrev_b64_e32 v[20:21], v20, v[100:101]
	s_delay_alu instid0(VALU_DEP_1)
	v_dual_sub_nc_u32 v102, 29, v102 :: v_dual_bitop2_b32 v100, 7, v20 bitop3:0x40
; %bb.921:                              ;   in Loop: Header=BB4_128 Depth=2
	s_or_b32 exec_lo, exec_lo, s42
	s_delay_alu instid0(VALU_DEP_1) | instskip(NEXT) | instid1(VALU_DEP_2)
	v_dual_lshlrev_b32 v2, 16, v2 :: v_dual_lshlrev_b32 v20, 20, v100
	v_lshl_add_u32 v21, v102, 23, 0x3c000000
	s_delay_alu instid0(VALU_DEP_2) | instskip(NEXT) | instid1(VALU_DEP_1)
	v_and_b32_e32 v2, 0x80000000, v2
	v_or3_b32 v102, v20, v2, v21
.LBB4_922:                              ;   in Loop: Header=BB4_128 Depth=2
	s_or_b32 exec_lo, exec_lo, s41
.LBB4_923:                              ;   in Loop: Header=BB4_128 Depth=2
	s_delay_alu instid0(SALU_CYCLE_1)
	s_or_b32 exec_lo, exec_lo, s40
.LBB4_924:                              ;   in Loop: Header=BB4_128 Depth=2
	s_delay_alu instid0(SALU_CYCLE_1) | instskip(SKIP_2) | instid1(VALU_DEP_1)
	s_or_b32 exec_lo, exec_lo, s10
	v_lshrrev_b16 v2, 8, v14
	s_mov_b32 s10, exec_lo
	v_cmpx_ne_u16_e32 0, v2
	s_cbranch_execz .LBB4_932
; %bb.925:                              ;   in Loop: Header=BB4_128 Depth=2
	v_bfrev_b32_e32 v3, 1
	s_mov_b32 s40, exec_lo
	v_cmpx_ne_u16_e32 0x80, v2
	s_cbranch_execz .LBB4_931
; %bb.926:                              ;   in Loop: Header=BB4_128 Depth=2
	v_and_b32_e32 v2, 0xffff, v2
	v_mov_b32_e32 v3, 0x7f800001
	s_mov_b32 s41, exec_lo
	s_delay_alu instid0(VALU_DEP_2) | instskip(NEXT) | instid1(VALU_DEP_1)
	v_and_b32_e32 v103, 0x7f, v2
	v_cmpx_ne_u32_e32 0x7f, v103
	s_cbranch_execz .LBB4_930
; %bb.927:                              ;   in Loop: Header=BB4_128 Depth=2
	v_dual_mov_b32 v101, v39 :: v_dual_bitop2_b32 v100, 7, v2 bitop3:0x40
	v_lshrrev_b32_e32 v2, 3, v103
	s_mov_b32 s42, exec_lo
	v_cmpx_gt_u32_e32 8, v103
; %bb.928:                              ;   in Loop: Header=BB4_128 Depth=2
	s_delay_alu instid0(VALU_DEP_3) | instskip(NEXT) | instid1(VALU_DEP_1)
	v_clz_i32_u32_e32 v2, v100
	v_min_u32_e32 v2, 32, v2
	s_delay_alu instid0(VALU_DEP_1) | instskip(NEXT) | instid1(VALU_DEP_1)
	v_subrev_nc_u32_e32 v3, 28, v2
	v_lshlrev_b64_e32 v[20:21], v3, v[100:101]
	s_delay_alu instid0(VALU_DEP_1)
	v_dual_sub_nc_u32 v2, 29, v2 :: v_dual_bitop2_b32 v100, 7, v20 bitop3:0x40
; %bb.929:                              ;   in Loop: Header=BB4_128 Depth=2
	s_or_b32 exec_lo, exec_lo, s42
	s_delay_alu instid0(VALU_DEP_1) | instskip(NEXT) | instid1(VALU_DEP_2)
	v_dual_lshlrev_b32 v3, 16, v14 :: v_dual_lshlrev_b32 v20, 20, v100
	v_lshl_add_u32 v2, v2, 23, 0x3c000000
	s_delay_alu instid0(VALU_DEP_2) | instskip(NEXT) | instid1(VALU_DEP_1)
	v_and_b32_e32 v3, 0x80000000, v3
	v_or3_b32 v3, v20, v3, v2
.LBB4_930:                              ;   in Loop: Header=BB4_128 Depth=2
	s_or_b32 exec_lo, exec_lo, s41
.LBB4_931:                              ;   in Loop: Header=BB4_128 Depth=2
	s_delay_alu instid0(SALU_CYCLE_1)
	s_or_b32 exec_lo, exec_lo, s40
.LBB4_932:                              ;   in Loop: Header=BB4_128 Depth=2
	s_delay_alu instid0(SALU_CYCLE_1) | instskip(NEXT) | instid1(VALU_DEP_1)
	s_or_b32 exec_lo, exec_lo, s10
	v_dual_add_f32 v3, v102, v3 :: v_dual_mov_b32 v21, v39
                                        ; implicit-def: $vgpr40
	s_mov_b32 s10, exec_lo
	s_delay_alu instid0(VALU_DEP_1) | instskip(SKIP_1) | instid1(VALU_DEP_2)
	v_and_b32_e32 v20, 0x7f800000, v3
	v_lshrrev_b32_e32 v2, 24, v3
	v_cmpx_ne_u64_e32 0x7f800000, v[20:21]
	s_xor_b32 s40, exec_lo, s10
	s_cbranch_execz .LBB4_946
; %bb.933:                              ;   in Loop: Header=BB4_128 Depth=2
	v_and_b32_e32 v20, 0x7fffffff, v3
	v_mov_b32_e32 v21, v39
	v_and_b32_e32 v2, 0x80, v2
                                        ; implicit-def: $vgpr40
	s_mov_b32 s10, exec_lo
	s_delay_alu instid0(VALU_DEP_2)
	v_cmpx_gt_u64_e32 0x43e00001, v[20:21]
	s_xor_b32 s41, exec_lo, s10
	s_cbranch_execz .LBB4_943
; %bb.934:                              ;   in Loop: Header=BB4_128 Depth=2
	v_mov_b32_e32 v40, 0
	s_mov_b32 s42, exec_lo
	v_cmpx_ne_u32_e32 0, v3
	s_cbranch_execz .LBB4_942
; %bb.935:                              ;   in Loop: Header=BB4_128 Depth=2
	v_bfe_u32 v113, v3, 23, 8
	v_and_b32_e32 v3, 0x7fffff, v3
	s_delay_alu instid0(VALU_DEP_2) | instskip(SKIP_1) | instid1(VALU_DEP_3)
	v_dual_mov_b32 v101, v39 :: v_dual_sub_nc_u32 v20, 0x79, v113
	v_cmp_gt_u32_e32 vcc_lo, 0x7a, v113
	v_or_b32_e32 v100, 0x800000, v3
	s_delay_alu instid0(VALU_DEP_3) | instskip(SKIP_1) | instid1(VALU_DEP_3)
	v_cndmask_b32_e32 v20, 0, v20, vcc_lo
	v_cmp_eq_u32_e32 vcc_lo, 0, v113
	v_cndmask_b32_e32 v100, v100, v3, vcc_lo
	s_delay_alu instid0(VALU_DEP_3) | instskip(NEXT) | instid1(VALU_DEP_1)
	v_cndmask_b32_e64 v40, v20, 0x78, vcc_lo
	v_dual_add_nc_u32 v20, 20, v40 :: v_dual_add_nc_u32 v102, 19, v40
	s_delay_alu instid0(VALU_DEP_1) | instskip(NEXT) | instid1(VALU_DEP_2)
	v_lshlrev_b64_e64 v[20:21], v20, -1
	v_lshlrev_b64_e64 v[102:103], v102, 1
	s_delay_alu instid0(VALU_DEP_2) | instskip(SKIP_1) | instid1(VALU_DEP_4)
	v_bfi_b32 v20, v20, 0, v100
	v_lshrrev_b64 v[100:101], v40, v[100:101]
	v_bfi_b32 v21, v21, 0, 0
	s_delay_alu instid0(VALU_DEP_1) | instskip(NEXT) | instid1(VALU_DEP_3)
	v_cmp_eq_u64_e64 s10, v[20:21], v[102:103]
	v_mov_b64_e32 v[102:103], v[100:101]
	s_and_saveexec_b32 s43, s10
; %bb.936:                              ;   in Loop: Header=BB4_128 Depth=2
	v_bfe_u32 v20, v100, 20, 1
	v_mov_b32_e32 v21, v39
	s_delay_alu instid0(VALU_DEP_1) | instskip(NEXT) | instid1(VALU_DEP_1)
	v_add_nc_u64_e32 v[20:21], v[100:101], v[20:21]
	v_add_nc_u64_e32 v[102:103], -1, v[20:21]
; %bb.937:                              ;   in Loop: Header=BB4_128 Depth=2
	s_or_b32 exec_lo, exec_lo, s43
	v_add_nc_u32_e32 v3, 0xffffff81, v113
	v_dual_mov_b32 v101, v39 :: v_dual_lshrrev_b32 v20, 23, v100
	s_mov_b32 s10, exec_lo
	s_delay_alu instid0(VALU_DEP_2) | instskip(NEXT) | instid1(VALU_DEP_1)
	v_cndmask_b32_e64 v3, v3, 0xffffff82, vcc_lo
	v_add3_u32 v103, v40, v3, v20
	v_and_b32_e32 v3, 0xfffff, v102
	s_delay_alu instid0(VALU_DEP_1) | instskip(NEXT) | instid1(VALU_DEP_1)
	v_dual_add_nc_u32 v102, 6, v103 :: v_dual_add_nc_u32 v100, v3, v100
                                        ; implicit-def: $vgpr3
	v_cmpx_ne_u32_e32 0, v102
	s_xor_b32 s10, exec_lo, s10
; %bb.938:                              ;   in Loop: Header=BB4_128 Depth=2
	s_delay_alu instid0(VALU_DEP_2) | instskip(SKIP_2) | instid1(VALU_DEP_2)
	v_cmp_lt_u64_e32 vcc_lo, 0xffffff, v[100:101]
	v_add_nc_u32_e32 v3, 7, v103
	v_cndmask_b32_e64 v20, 0, 1, vcc_lo
	v_cndmask_b32_e32 v3, v102, v3, vcc_lo
	s_delay_alu instid0(VALU_DEP_2)
	v_lshrrev_b64 v[100:101], v20, v[100:101]
; %bb.939:                              ;   in Loop: Header=BB4_128 Depth=2
	s_and_not1_saveexec_b32 s10, s10
; %bb.940:                              ;   in Loop: Header=BB4_128 Depth=2
	s_delay_alu instid0(VALU_DEP_1)
	v_bfe_u32 v3, v100, 23, 1
; %bb.941:                              ;   in Loop: Header=BB4_128 Depth=2
	s_or_b32 exec_lo, exec_lo, s10
	s_delay_alu instid0(VALU_DEP_2) | instskip(NEXT) | instid1(VALU_DEP_2)
	v_lshrrev_b64 v[20:21], 20, v[100:101]
	v_cmp_gt_i32_e32 vcc_lo, 16, v3
	v_min_i32_e32 v100, 15, v3
	v_cmp_eq_u32_e64 s10, 0, v3
	s_delay_alu instid0(VALU_DEP_2) | instskip(SKIP_1) | instid1(VALU_DEP_2)
	v_dual_cndmask_b32 v21, 0, v21 :: v_dual_lshlrev_b32 v100, 3, v100
	v_cndmask_b32_e32 v20, 7, v20, vcc_lo
	v_and_b32_e32 v100, 0xf8, v100
	s_delay_alu instid0(VALU_DEP_2) | instskip(NEXT) | instid1(VALU_DEP_2)
	v_cmp_eq_u64_e32 vcc_lo, 0, v[20:21]
	v_and_or_b32 v3, v20, 7, v100
	s_and_b32 s10, s10, vcc_lo
	s_delay_alu instid0(VALU_DEP_1) | instid1(SALU_CYCLE_1)
	v_cndmask_b32_e64 v3, v3, 0, s10
	s_delay_alu instid0(VALU_DEP_1)
	v_or_b32_e32 v40, v3, v2
.LBB4_942:                              ;   in Loop: Header=BB4_128 Depth=2
	s_or_b32 exec_lo, exec_lo, s42
                                        ; implicit-def: $vgpr2
.LBB4_943:                              ;   in Loop: Header=BB4_128 Depth=2
	s_and_not1_saveexec_b32 s10, s41
; %bb.944:                              ;   in Loop: Header=BB4_128 Depth=2
	v_or_b32_e32 v40, 0x7e, v2
; %bb.945:                              ;   in Loop: Header=BB4_128 Depth=2
	s_or_b32 exec_lo, exec_lo, s10
                                        ; implicit-def: $vgpr2
.LBB4_946:                              ;   in Loop: Header=BB4_128 Depth=2
	s_and_not1_saveexec_b32 s10, s40
; %bb.947:                              ;   in Loop: Header=BB4_128 Depth=2
	v_or_b32_e32 v40, 0x7f, v2
; %bb.948:                              ;   in Loop: Header=BB4_128 Depth=2
	s_or_b32 exec_lo, exec_lo, s10
	v_dual_lshrrev_b32 v102, 16, v38 :: v_dual_mov_b32 v2, 0
	v_mov_b32_e32 v3, 0
	s_mov_b32 s10, exec_lo
	s_delay_alu instid0(VALU_DEP_2) | instskip(NEXT) | instid1(VALU_DEP_1)
	v_and_b32_e32 v100, 0xff, v102
	v_cmpx_ne_u16_e32 0, v100
	s_cbranch_execz .LBB4_956
; %bb.949:                              ;   in Loop: Header=BB4_128 Depth=2
	v_bfrev_b32_e32 v3, 1
	s_mov_b32 s40, exec_lo
	v_cmpx_ne_u16_e32 0x80, v100
	s_cbranch_execz .LBB4_955
; %bb.950:                              ;   in Loop: Header=BB4_128 Depth=2
	v_bfe_u32 v103, v38, 16, 7
	v_mov_b32_e32 v3, 0x7f800001
	s_mov_b32 s41, exec_lo
	s_delay_alu instid0(VALU_DEP_2)
	v_cmpx_ne_u32_e32 0x7f, v103
	s_cbranch_execz .LBB4_954
; %bb.951:                              ;   in Loop: Header=BB4_128 Depth=2
	v_dual_mov_b32 v101, v39 :: v_dual_bitop2_b32 v100, 7, v102 bitop3:0x40
	v_lshrrev_b32_e32 v3, 3, v103
	s_mov_b32 s42, exec_lo
	v_cmpx_gt_u32_e32 8, v103
; %bb.952:                              ;   in Loop: Header=BB4_128 Depth=2
	s_delay_alu instid0(VALU_DEP_3) | instskip(NEXT) | instid1(VALU_DEP_1)
	v_clz_i32_u32_e32 v3, v100
	v_min_u32_e32 v3, 32, v3
	s_delay_alu instid0(VALU_DEP_1) | instskip(NEXT) | instid1(VALU_DEP_1)
	v_subrev_nc_u32_e32 v20, 28, v3
	v_lshlrev_b64_e32 v[20:21], v20, v[100:101]
	s_delay_alu instid0(VALU_DEP_1)
	v_dual_sub_nc_u32 v3, 29, v3 :: v_dual_bitop2_b32 v100, 7, v20 bitop3:0x40
; %bb.953:                              ;   in Loop: Header=BB4_128 Depth=2
	s_or_b32 exec_lo, exec_lo, s42
	s_delay_alu instid0(VALU_DEP_1) | instskip(NEXT) | instid1(VALU_DEP_2)
	v_dual_lshlrev_b32 v20, 24, v102 :: v_dual_lshlrev_b32 v21, 20, v100
	v_lshl_add_u32 v3, v3, 23, 0x3c000000
	s_delay_alu instid0(VALU_DEP_2) | instskip(NEXT) | instid1(VALU_DEP_1)
	v_and_b32_e32 v20, 0x80000000, v20
	v_or3_b32 v3, v21, v20, v3
.LBB4_954:                              ;   in Loop: Header=BB4_128 Depth=2
	s_or_b32 exec_lo, exec_lo, s41
.LBB4_955:                              ;   in Loop: Header=BB4_128 Depth=2
	s_delay_alu instid0(SALU_CYCLE_1)
	s_or_b32 exec_lo, exec_lo, s40
.LBB4_956:                              ;   in Loop: Header=BB4_128 Depth=2
	s_delay_alu instid0(SALU_CYCLE_1) | instskip(SKIP_2) | instid1(VALU_DEP_1)
	s_or_b32 exec_lo, exec_lo, s10
	v_lshrrev_b32_e32 v100, 16, v14
	s_mov_b32 s10, exec_lo
	v_and_b32_e32 v101, 0xff, v100
	s_delay_alu instid0(VALU_DEP_1)
	v_cmpx_ne_u16_e32 0, v101
	s_cbranch_execz .LBB4_964
; %bb.957:                              ;   in Loop: Header=BB4_128 Depth=2
	v_bfrev_b32_e32 v2, 1
	s_mov_b32 s40, exec_lo
	v_cmpx_ne_u16_e32 0x80, v101
	s_cbranch_execz .LBB4_963
; %bb.958:                              ;   in Loop: Header=BB4_128 Depth=2
	v_bfe_u32 v102, v14, 16, 7
	v_mov_b32_e32 v2, 0x7f800001
	s_mov_b32 s41, exec_lo
	s_delay_alu instid0(VALU_DEP_2)
	v_cmpx_ne_u32_e32 0x7f, v102
	s_cbranch_execz .LBB4_962
; %bb.959:                              ;   in Loop: Header=BB4_128 Depth=2
	v_dual_mov_b32 v101, v39 :: v_dual_bitop2_b32 v100, 7, v100 bitop3:0x40
	v_lshrrev_b32_e32 v2, 3, v102
	s_mov_b32 s42, exec_lo
	v_cmpx_gt_u32_e32 8, v102
; %bb.960:                              ;   in Loop: Header=BB4_128 Depth=2
	s_delay_alu instid0(VALU_DEP_3) | instskip(NEXT) | instid1(VALU_DEP_1)
	v_clz_i32_u32_e32 v2, v100
	v_min_u32_e32 v2, 32, v2
	s_delay_alu instid0(VALU_DEP_1) | instskip(NEXT) | instid1(VALU_DEP_1)
	v_subrev_nc_u32_e32 v20, 28, v2
	v_lshlrev_b64_e32 v[20:21], v20, v[100:101]
	s_delay_alu instid0(VALU_DEP_1)
	v_dual_sub_nc_u32 v2, 29, v2 :: v_dual_bitop2_b32 v100, 7, v20 bitop3:0x40
; %bb.961:                              ;   in Loop: Header=BB4_128 Depth=2
	s_or_b32 exec_lo, exec_lo, s42
	s_delay_alu instid0(VALU_DEP_1) | instskip(NEXT) | instid1(VALU_DEP_2)
	v_dual_lshlrev_b32 v20, 8, v14 :: v_dual_lshlrev_b32 v21, 20, v100
	v_lshl_add_u32 v2, v2, 23, 0x3c000000
	s_delay_alu instid0(VALU_DEP_2) | instskip(NEXT) | instid1(VALU_DEP_1)
	v_and_b32_e32 v20, 0x80000000, v20
	v_or3_b32 v2, v21, v20, v2
.LBB4_962:                              ;   in Loop: Header=BB4_128 Depth=2
	s_or_b32 exec_lo, exec_lo, s41
.LBB4_963:                              ;   in Loop: Header=BB4_128 Depth=2
	s_delay_alu instid0(SALU_CYCLE_1)
	s_or_b32 exec_lo, exec_lo, s40
.LBB4_964:                              ;   in Loop: Header=BB4_128 Depth=2
	s_delay_alu instid0(SALU_CYCLE_1) | instskip(NEXT) | instid1(VALU_DEP_1)
	s_or_b32 exec_lo, exec_lo, s10
	v_add_f32_e32 v3, v3, v2
	v_mov_b32_e32 v21, v39
                                        ; implicit-def: $vgpr43
	s_mov_b32 s10, exec_lo
	s_delay_alu instid0(VALU_DEP_2) | instskip(SKIP_1) | instid1(VALU_DEP_2)
	v_and_b32_e32 v20, 0x7f800000, v3
	v_lshrrev_b32_e32 v2, 24, v3
	v_cmpx_ne_u64_e32 0x7f800000, v[20:21]
	s_xor_b32 s40, exec_lo, s10
	s_cbranch_execz .LBB4_978
; %bb.965:                              ;   in Loop: Header=BB4_128 Depth=2
	v_and_b32_e32 v20, 0x7fffffff, v3
	v_mov_b32_e32 v21, v39
	v_and_b32_e32 v2, 0x80, v2
                                        ; implicit-def: $vgpr43
	s_mov_b32 s10, exec_lo
	s_delay_alu instid0(VALU_DEP_2)
	v_cmpx_gt_u64_e32 0x43e00001, v[20:21]
	s_xor_b32 s41, exec_lo, s10
	s_cbranch_execz .LBB4_975
; %bb.966:                              ;   in Loop: Header=BB4_128 Depth=2
	v_mov_b32_e32 v43, 0
	s_mov_b32 s42, exec_lo
	v_cmpx_ne_u32_e32 0, v3
	s_cbranch_execz .LBB4_974
; %bb.967:                              ;   in Loop: Header=BB4_128 Depth=2
	v_bfe_u32 v113, v3, 23, 8
	v_and_b32_e32 v3, 0x7fffff, v3
	s_delay_alu instid0(VALU_DEP_2) | instskip(SKIP_1) | instid1(VALU_DEP_3)
	v_dual_mov_b32 v101, v39 :: v_dual_sub_nc_u32 v20, 0x79, v113
	v_cmp_gt_u32_e32 vcc_lo, 0x7a, v113
	v_or_b32_e32 v100, 0x800000, v3
	s_delay_alu instid0(VALU_DEP_3) | instskip(SKIP_1) | instid1(VALU_DEP_2)
	v_cndmask_b32_e32 v20, 0, v20, vcc_lo
	v_cmp_eq_u32_e32 vcc_lo, 0, v113
	v_cndmask_b32_e64 v43, v20, 0x78, vcc_lo
	s_delay_alu instid0(VALU_DEP_4) | instskip(NEXT) | instid1(VALU_DEP_2)
	v_cndmask_b32_e32 v100, v100, v3, vcc_lo
	v_dual_add_nc_u32 v20, 20, v43 :: v_dual_add_nc_u32 v102, 19, v43
	s_delay_alu instid0(VALU_DEP_1) | instskip(NEXT) | instid1(VALU_DEP_2)
	v_lshlrev_b64_e64 v[20:21], v20, -1
	v_lshlrev_b64_e64 v[102:103], v102, 1
	s_delay_alu instid0(VALU_DEP_2) | instskip(SKIP_1) | instid1(VALU_DEP_4)
	v_bfi_b32 v20, v20, 0, v100
	v_lshrrev_b64 v[100:101], v43, v[100:101]
	v_bfi_b32 v21, v21, 0, 0
	s_delay_alu instid0(VALU_DEP_1) | instskip(NEXT) | instid1(VALU_DEP_3)
	v_cmp_eq_u64_e64 s10, v[20:21], v[102:103]
	v_mov_b64_e32 v[102:103], v[100:101]
	s_and_saveexec_b32 s43, s10
; %bb.968:                              ;   in Loop: Header=BB4_128 Depth=2
	v_bfe_u32 v20, v100, 20, 1
	v_mov_b32_e32 v21, v39
	s_delay_alu instid0(VALU_DEP_1) | instskip(NEXT) | instid1(VALU_DEP_1)
	v_add_nc_u64_e32 v[20:21], v[100:101], v[20:21]
	v_add_nc_u64_e32 v[102:103], -1, v[20:21]
; %bb.969:                              ;   in Loop: Header=BB4_128 Depth=2
	s_or_b32 exec_lo, exec_lo, s43
	v_add_nc_u32_e32 v3, 0xffffff81, v113
	v_dual_mov_b32 v101, v39 :: v_dual_lshrrev_b32 v20, 23, v100
	s_mov_b32 s10, exec_lo
	s_delay_alu instid0(VALU_DEP_2) | instskip(NEXT) | instid1(VALU_DEP_1)
	v_cndmask_b32_e64 v3, v3, 0xffffff82, vcc_lo
	v_add3_u32 v103, v43, v3, v20
	v_and_b32_e32 v3, 0xfffff, v102
	s_delay_alu instid0(VALU_DEP_1) | instskip(NEXT) | instid1(VALU_DEP_1)
	v_dual_add_nc_u32 v102, 6, v103 :: v_dual_add_nc_u32 v100, v3, v100
                                        ; implicit-def: $vgpr3
	v_cmpx_ne_u32_e32 0, v102
	s_xor_b32 s10, exec_lo, s10
; %bb.970:                              ;   in Loop: Header=BB4_128 Depth=2
	s_delay_alu instid0(VALU_DEP_2) | instskip(SKIP_2) | instid1(VALU_DEP_2)
	v_cmp_lt_u64_e32 vcc_lo, 0xffffff, v[100:101]
	v_add_nc_u32_e32 v3, 7, v103
	v_cndmask_b32_e64 v20, 0, 1, vcc_lo
	v_cndmask_b32_e32 v3, v102, v3, vcc_lo
	s_delay_alu instid0(VALU_DEP_2)
	v_lshrrev_b64 v[100:101], v20, v[100:101]
; %bb.971:                              ;   in Loop: Header=BB4_128 Depth=2
	s_and_not1_saveexec_b32 s10, s10
; %bb.972:                              ;   in Loop: Header=BB4_128 Depth=2
	s_delay_alu instid0(VALU_DEP_1)
	v_bfe_u32 v3, v100, 23, 1
; %bb.973:                              ;   in Loop: Header=BB4_128 Depth=2
	s_or_b32 exec_lo, exec_lo, s10
	s_delay_alu instid0(VALU_DEP_2) | instskip(NEXT) | instid1(VALU_DEP_2)
	v_lshrrev_b64 v[20:21], 20, v[100:101]
	v_cmp_gt_i32_e32 vcc_lo, 16, v3
	v_min_i32_e32 v100, 15, v3
	v_cmp_eq_u32_e64 s10, 0, v3
	s_delay_alu instid0(VALU_DEP_2) | instskip(SKIP_1) | instid1(VALU_DEP_2)
	v_dual_cndmask_b32 v21, 0, v21 :: v_dual_lshlrev_b32 v100, 3, v100
	v_cndmask_b32_e32 v20, 7, v20, vcc_lo
	v_and_b32_e32 v100, 0xf8, v100
	s_delay_alu instid0(VALU_DEP_2) | instskip(NEXT) | instid1(VALU_DEP_2)
	v_cmp_eq_u64_e32 vcc_lo, 0, v[20:21]
	v_and_or_b32 v3, v20, 7, v100
	s_and_b32 s10, s10, vcc_lo
	s_delay_alu instid0(VALU_DEP_1) | instid1(SALU_CYCLE_1)
	v_cndmask_b32_e64 v3, v3, 0, s10
	s_delay_alu instid0(VALU_DEP_1)
	v_or_b32_e32 v43, v3, v2
.LBB4_974:                              ;   in Loop: Header=BB4_128 Depth=2
	s_or_b32 exec_lo, exec_lo, s42
                                        ; implicit-def: $vgpr2
.LBB4_975:                              ;   in Loop: Header=BB4_128 Depth=2
	s_and_not1_saveexec_b32 s10, s41
; %bb.976:                              ;   in Loop: Header=BB4_128 Depth=2
	v_or_b32_e32 v43, 0x7e, v2
; %bb.977:                              ;   in Loop: Header=BB4_128 Depth=2
	s_or_b32 exec_lo, exec_lo, s10
                                        ; implicit-def: $vgpr2
.LBB4_978:                              ;   in Loop: Header=BB4_128 Depth=2
	s_and_not1_saveexec_b32 s10, s40
; %bb.979:                              ;   in Loop: Header=BB4_128 Depth=2
	v_or_b32_e32 v43, 0x7f, v2
; %bb.980:                              ;   in Loop: Header=BB4_128 Depth=2
	s_or_b32 exec_lo, exec_lo, s10
	v_dual_mov_b32 v2, 0 :: v_dual_mov_b32 v3, 0
	s_mov_b32 s10, exec_lo
	v_cmpx_lt_u32_e32 0xffffff, v38
	s_cbranch_execz .LBB4_988
; %bb.981:                              ;   in Loop: Header=BB4_128 Depth=2
	v_lshrrev_b32_e32 v100, 24, v38
	v_bfrev_b32_e32 v3, 1
	s_mov_b32 s40, exec_lo
	s_delay_alu instid0(VALU_DEP_2)
	v_cmpx_ne_u32_e32 0x80, v100
	s_cbranch_execz .LBB4_987
; %bb.982:                              ;   in Loop: Header=BB4_128 Depth=2
	v_bfe_u32 v101, v38, 24, 7
	v_mov_b32_e32 v3, 0x7f800001
	s_mov_b32 s41, exec_lo
	s_delay_alu instid0(VALU_DEP_2)
	v_cmpx_ne_u32_e32 0x7f, v101
	s_cbranch_execz .LBB4_986
; %bb.983:                              ;   in Loop: Header=BB4_128 Depth=2
	v_dual_lshrrev_b32 v3, 3, v101 :: v_dual_bitop2_b32 v38, 7, v100 bitop3:0x40
	s_mov_b32 s42, exec_lo
	v_cmpx_gt_u32_e32 8, v101
; %bb.984:                              ;   in Loop: Header=BB4_128 Depth=2
	s_delay_alu instid0(VALU_DEP_2) | instskip(NEXT) | instid1(VALU_DEP_1)
	v_clz_i32_u32_e32 v3, v38
	v_min_u32_e32 v3, 32, v3
	s_delay_alu instid0(VALU_DEP_1) | instskip(NEXT) | instid1(VALU_DEP_1)
	v_subrev_nc_u32_e32 v20, 28, v3
	v_lshlrev_b64_e32 v[20:21], v20, v[38:39]
	s_delay_alu instid0(VALU_DEP_1)
	v_dual_sub_nc_u32 v3, 29, v3 :: v_dual_bitop2_b32 v38, 7, v20 bitop3:0x40
; %bb.985:                              ;   in Loop: Header=BB4_128 Depth=2
	s_or_b32 exec_lo, exec_lo, s42
	s_delay_alu instid0(VALU_DEP_1) | instskip(NEXT) | instid1(VALU_DEP_2)
	v_dual_lshlrev_b32 v20, 24, v100 :: v_dual_lshlrev_b32 v21, 20, v38
	v_lshl_add_u32 v3, v3, 23, 0x3c000000
	s_delay_alu instid0(VALU_DEP_2) | instskip(NEXT) | instid1(VALU_DEP_1)
	v_and_b32_e32 v20, 0x80000000, v20
	v_or3_b32 v3, v21, v20, v3
.LBB4_986:                              ;   in Loop: Header=BB4_128 Depth=2
	s_or_b32 exec_lo, exec_lo, s41
.LBB4_987:                              ;   in Loop: Header=BB4_128 Depth=2
	s_delay_alu instid0(SALU_CYCLE_1)
	s_or_b32 exec_lo, exec_lo, s40
.LBB4_988:                              ;   in Loop: Header=BB4_128 Depth=2
	s_delay_alu instid0(SALU_CYCLE_1) | instskip(NEXT) | instid1(SALU_CYCLE_1)
	s_or_b32 exec_lo, exec_lo, s10
	s_mov_b32 s10, exec_lo
	v_cmpx_lt_u32_e32 0xffffff, v14
	s_cbranch_execz .LBB4_996
; %bb.989:                              ;   in Loop: Header=BB4_128 Depth=2
	v_lshrrev_b32_e32 v100, 24, v14
	v_bfrev_b32_e32 v2, 1
	s_mov_b32 s40, exec_lo
	s_delay_alu instid0(VALU_DEP_2)
	v_cmpx_ne_u32_e32 0x80, v100
	s_cbranch_execz .LBB4_995
; %bb.990:                              ;   in Loop: Header=BB4_128 Depth=2
	v_bfe_u32 v101, v14, 24, 7
	v_mov_b32_e32 v2, 0x7f800001
	s_mov_b32 s41, exec_lo
	s_delay_alu instid0(VALU_DEP_2)
	v_cmpx_ne_u32_e32 0x7f, v101
	s_cbranch_execz .LBB4_994
; %bb.991:                              ;   in Loop: Header=BB4_128 Depth=2
	v_dual_lshrrev_b32 v2, 3, v101 :: v_dual_bitop2_b32 v38, 7, v100 bitop3:0x40
	s_mov_b32 s42, exec_lo
	v_cmpx_gt_u32_e32 8, v101
; %bb.992:                              ;   in Loop: Header=BB4_128 Depth=2
	s_delay_alu instid0(VALU_DEP_2) | instskip(NEXT) | instid1(VALU_DEP_1)
	v_clz_i32_u32_e32 v2, v38
	v_min_u32_e32 v2, 32, v2
	s_delay_alu instid0(VALU_DEP_1) | instskip(NEXT) | instid1(VALU_DEP_1)
	v_subrev_nc_u32_e32 v20, 28, v2
	v_lshlrev_b64_e32 v[20:21], v20, v[38:39]
	s_delay_alu instid0(VALU_DEP_1)
	v_dual_sub_nc_u32 v2, 29, v2 :: v_dual_bitop2_b32 v38, 7, v20 bitop3:0x40
; %bb.993:                              ;   in Loop: Header=BB4_128 Depth=2
	s_or_b32 exec_lo, exec_lo, s42
	s_delay_alu instid0(VALU_DEP_1) | instskip(NEXT) | instid1(VALU_DEP_2)
	v_dual_lshlrev_b32 v20, 24, v100 :: v_dual_lshlrev_b32 v21, 20, v38
	v_lshl_add_u32 v2, v2, 23, 0x3c000000
	s_delay_alu instid0(VALU_DEP_2) | instskip(NEXT) | instid1(VALU_DEP_1)
	v_and_b32_e32 v20, 0x80000000, v20
	v_or3_b32 v2, v21, v20, v2
.LBB4_994:                              ;   in Loop: Header=BB4_128 Depth=2
	s_or_b32 exec_lo, exec_lo, s41
.LBB4_995:                              ;   in Loop: Header=BB4_128 Depth=2
	s_delay_alu instid0(SALU_CYCLE_1)
	s_or_b32 exec_lo, exec_lo, s40
.LBB4_996:                              ;   in Loop: Header=BB4_128 Depth=2
	s_delay_alu instid0(SALU_CYCLE_1) | instskip(NEXT) | instid1(VALU_DEP_1)
	s_or_b32 exec_lo, exec_lo, s10
	v_add_f32_e32 v3, v3, v2
                                        ; implicit-def: $vgpr56
	s_mov_b32 s10, exec_lo
	s_delay_alu instid0(VALU_DEP_1) | instskip(SKIP_1) | instid1(VALU_DEP_2)
	v_and_b32_e32 v38, 0x7f800000, v3
	v_lshrrev_b32_e32 v2, 24, v3
	v_cmpx_ne_u64_e32 0x7f800000, v[38:39]
	s_xor_b32 s40, exec_lo, s10
	s_cbranch_execz .LBB4_1010
; %bb.997:                              ;   in Loop: Header=BB4_128 Depth=2
	v_and_b32_e32 v38, 0x7fffffff, v3
	v_and_b32_e32 v2, 0x80, v2
                                        ; implicit-def: $vgpr56
	s_mov_b32 s10, exec_lo
	s_delay_alu instid0(VALU_DEP_2)
	v_cmpx_gt_u64_e32 0x43e00001, v[38:39]
	s_xor_b32 s41, exec_lo, s10
	s_cbranch_execz .LBB4_1007
; %bb.998:                              ;   in Loop: Header=BB4_128 Depth=2
	v_mov_b32_e32 v56, 0
	s_mov_b32 s42, exec_lo
	v_cmpx_ne_u32_e32 0, v3
	s_cbranch_execz .LBB4_1006
; %bb.999:                              ;   in Loop: Header=BB4_128 Depth=2
	v_bfe_u32 v113, v3, 23, 8
	v_and_b32_e32 v3, 0x7fffff, v3
	s_delay_alu instid0(VALU_DEP_2) | instskip(SKIP_1) | instid1(VALU_DEP_3)
	v_sub_nc_u32_e32 v20, 0x79, v113
	v_cmp_gt_u32_e32 vcc_lo, 0x7a, v113
	v_or_b32_e32 v38, 0x800000, v3
	s_delay_alu instid0(VALU_DEP_3) | instskip(SKIP_1) | instid1(VALU_DEP_3)
	v_cndmask_b32_e32 v20, 0, v20, vcc_lo
	v_cmp_eq_u32_e32 vcc_lo, 0, v113
	v_cndmask_b32_e32 v38, v38, v3, vcc_lo
	s_delay_alu instid0(VALU_DEP_3) | instskip(NEXT) | instid1(VALU_DEP_1)
	v_cndmask_b32_e64 v56, v20, 0x78, vcc_lo
	v_dual_add_nc_u32 v20, 20, v56 :: v_dual_add_nc_u32 v100, 19, v56
	s_delay_alu instid0(VALU_DEP_1) | instskip(NEXT) | instid1(VALU_DEP_2)
	v_lshlrev_b64_e64 v[20:21], v20, -1
	v_lshlrev_b64_e64 v[102:103], v100, 1
	v_lshrrev_b64 v[100:101], v56, v[38:39]
	s_delay_alu instid0(VALU_DEP_3) | instskip(NEXT) | instid1(VALU_DEP_4)
	v_bfi_b32 v21, v21, 0, 0
	v_bfi_b32 v20, v20, 0, v38
	s_delay_alu instid0(VALU_DEP_1) | instskip(NEXT) | instid1(VALU_DEP_4)
	v_cmp_eq_u64_e64 s10, v[20:21], v[102:103]
	v_mov_b64_e32 v[102:103], v[100:101]
	s_and_saveexec_b32 s43, s10
; %bb.1000:                             ;   in Loop: Header=BB4_128 Depth=2
	v_bfe_u32 v38, v100, 20, 1
	s_delay_alu instid0(VALU_DEP_1) | instskip(NEXT) | instid1(VALU_DEP_1)
	v_add_nc_u64_e32 v[20:21], v[100:101], v[38:39]
	v_add_nc_u64_e32 v[102:103], -1, v[20:21]
; %bb.1001:                             ;   in Loop: Header=BB4_128 Depth=2
	s_or_b32 exec_lo, exec_lo, s43
	v_add_nc_u32_e32 v3, 0xffffff81, v113
	v_lshrrev_b32_e32 v20, 23, v100
	s_mov_b32 s10, exec_lo
	s_delay_alu instid0(VALU_DEP_2) | instskip(NEXT) | instid1(VALU_DEP_1)
	v_cndmask_b32_e64 v3, v3, 0xffffff82, vcc_lo
	v_add3_u32 v103, v56, v3, v20
	v_and_b32_e32 v3, 0xfffff, v102
	s_delay_alu instid0(VALU_DEP_1) | instskip(NEXT) | instid1(VALU_DEP_1)
	v_dual_add_nc_u32 v102, 6, v103 :: v_dual_add_nc_u32 v38, v3, v100
                                        ; implicit-def: $vgpr100_vgpr101
                                        ; implicit-def: $vgpr3
	v_cmpx_ne_u32_e32 0, v102
	s_xor_b32 s10, exec_lo, s10
; %bb.1002:                             ;   in Loop: Header=BB4_128 Depth=2
	s_delay_alu instid0(VALU_DEP_2) | instskip(SKIP_2) | instid1(VALU_DEP_2)
	v_cmp_lt_u64_e32 vcc_lo, 0xffffff, v[38:39]
	v_add_nc_u32_e32 v3, 7, v103
	v_cndmask_b32_e64 v20, 0, 1, vcc_lo
	v_cndmask_b32_e32 v3, v102, v3, vcc_lo
	s_delay_alu instid0(VALU_DEP_2)
	v_lshrrev_b64 v[100:101], v20, v[38:39]
; %bb.1003:                             ;   in Loop: Header=BB4_128 Depth=2
	s_and_not1_saveexec_b32 s10, s10
; %bb.1004:                             ;   in Loop: Header=BB4_128 Depth=2
	v_mov_b64_e32 v[100:101], v[38:39]
	v_bfe_u32 v3, v38, 23, 1
; %bb.1005:                             ;   in Loop: Header=BB4_128 Depth=2
	s_or_b32 exec_lo, exec_lo, s10
	s_delay_alu instid0(VALU_DEP_2) | instskip(NEXT) | instid1(VALU_DEP_2)
	v_lshrrev_b64 v[20:21], 20, v[100:101]
	v_cmp_gt_i32_e32 vcc_lo, 16, v3
	v_min_i32_e32 v38, 15, v3
	v_cmp_eq_u32_e64 s10, 0, v3
	s_delay_alu instid0(VALU_DEP_2) | instskip(SKIP_1) | instid1(VALU_DEP_2)
	v_dual_cndmask_b32 v21, 0, v21 :: v_dual_lshlrev_b32 v38, 3, v38
	v_cndmask_b32_e32 v20, 7, v20, vcc_lo
	v_and_b32_e32 v38, 0xf8, v38
	s_delay_alu instid0(VALU_DEP_2) | instskip(NEXT) | instid1(VALU_DEP_2)
	v_cmp_eq_u64_e32 vcc_lo, 0, v[20:21]
	v_and_or_b32 v3, v20, 7, v38
	s_and_b32 s10, s10, vcc_lo
	s_delay_alu instid0(VALU_DEP_1) | instid1(SALU_CYCLE_1)
	v_cndmask_b32_e64 v3, v3, 0, s10
	s_delay_alu instid0(VALU_DEP_1)
	v_or_b32_e32 v56, v3, v2
.LBB4_1006:                             ;   in Loop: Header=BB4_128 Depth=2
	s_or_b32 exec_lo, exec_lo, s42
                                        ; implicit-def: $vgpr2
.LBB4_1007:                             ;   in Loop: Header=BB4_128 Depth=2
	s_and_not1_saveexec_b32 s10, s41
; %bb.1008:                             ;   in Loop: Header=BB4_128 Depth=2
	v_or_b32_e32 v56, 0x7e, v2
; %bb.1009:                             ;   in Loop: Header=BB4_128 Depth=2
	s_or_b32 exec_lo, exec_lo, s10
                                        ; implicit-def: $vgpr2
.LBB4_1010:                             ;   in Loop: Header=BB4_128 Depth=2
	s_and_not1_saveexec_b32 s10, s40
; %bb.1011:                             ;   in Loop: Header=BB4_128 Depth=2
	v_or_b32_e32 v56, 0x7f, v2
; %bb.1012:                             ;   in Loop: Header=BB4_128 Depth=2
	s_or_b32 exec_lo, exec_lo, s10
	v_lshl_or_b32 v2, v77, 8, v62
	v_dual_lshlrev_b32 v3, 16, v92 :: v_dual_lshlrev_b32 v20, 24, v93
	v_mov_b32_e32 v100, 0
	s_mov_b32 s10, exec_lo
	s_delay_alu instid0(VALU_DEP_2)
	v_or3_b32 v38, v3, v20, v2
	v_mov_b32_e32 v3, 0
	v_cmpx_ne_u32_e32 0, v62
	s_cbranch_execz .LBB4_1018
; %bb.1013:                             ;   in Loop: Header=BB4_128 Depth=2
	v_bfrev_b32_e32 v3, 1
	s_mov_b32 s40, exec_lo
	v_cmpx_ne_u32_e32 0x80, v62
	s_cbranch_execz .LBB4_1017
; %bb.1014:                             ;   in Loop: Header=BB4_128 Depth=2
	v_and_b32_e32 v101, 0x7f, v62
	v_mov_b32_e32 v3, 0x7f800001
	s_mov_b32 s41, exec_lo
	s_delay_alu instid0(VALU_DEP_2)
	v_cmpx_ne_u32_e32 0x7f, v101
	s_cbranch_execz .LBB4_1016
; %bb.1015:                             ;   in Loop: Header=BB4_128 Depth=2
	v_dual_lshrrev_b32 v20, 3, v101 :: v_dual_bitop2_b32 v3, 7, v62 bitop3:0x40
	v_cmp_gt_u32_e32 vcc_lo, 8, v101
	s_delay_alu instid0(VALU_DEP_2) | instskip(NEXT) | instid1(VALU_DEP_1)
	v_clz_i32_u32_e32 v3, v3
	v_min_u32_e32 v3, 32, v3
	s_delay_alu instid0(VALU_DEP_1) | instskip(SKIP_1) | instid1(VALU_DEP_1)
	v_subrev_nc_u32_e32 v21, 28, v3
	v_sub_nc_u32_e32 v3, 29, v3
	v_dual_cndmask_b32 v3, v20, v3 :: v_dual_cndmask_b32 v20, 0, v21
	s_delay_alu instid0(VALU_DEP_1) | instskip(SKIP_1) | instid1(VALU_DEP_3)
	v_lshlrev_b64_e32 v[20:21], v20, v[38:39]
	v_lshlrev_b32_e32 v21, 24, v38
	v_lshl_add_u32 v3, v3, 23, 0x3c000000
	s_delay_alu instid0(VALU_DEP_2) | instskip(NEXT) | instid1(VALU_DEP_4)
	v_and_b32_e32 v21, 0x80000000, v21
	v_lshlrev_b32_e32 v20, 20, v20
	s_delay_alu instid0(VALU_DEP_1) | instskip(NEXT) | instid1(VALU_DEP_1)
	v_and_b32_e32 v20, 0x700000, v20
	v_or3_b32 v3, v20, v21, v3
.LBB4_1016:                             ;   in Loop: Header=BB4_128 Depth=2
	s_or_b32 exec_lo, exec_lo, s41
.LBB4_1017:                             ;   in Loop: Header=BB4_128 Depth=2
	s_delay_alu instid0(SALU_CYCLE_1)
	s_or_b32 exec_lo, exec_lo, s40
.LBB4_1018:                             ;   in Loop: Header=BB4_128 Depth=2
	s_delay_alu instid0(SALU_CYCLE_1) | instskip(SKIP_2) | instid1(VALU_DEP_1)
	s_or_b32 exec_lo, exec_lo, s10
	v_and_b32_e32 v101, 0xff, v15
	s_mov_b32 s10, exec_lo
	v_cmpx_ne_u16_e32 0, v101
	s_cbranch_execz .LBB4_1024
; %bb.1019:                             ;   in Loop: Header=BB4_128 Depth=2
	v_bfrev_b32_e32 v100, 1
	s_mov_b32 s40, exec_lo
	v_cmpx_ne_u16_e32 0x80, v101
	s_cbranch_execz .LBB4_1023
; %bb.1020:                             ;   in Loop: Header=BB4_128 Depth=2
	v_and_b32_e32 v101, 0x7f, v15
	v_mov_b32_e32 v100, 0x7f800001
	s_mov_b32 s41, exec_lo
	s_delay_alu instid0(VALU_DEP_2)
	v_cmpx_ne_u32_e32 0x7f, v101
	s_cbranch_execz .LBB4_1022
; %bb.1021:                             ;   in Loop: Header=BB4_128 Depth=2
	v_dual_lshrrev_b32 v100, 3, v101 :: v_dual_bitop2_b32 v20, 7, v15 bitop3:0x40
	v_cmp_gt_u32_e32 vcc_lo, 8, v101
	s_delay_alu instid0(VALU_DEP_2) | instskip(NEXT) | instid1(VALU_DEP_1)
	v_clz_i32_u32_e32 v20, v20
	v_min_u32_e32 v20, 32, v20
	s_delay_alu instid0(VALU_DEP_1) | instskip(SKIP_2) | instid1(VALU_DEP_2)
	v_sub_nc_u32_e32 v102, 29, v20
	v_subrev_nc_u32_e32 v101, 28, v20
	v_dual_mov_b32 v20, v15 :: v_dual_mov_b32 v21, v39
	v_dual_cndmask_b32 v102, v100, v102, vcc_lo :: v_dual_cndmask_b32 v100, 0, v101, vcc_lo
	s_delay_alu instid0(VALU_DEP_1) | instskip(SKIP_1) | instid1(VALU_DEP_1)
	v_lshlrev_b64_e32 v[100:101], v100, v[20:21]
	v_lshlrev_b32_e32 v20, 24, v20
	v_and_b32_e32 v20, 0x80000000, v20
	s_delay_alu instid0(VALU_DEP_3) | instskip(SKIP_1) | instid1(VALU_DEP_2)
	v_lshlrev_b32_e32 v21, 20, v100
	v_lshl_add_u32 v100, v102, 23, 0x3c000000
	v_and_b32_e32 v21, 0x700000, v21
	s_delay_alu instid0(VALU_DEP_1)
	v_or3_b32 v100, v21, v20, v100
.LBB4_1022:                             ;   in Loop: Header=BB4_128 Depth=2
	s_or_b32 exec_lo, exec_lo, s41
.LBB4_1023:                             ;   in Loop: Header=BB4_128 Depth=2
	s_delay_alu instid0(SALU_CYCLE_1)
	s_or_b32 exec_lo, exec_lo, s40
.LBB4_1024:                             ;   in Loop: Header=BB4_128 Depth=2
	s_delay_alu instid0(SALU_CYCLE_1) | instskip(NEXT) | instid1(VALU_DEP_1)
	s_or_b32 exec_lo, exec_lo, s10
	v_add_f32_e32 v100, v3, v100
	v_mov_b32_e32 v21, v39
                                        ; implicit-def: $vgpr62
	s_mov_b32 s10, exec_lo
	s_delay_alu instid0(VALU_DEP_2) | instskip(SKIP_1) | instid1(VALU_DEP_2)
	v_and_b32_e32 v20, 0x7f800000, v100
	v_lshrrev_b32_e32 v3, 24, v100
	v_cmpx_ne_u64_e32 0x7f800000, v[20:21]
	s_xor_b32 s40, exec_lo, s10
	s_cbranch_execz .LBB4_1038
; %bb.1025:                             ;   in Loop: Header=BB4_128 Depth=2
	v_and_b32_e32 v20, 0x7fffffff, v100
	v_mov_b32_e32 v21, v39
	v_and_b32_e32 v3, 0x80, v3
                                        ; implicit-def: $vgpr62
	s_mov_b32 s10, exec_lo
	s_delay_alu instid0(VALU_DEP_2)
	v_cmpx_gt_u64_e32 0x43e00001, v[20:21]
	s_xor_b32 s41, exec_lo, s10
	s_cbranch_execz .LBB4_1035
; %bb.1026:                             ;   in Loop: Header=BB4_128 Depth=2
	v_mov_b32_e32 v62, 0
	s_mov_b32 s42, exec_lo
	v_cmpx_ne_u32_e32 0, v100
	s_cbranch_execz .LBB4_1034
; %bb.1027:                             ;   in Loop: Header=BB4_128 Depth=2
	v_bfe_u32 v113, v100, 23, 8
	v_and_b32_e32 v100, 0x7fffff, v100
	s_delay_alu instid0(VALU_DEP_2) | instskip(SKIP_1) | instid1(VALU_DEP_3)
	v_sub_nc_u32_e32 v20, 0x79, v113
	v_cmp_gt_u32_e32 vcc_lo, 0x7a, v113
	v_or_b32_e32 v101, 0x800000, v100
	s_delay_alu instid0(VALU_DEP_3) | instskip(SKIP_1) | instid1(VALU_DEP_2)
	v_cndmask_b32_e32 v20, 0, v20, vcc_lo
	v_cmp_eq_u32_e32 vcc_lo, 0, v113
	v_cndmask_b32_e64 v62, v20, 0x78, vcc_lo
	s_delay_alu instid0(VALU_DEP_4) | instskip(NEXT) | instid1(VALU_DEP_2)
	v_dual_cndmask_b32 v100, v101, v100 :: v_dual_mov_b32 v101, v39
	v_dual_add_nc_u32 v20, 20, v62 :: v_dual_add_nc_u32 v102, 19, v62
	s_delay_alu instid0(VALU_DEP_1) | instskip(NEXT) | instid1(VALU_DEP_2)
	v_lshlrev_b64_e64 v[20:21], v20, -1
	v_lshlrev_b64_e64 v[102:103], v102, 1
	s_delay_alu instid0(VALU_DEP_2) | instskip(SKIP_1) | instid1(VALU_DEP_4)
	v_bfi_b32 v20, v20, 0, v100
	v_lshrrev_b64 v[100:101], v62, v[100:101]
	v_bfi_b32 v21, v21, 0, 0
	s_delay_alu instid0(VALU_DEP_1) | instskip(NEXT) | instid1(VALU_DEP_3)
	v_cmp_eq_u64_e64 s10, v[20:21], v[102:103]
	v_mov_b64_e32 v[102:103], v[100:101]
	s_and_saveexec_b32 s43, s10
; %bb.1028:                             ;   in Loop: Header=BB4_128 Depth=2
	v_bfe_u32 v20, v100, 20, 1
	v_mov_b32_e32 v21, v39
	s_delay_alu instid0(VALU_DEP_1) | instskip(NEXT) | instid1(VALU_DEP_1)
	v_add_nc_u64_e32 v[20:21], v[100:101], v[20:21]
	v_add_nc_u64_e32 v[102:103], -1, v[20:21]
; %bb.1029:                             ;   in Loop: Header=BB4_128 Depth=2
	s_or_b32 exec_lo, exec_lo, s43
	v_dual_mov_b32 v101, v39 :: v_dual_add_nc_u32 v20, 0xffffff81, v113
	v_lshrrev_b32_e32 v21, 23, v100
	s_mov_b32 s10, exec_lo
	s_delay_alu instid0(VALU_DEP_2) | instskip(NEXT) | instid1(VALU_DEP_1)
	v_cndmask_b32_e64 v20, v20, 0xffffff82, vcc_lo
	v_add3_u32 v103, v62, v20, v21
	v_and_b32_e32 v20, 0xfffff, v102
                                        ; implicit-def: $vgpr102
	s_delay_alu instid0(VALU_DEP_1) | instskip(NEXT) | instid1(VALU_DEP_1)
	v_dual_add_nc_u32 v113, 6, v103 :: v_dual_add_nc_u32 v100, v20, v100
	v_cmpx_ne_u32_e32 0, v113
	s_xor_b32 s10, exec_lo, s10
; %bb.1030:                             ;   in Loop: Header=BB4_128 Depth=2
	s_delay_alu instid0(VALU_DEP_2) | instskip(SKIP_1) | instid1(VALU_DEP_1)
	v_cmp_lt_u64_e32 vcc_lo, 0xffffff, v[100:101]
	v_add_nc_u32_e32 v20, 7, v103
	v_cndmask_b32_e32 v102, v113, v20, vcc_lo
	v_cndmask_b32_e64 v20, 0, 1, vcc_lo
	s_delay_alu instid0(VALU_DEP_1)
	v_lshrrev_b64 v[100:101], v20, v[100:101]
; %bb.1031:                             ;   in Loop: Header=BB4_128 Depth=2
	s_and_not1_saveexec_b32 s10, s10
; %bb.1032:                             ;   in Loop: Header=BB4_128 Depth=2
	s_delay_alu instid0(VALU_DEP_1)
	v_bfe_u32 v102, v100, 23, 1
; %bb.1033:                             ;   in Loop: Header=BB4_128 Depth=2
	s_or_b32 exec_lo, exec_lo, s10
	s_delay_alu instid0(VALU_DEP_2) | instskip(NEXT) | instid1(VALU_DEP_2)
	v_lshrrev_b64 v[20:21], 20, v[100:101]
	v_cmp_gt_i32_e32 vcc_lo, 16, v102
	v_min_i32_e32 v100, 15, v102
	v_cmp_eq_u32_e64 s10, 0, v102
	s_delay_alu instid0(VALU_DEP_2) | instskip(SKIP_1) | instid1(VALU_DEP_2)
	v_dual_cndmask_b32 v21, 0, v21 :: v_dual_lshlrev_b32 v100, 3, v100
	v_cndmask_b32_e32 v20, 7, v20, vcc_lo
	v_and_b32_e32 v100, 0xf8, v100
	s_delay_alu instid0(VALU_DEP_2) | instskip(NEXT) | instid1(VALU_DEP_2)
	v_cmp_eq_u64_e32 vcc_lo, 0, v[20:21]
	v_and_or_b32 v20, v20, 7, v100
	s_and_b32 s10, s10, vcc_lo
	s_delay_alu instid0(VALU_DEP_1) | instid1(SALU_CYCLE_1)
	v_cndmask_b32_e64 v20, v20, 0, s10
	s_delay_alu instid0(VALU_DEP_1)
	v_or_b32_e32 v62, v20, v3
.LBB4_1034:                             ;   in Loop: Header=BB4_128 Depth=2
	s_or_b32 exec_lo, exec_lo, s42
                                        ; implicit-def: $vgpr3
.LBB4_1035:                             ;   in Loop: Header=BB4_128 Depth=2
	s_and_not1_saveexec_b32 s10, s41
; %bb.1036:                             ;   in Loop: Header=BB4_128 Depth=2
	v_or_b32_e32 v62, 0x7e, v3
; %bb.1037:                             ;   in Loop: Header=BB4_128 Depth=2
	s_or_b32 exec_lo, exec_lo, s10
                                        ; implicit-def: $vgpr3
.LBB4_1038:                             ;   in Loop: Header=BB4_128 Depth=2
	s_and_not1_saveexec_b32 s10, s40
; %bb.1039:                             ;   in Loop: Header=BB4_128 Depth=2
	v_or_b32_e32 v62, 0x7f, v3
; %bb.1040:                             ;   in Loop: Header=BB4_128 Depth=2
	s_or_b32 exec_lo, exec_lo, s10
	v_lshrrev_b16 v100, 8, v2
	v_dual_mov_b32 v3, 0 :: v_dual_mov_b32 v102, 0
	s_mov_b32 s10, exec_lo
	s_delay_alu instid0(VALU_DEP_2)
	v_cmpx_ne_u16_e32 0, v100
	s_cbranch_execz .LBB4_1048
; %bb.1041:                             ;   in Loop: Header=BB4_128 Depth=2
	v_bfrev_b32_e32 v102, 1
	s_mov_b32 s40, exec_lo
	v_cmpx_ne_u16_e32 0x80, v100
	s_cbranch_execz .LBB4_1047
; %bb.1042:                             ;   in Loop: Header=BB4_128 Depth=2
	v_and_b32_e32 v100, 0xffff, v100
	v_mov_b32_e32 v102, 0x7f800001
	s_mov_b32 s41, exec_lo
	s_delay_alu instid0(VALU_DEP_2) | instskip(NEXT) | instid1(VALU_DEP_1)
	v_and_b32_e32 v103, 0x7f, v100
	v_cmpx_ne_u32_e32 0x7f, v103
	s_cbranch_execz .LBB4_1046
; %bb.1043:                             ;   in Loop: Header=BB4_128 Depth=2
	v_dual_mov_b32 v101, v39 :: v_dual_bitop2_b32 v100, 7, v100 bitop3:0x40
	v_lshrrev_b32_e32 v102, 3, v103
	s_mov_b32 s42, exec_lo
	v_cmpx_gt_u32_e32 8, v103
; %bb.1044:                             ;   in Loop: Header=BB4_128 Depth=2
	s_delay_alu instid0(VALU_DEP_3) | instskip(NEXT) | instid1(VALU_DEP_1)
	v_clz_i32_u32_e32 v20, v100
	v_min_u32_e32 v102, 32, v20
	s_delay_alu instid0(VALU_DEP_1) | instskip(NEXT) | instid1(VALU_DEP_1)
	v_subrev_nc_u32_e32 v20, 28, v102
	v_lshlrev_b64_e32 v[20:21], v20, v[100:101]
	s_delay_alu instid0(VALU_DEP_1)
	v_dual_sub_nc_u32 v102, 29, v102 :: v_dual_bitop2_b32 v100, 7, v20 bitop3:0x40
; %bb.1045:                             ;   in Loop: Header=BB4_128 Depth=2
	s_or_b32 exec_lo, exec_lo, s42
	s_delay_alu instid0(VALU_DEP_1) | instskip(NEXT) | instid1(VALU_DEP_2)
	v_dual_lshlrev_b32 v2, 16, v2 :: v_dual_lshlrev_b32 v20, 20, v100
	v_lshl_add_u32 v21, v102, 23, 0x3c000000
	s_delay_alu instid0(VALU_DEP_2) | instskip(NEXT) | instid1(VALU_DEP_1)
	v_and_b32_e32 v2, 0x80000000, v2
	v_or3_b32 v102, v20, v2, v21
.LBB4_1046:                             ;   in Loop: Header=BB4_128 Depth=2
	s_or_b32 exec_lo, exec_lo, s41
.LBB4_1047:                             ;   in Loop: Header=BB4_128 Depth=2
	s_delay_alu instid0(SALU_CYCLE_1)
	s_or_b32 exec_lo, exec_lo, s40
.LBB4_1048:                             ;   in Loop: Header=BB4_128 Depth=2
	s_delay_alu instid0(SALU_CYCLE_1) | instskip(SKIP_2) | instid1(VALU_DEP_1)
	s_or_b32 exec_lo, exec_lo, s10
	v_lshrrev_b16 v2, 8, v15
	s_mov_b32 s10, exec_lo
	v_cmpx_ne_u16_e32 0, v2
	s_cbranch_execz .LBB4_1056
; %bb.1049:                             ;   in Loop: Header=BB4_128 Depth=2
	v_bfrev_b32_e32 v3, 1
	s_mov_b32 s40, exec_lo
	v_cmpx_ne_u16_e32 0x80, v2
	s_cbranch_execz .LBB4_1055
; %bb.1050:                             ;   in Loop: Header=BB4_128 Depth=2
	v_and_b32_e32 v2, 0xffff, v2
	v_mov_b32_e32 v3, 0x7f800001
	s_mov_b32 s41, exec_lo
	s_delay_alu instid0(VALU_DEP_2) | instskip(NEXT) | instid1(VALU_DEP_1)
	v_and_b32_e32 v103, 0x7f, v2
	v_cmpx_ne_u32_e32 0x7f, v103
	s_cbranch_execz .LBB4_1054
; %bb.1051:                             ;   in Loop: Header=BB4_128 Depth=2
	v_dual_mov_b32 v101, v39 :: v_dual_bitop2_b32 v100, 7, v2 bitop3:0x40
	v_lshrrev_b32_e32 v2, 3, v103
	s_mov_b32 s42, exec_lo
	v_cmpx_gt_u32_e32 8, v103
; %bb.1052:                             ;   in Loop: Header=BB4_128 Depth=2
	s_delay_alu instid0(VALU_DEP_3) | instskip(NEXT) | instid1(VALU_DEP_1)
	v_clz_i32_u32_e32 v2, v100
	v_min_u32_e32 v2, 32, v2
	s_delay_alu instid0(VALU_DEP_1) | instskip(NEXT) | instid1(VALU_DEP_1)
	v_subrev_nc_u32_e32 v3, 28, v2
	v_lshlrev_b64_e32 v[20:21], v3, v[100:101]
	s_delay_alu instid0(VALU_DEP_1)
	v_dual_sub_nc_u32 v2, 29, v2 :: v_dual_bitop2_b32 v100, 7, v20 bitop3:0x40
; %bb.1053:                             ;   in Loop: Header=BB4_128 Depth=2
	s_or_b32 exec_lo, exec_lo, s42
	s_delay_alu instid0(VALU_DEP_1) | instskip(NEXT) | instid1(VALU_DEP_2)
	v_dual_lshlrev_b32 v3, 16, v15 :: v_dual_lshlrev_b32 v20, 20, v100
	v_lshl_add_u32 v2, v2, 23, 0x3c000000
	s_delay_alu instid0(VALU_DEP_2) | instskip(NEXT) | instid1(VALU_DEP_1)
	v_and_b32_e32 v3, 0x80000000, v3
	v_or3_b32 v3, v20, v3, v2
.LBB4_1054:                             ;   in Loop: Header=BB4_128 Depth=2
	s_or_b32 exec_lo, exec_lo, s41
.LBB4_1055:                             ;   in Loop: Header=BB4_128 Depth=2
	s_delay_alu instid0(SALU_CYCLE_1)
	s_or_b32 exec_lo, exec_lo, s40
.LBB4_1056:                             ;   in Loop: Header=BB4_128 Depth=2
	s_delay_alu instid0(SALU_CYCLE_1) | instskip(NEXT) | instid1(VALU_DEP_1)
	s_or_b32 exec_lo, exec_lo, s10
	v_dual_add_f32 v3, v102, v3 :: v_dual_mov_b32 v21, v39
                                        ; implicit-def: $vgpr77
	s_mov_b32 s10, exec_lo
	s_delay_alu instid0(VALU_DEP_1) | instskip(SKIP_1) | instid1(VALU_DEP_2)
	v_and_b32_e32 v20, 0x7f800000, v3
	v_lshrrev_b32_e32 v2, 24, v3
	v_cmpx_ne_u64_e32 0x7f800000, v[20:21]
	s_xor_b32 s40, exec_lo, s10
	s_cbranch_execz .LBB4_1070
; %bb.1057:                             ;   in Loop: Header=BB4_128 Depth=2
	v_and_b32_e32 v20, 0x7fffffff, v3
	v_mov_b32_e32 v21, v39
	v_and_b32_e32 v2, 0x80, v2
                                        ; implicit-def: $vgpr77
	s_mov_b32 s10, exec_lo
	s_delay_alu instid0(VALU_DEP_2)
	v_cmpx_gt_u64_e32 0x43e00001, v[20:21]
	s_xor_b32 s41, exec_lo, s10
	s_cbranch_execz .LBB4_1067
; %bb.1058:                             ;   in Loop: Header=BB4_128 Depth=2
	v_mov_b32_e32 v77, 0
	s_mov_b32 s42, exec_lo
	v_cmpx_ne_u32_e32 0, v3
	s_cbranch_execz .LBB4_1066
; %bb.1059:                             ;   in Loop: Header=BB4_128 Depth=2
	v_bfe_u32 v113, v3, 23, 8
	v_and_b32_e32 v3, 0x7fffff, v3
	s_delay_alu instid0(VALU_DEP_2) | instskip(SKIP_1) | instid1(VALU_DEP_3)
	v_dual_mov_b32 v101, v39 :: v_dual_sub_nc_u32 v20, 0x79, v113
	v_cmp_gt_u32_e32 vcc_lo, 0x7a, v113
	v_or_b32_e32 v100, 0x800000, v3
	s_delay_alu instid0(VALU_DEP_3) | instskip(SKIP_1) | instid1(VALU_DEP_2)
	v_cndmask_b32_e32 v20, 0, v20, vcc_lo
	v_cmp_eq_u32_e32 vcc_lo, 0, v113
	v_cndmask_b32_e64 v77, v20, 0x78, vcc_lo
	s_delay_alu instid0(VALU_DEP_1) | instskip(SKIP_1) | instid1(VALU_DEP_2)
	v_dual_cndmask_b32 v100, v100, v3, vcc_lo :: v_dual_add_nc_u32 v20, 20, v77
	v_add_nc_u32_e32 v102, 19, v77
	v_lshlrev_b64_e64 v[20:21], v20, -1
	s_delay_alu instid0(VALU_DEP_2) | instskip(NEXT) | instid1(VALU_DEP_2)
	v_lshlrev_b64_e64 v[102:103], v102, 1
	v_bfi_b32 v20, v20, 0, v100
	v_lshrrev_b64 v[100:101], v77, v[100:101]
	s_delay_alu instid0(VALU_DEP_4) | instskip(NEXT) | instid1(VALU_DEP_1)
	v_bfi_b32 v21, v21, 0, 0
	v_cmp_eq_u64_e64 s10, v[20:21], v[102:103]
	s_delay_alu instid0(VALU_DEP_3)
	v_mov_b64_e32 v[102:103], v[100:101]
	s_and_saveexec_b32 s43, s10
; %bb.1060:                             ;   in Loop: Header=BB4_128 Depth=2
	v_bfe_u32 v20, v100, 20, 1
	v_mov_b32_e32 v21, v39
	s_delay_alu instid0(VALU_DEP_1) | instskip(NEXT) | instid1(VALU_DEP_1)
	v_add_nc_u64_e32 v[20:21], v[100:101], v[20:21]
	v_add_nc_u64_e32 v[102:103], -1, v[20:21]
; %bb.1061:                             ;   in Loop: Header=BB4_128 Depth=2
	s_or_b32 exec_lo, exec_lo, s43
	v_add_nc_u32_e32 v3, 0xffffff81, v113
	v_dual_mov_b32 v101, v39 :: v_dual_lshrrev_b32 v20, 23, v100
	s_mov_b32 s10, exec_lo
	s_delay_alu instid0(VALU_DEP_2) | instskip(NEXT) | instid1(VALU_DEP_1)
	v_cndmask_b32_e64 v3, v3, 0xffffff82, vcc_lo
	v_add3_u32 v103, v77, v3, v20
	v_and_b32_e32 v3, 0xfffff, v102
	s_delay_alu instid0(VALU_DEP_1) | instskip(NEXT) | instid1(VALU_DEP_1)
	v_dual_add_nc_u32 v102, 6, v103 :: v_dual_add_nc_u32 v100, v3, v100
                                        ; implicit-def: $vgpr3
	v_cmpx_ne_u32_e32 0, v102
	s_xor_b32 s10, exec_lo, s10
; %bb.1062:                             ;   in Loop: Header=BB4_128 Depth=2
	s_delay_alu instid0(VALU_DEP_2) | instskip(SKIP_2) | instid1(VALU_DEP_2)
	v_cmp_lt_u64_e32 vcc_lo, 0xffffff, v[100:101]
	v_add_nc_u32_e32 v3, 7, v103
	v_cndmask_b32_e64 v20, 0, 1, vcc_lo
	v_cndmask_b32_e32 v3, v102, v3, vcc_lo
	s_delay_alu instid0(VALU_DEP_2)
	v_lshrrev_b64 v[100:101], v20, v[100:101]
; %bb.1063:                             ;   in Loop: Header=BB4_128 Depth=2
	s_and_not1_saveexec_b32 s10, s10
; %bb.1064:                             ;   in Loop: Header=BB4_128 Depth=2
	s_delay_alu instid0(VALU_DEP_1)
	v_bfe_u32 v3, v100, 23, 1
; %bb.1065:                             ;   in Loop: Header=BB4_128 Depth=2
	s_or_b32 exec_lo, exec_lo, s10
	s_delay_alu instid0(VALU_DEP_2) | instskip(NEXT) | instid1(VALU_DEP_2)
	v_lshrrev_b64 v[20:21], 20, v[100:101]
	v_cmp_gt_i32_e32 vcc_lo, 16, v3
	v_min_i32_e32 v100, 15, v3
	v_cmp_eq_u32_e64 s10, 0, v3
	s_delay_alu instid0(VALU_DEP_2) | instskip(SKIP_1) | instid1(VALU_DEP_2)
	v_dual_cndmask_b32 v21, 0, v21 :: v_dual_lshlrev_b32 v100, 3, v100
	v_cndmask_b32_e32 v20, 7, v20, vcc_lo
	v_and_b32_e32 v100, 0xf8, v100
	s_delay_alu instid0(VALU_DEP_2) | instskip(NEXT) | instid1(VALU_DEP_2)
	v_cmp_eq_u64_e32 vcc_lo, 0, v[20:21]
	v_and_or_b32 v3, v20, 7, v100
	s_and_b32 s10, s10, vcc_lo
	s_delay_alu instid0(VALU_DEP_1) | instid1(SALU_CYCLE_1)
	v_cndmask_b32_e64 v3, v3, 0, s10
	s_delay_alu instid0(VALU_DEP_1)
	v_or_b32_e32 v77, v3, v2
.LBB4_1066:                             ;   in Loop: Header=BB4_128 Depth=2
	s_or_b32 exec_lo, exec_lo, s42
                                        ; implicit-def: $vgpr2
.LBB4_1067:                             ;   in Loop: Header=BB4_128 Depth=2
	s_and_not1_saveexec_b32 s10, s41
; %bb.1068:                             ;   in Loop: Header=BB4_128 Depth=2
	v_or_b32_e32 v77, 0x7e, v2
; %bb.1069:                             ;   in Loop: Header=BB4_128 Depth=2
	s_or_b32 exec_lo, exec_lo, s10
                                        ; implicit-def: $vgpr2
.LBB4_1070:                             ;   in Loop: Header=BB4_128 Depth=2
	s_and_not1_saveexec_b32 s10, s40
; %bb.1071:                             ;   in Loop: Header=BB4_128 Depth=2
	v_or_b32_e32 v77, 0x7f, v2
; %bb.1072:                             ;   in Loop: Header=BB4_128 Depth=2
	s_or_b32 exec_lo, exec_lo, s10
	v_dual_lshrrev_b32 v102, 16, v38 :: v_dual_mov_b32 v2, 0
	v_mov_b32_e32 v3, 0
	s_mov_b32 s10, exec_lo
	s_delay_alu instid0(VALU_DEP_2) | instskip(NEXT) | instid1(VALU_DEP_1)
	v_and_b32_e32 v100, 0xff, v102
	v_cmpx_ne_u16_e32 0, v100
	s_cbranch_execz .LBB4_1080
; %bb.1073:                             ;   in Loop: Header=BB4_128 Depth=2
	v_bfrev_b32_e32 v3, 1
	s_mov_b32 s40, exec_lo
	v_cmpx_ne_u16_e32 0x80, v100
	s_cbranch_execz .LBB4_1079
; %bb.1074:                             ;   in Loop: Header=BB4_128 Depth=2
	v_bfe_u32 v103, v38, 16, 7
	v_mov_b32_e32 v3, 0x7f800001
	s_mov_b32 s41, exec_lo
	s_delay_alu instid0(VALU_DEP_2)
	v_cmpx_ne_u32_e32 0x7f, v103
	s_cbranch_execz .LBB4_1078
; %bb.1075:                             ;   in Loop: Header=BB4_128 Depth=2
	v_dual_mov_b32 v101, v39 :: v_dual_bitop2_b32 v100, 7, v102 bitop3:0x40
	v_lshrrev_b32_e32 v3, 3, v103
	s_mov_b32 s42, exec_lo
	v_cmpx_gt_u32_e32 8, v103
; %bb.1076:                             ;   in Loop: Header=BB4_128 Depth=2
	s_delay_alu instid0(VALU_DEP_3) | instskip(NEXT) | instid1(VALU_DEP_1)
	v_clz_i32_u32_e32 v3, v100
	v_min_u32_e32 v3, 32, v3
	s_delay_alu instid0(VALU_DEP_1) | instskip(NEXT) | instid1(VALU_DEP_1)
	v_subrev_nc_u32_e32 v20, 28, v3
	v_lshlrev_b64_e32 v[20:21], v20, v[100:101]
	s_delay_alu instid0(VALU_DEP_1)
	v_dual_sub_nc_u32 v3, 29, v3 :: v_dual_bitop2_b32 v100, 7, v20 bitop3:0x40
; %bb.1077:                             ;   in Loop: Header=BB4_128 Depth=2
	s_or_b32 exec_lo, exec_lo, s42
	s_delay_alu instid0(VALU_DEP_1) | instskip(NEXT) | instid1(VALU_DEP_2)
	v_dual_lshlrev_b32 v20, 24, v102 :: v_dual_lshlrev_b32 v21, 20, v100
	v_lshl_add_u32 v3, v3, 23, 0x3c000000
	s_delay_alu instid0(VALU_DEP_2) | instskip(NEXT) | instid1(VALU_DEP_1)
	v_and_b32_e32 v20, 0x80000000, v20
	v_or3_b32 v3, v21, v20, v3
.LBB4_1078:                             ;   in Loop: Header=BB4_128 Depth=2
	s_or_b32 exec_lo, exec_lo, s41
.LBB4_1079:                             ;   in Loop: Header=BB4_128 Depth=2
	s_delay_alu instid0(SALU_CYCLE_1)
	s_or_b32 exec_lo, exec_lo, s40
.LBB4_1080:                             ;   in Loop: Header=BB4_128 Depth=2
	s_delay_alu instid0(SALU_CYCLE_1) | instskip(SKIP_2) | instid1(VALU_DEP_1)
	s_or_b32 exec_lo, exec_lo, s10
	v_lshrrev_b32_e32 v100, 16, v15
	s_mov_b32 s10, exec_lo
	v_and_b32_e32 v101, 0xff, v100
	s_delay_alu instid0(VALU_DEP_1)
	v_cmpx_ne_u16_e32 0, v101
	s_cbranch_execz .LBB4_1088
; %bb.1081:                             ;   in Loop: Header=BB4_128 Depth=2
	v_bfrev_b32_e32 v2, 1
	s_mov_b32 s40, exec_lo
	v_cmpx_ne_u16_e32 0x80, v101
	s_cbranch_execz .LBB4_1087
; %bb.1082:                             ;   in Loop: Header=BB4_128 Depth=2
	v_bfe_u32 v102, v15, 16, 7
	v_mov_b32_e32 v2, 0x7f800001
	s_mov_b32 s41, exec_lo
	s_delay_alu instid0(VALU_DEP_2)
	v_cmpx_ne_u32_e32 0x7f, v102
	s_cbranch_execz .LBB4_1086
; %bb.1083:                             ;   in Loop: Header=BB4_128 Depth=2
	v_dual_mov_b32 v101, v39 :: v_dual_bitop2_b32 v100, 7, v100 bitop3:0x40
	v_lshrrev_b32_e32 v2, 3, v102
	s_mov_b32 s42, exec_lo
	v_cmpx_gt_u32_e32 8, v102
; %bb.1084:                             ;   in Loop: Header=BB4_128 Depth=2
	s_delay_alu instid0(VALU_DEP_3) | instskip(NEXT) | instid1(VALU_DEP_1)
	v_clz_i32_u32_e32 v2, v100
	v_min_u32_e32 v2, 32, v2
	s_delay_alu instid0(VALU_DEP_1) | instskip(NEXT) | instid1(VALU_DEP_1)
	v_subrev_nc_u32_e32 v20, 28, v2
	v_lshlrev_b64_e32 v[20:21], v20, v[100:101]
	s_delay_alu instid0(VALU_DEP_1)
	v_dual_sub_nc_u32 v2, 29, v2 :: v_dual_bitop2_b32 v100, 7, v20 bitop3:0x40
; %bb.1085:                             ;   in Loop: Header=BB4_128 Depth=2
	s_or_b32 exec_lo, exec_lo, s42
	s_delay_alu instid0(VALU_DEP_1) | instskip(NEXT) | instid1(VALU_DEP_2)
	v_dual_lshlrev_b32 v20, 8, v15 :: v_dual_lshlrev_b32 v21, 20, v100
	v_lshl_add_u32 v2, v2, 23, 0x3c000000
	s_delay_alu instid0(VALU_DEP_2) | instskip(NEXT) | instid1(VALU_DEP_1)
	v_and_b32_e32 v20, 0x80000000, v20
	v_or3_b32 v2, v21, v20, v2
.LBB4_1086:                             ;   in Loop: Header=BB4_128 Depth=2
	s_or_b32 exec_lo, exec_lo, s41
.LBB4_1087:                             ;   in Loop: Header=BB4_128 Depth=2
	s_delay_alu instid0(SALU_CYCLE_1)
	s_or_b32 exec_lo, exec_lo, s40
.LBB4_1088:                             ;   in Loop: Header=BB4_128 Depth=2
	s_delay_alu instid0(SALU_CYCLE_1) | instskip(NEXT) | instid1(VALU_DEP_1)
	s_or_b32 exec_lo, exec_lo, s10
	v_add_f32_e32 v3, v3, v2
	v_mov_b32_e32 v21, v39
                                        ; implicit-def: $vgpr102
	s_mov_b32 s10, exec_lo
	s_delay_alu instid0(VALU_DEP_2) | instskip(SKIP_1) | instid1(VALU_DEP_2)
	v_and_b32_e32 v20, 0x7f800000, v3
	v_lshrrev_b32_e32 v2, 24, v3
	v_cmpx_ne_u64_e32 0x7f800000, v[20:21]
	s_xor_b32 s40, exec_lo, s10
	s_cbranch_execz .LBB4_1102
; %bb.1089:                             ;   in Loop: Header=BB4_128 Depth=2
	v_and_b32_e32 v20, 0x7fffffff, v3
	v_mov_b32_e32 v21, v39
	v_and_b32_e32 v2, 0x80, v2
                                        ; implicit-def: $vgpr102
	s_mov_b32 s10, exec_lo
	s_delay_alu instid0(VALU_DEP_2)
	v_cmpx_gt_u64_e32 0x43e00001, v[20:21]
	s_xor_b32 s41, exec_lo, s10
	s_cbranch_execz .LBB4_1099
; %bb.1090:                             ;   in Loop: Header=BB4_128 Depth=2
	v_mov_b32_e32 v102, 0
	s_mov_b32 s42, exec_lo
	v_cmpx_ne_u32_e32 0, v3
	s_cbranch_execz .LBB4_1098
; %bb.1091:                             ;   in Loop: Header=BB4_128 Depth=2
	v_bfe_u32 v113, v3, 23, 8
	v_and_b32_e32 v3, 0x7fffff, v3
	s_delay_alu instid0(VALU_DEP_2) | instskip(SKIP_1) | instid1(VALU_DEP_3)
	v_dual_mov_b32 v101, v39 :: v_dual_sub_nc_u32 v20, 0x79, v113
	v_cmp_gt_u32_e32 vcc_lo, 0x7a, v113
	v_or_b32_e32 v100, 0x800000, v3
	s_delay_alu instid0(VALU_DEP_3) | instskip(SKIP_1) | instid1(VALU_DEP_3)
	v_cndmask_b32_e32 v20, 0, v20, vcc_lo
	v_cmp_eq_u32_e32 vcc_lo, 0, v113
	v_cndmask_b32_e32 v100, v100, v3, vcc_lo
	s_delay_alu instid0(VALU_DEP_3) | instskip(NEXT) | instid1(VALU_DEP_1)
	v_cndmask_b32_e64 v92, v20, 0x78, vcc_lo
	v_dual_add_nc_u32 v20, 20, v92 :: v_dual_add_nc_u32 v102, 19, v92
	s_delay_alu instid0(VALU_DEP_1) | instskip(NEXT) | instid1(VALU_DEP_2)
	v_lshlrev_b64_e64 v[20:21], v20, -1
	v_lshlrev_b64_e64 v[102:103], v102, 1
	s_delay_alu instid0(VALU_DEP_2) | instskip(SKIP_1) | instid1(VALU_DEP_4)
	v_bfi_b32 v20, v20, 0, v100
	v_lshrrev_b64 v[100:101], v92, v[100:101]
	v_bfi_b32 v21, v21, 0, 0
	s_delay_alu instid0(VALU_DEP_1) | instskip(NEXT) | instid1(VALU_DEP_3)
	v_cmp_eq_u64_e64 s10, v[20:21], v[102:103]
	v_mov_b64_e32 v[102:103], v[100:101]
	s_and_saveexec_b32 s43, s10
; %bb.1092:                             ;   in Loop: Header=BB4_128 Depth=2
	v_bfe_u32 v20, v100, 20, 1
	v_mov_b32_e32 v21, v39
	s_delay_alu instid0(VALU_DEP_1) | instskip(NEXT) | instid1(VALU_DEP_1)
	v_add_nc_u64_e32 v[20:21], v[100:101], v[20:21]
	v_add_nc_u64_e32 v[102:103], -1, v[20:21]
; %bb.1093:                             ;   in Loop: Header=BB4_128 Depth=2
	s_or_b32 exec_lo, exec_lo, s43
	v_add_nc_u32_e32 v3, 0xffffff81, v113
	v_dual_mov_b32 v101, v39 :: v_dual_lshrrev_b32 v20, 23, v100
	s_mov_b32 s10, exec_lo
	s_delay_alu instid0(VALU_DEP_2) | instskip(NEXT) | instid1(VALU_DEP_1)
	v_cndmask_b32_e64 v3, v3, 0xffffff82, vcc_lo
	v_add3_u32 v103, v92, v3, v20
	v_and_b32_e32 v3, 0xfffff, v102
	s_delay_alu instid0(VALU_DEP_1) | instskip(NEXT) | instid1(VALU_DEP_1)
	v_dual_add_nc_u32 v102, 6, v103 :: v_dual_add_nc_u32 v100, v3, v100
                                        ; implicit-def: $vgpr3
	v_cmpx_ne_u32_e32 0, v102
	s_xor_b32 s10, exec_lo, s10
; %bb.1094:                             ;   in Loop: Header=BB4_128 Depth=2
	s_delay_alu instid0(VALU_DEP_2) | instskip(SKIP_2) | instid1(VALU_DEP_2)
	v_cmp_lt_u64_e32 vcc_lo, 0xffffff, v[100:101]
	v_add_nc_u32_e32 v3, 7, v103
	v_cndmask_b32_e64 v20, 0, 1, vcc_lo
	v_cndmask_b32_e32 v3, v102, v3, vcc_lo
	s_delay_alu instid0(VALU_DEP_2)
	v_lshrrev_b64 v[100:101], v20, v[100:101]
; %bb.1095:                             ;   in Loop: Header=BB4_128 Depth=2
	s_and_not1_saveexec_b32 s10, s10
; %bb.1096:                             ;   in Loop: Header=BB4_128 Depth=2
	s_delay_alu instid0(VALU_DEP_1)
	v_bfe_u32 v3, v100, 23, 1
; %bb.1097:                             ;   in Loop: Header=BB4_128 Depth=2
	s_or_b32 exec_lo, exec_lo, s10
	s_delay_alu instid0(VALU_DEP_2) | instskip(NEXT) | instid1(VALU_DEP_2)
	v_lshrrev_b64 v[20:21], 20, v[100:101]
	v_cmp_gt_i32_e32 vcc_lo, 16, v3
	v_min_i32_e32 v100, 15, v3
	v_cmp_eq_u32_e64 s10, 0, v3
	s_delay_alu instid0(VALU_DEP_2) | instskip(SKIP_1) | instid1(VALU_DEP_2)
	v_dual_cndmask_b32 v21, 0, v21 :: v_dual_lshlrev_b32 v100, 3, v100
	v_cndmask_b32_e32 v20, 7, v20, vcc_lo
	v_and_b32_e32 v100, 0xf8, v100
	s_delay_alu instid0(VALU_DEP_2) | instskip(NEXT) | instid1(VALU_DEP_2)
	v_cmp_eq_u64_e32 vcc_lo, 0, v[20:21]
	v_and_or_b32 v3, v20, 7, v100
	s_and_b32 s10, s10, vcc_lo
	s_delay_alu instid0(VALU_DEP_1) | instid1(SALU_CYCLE_1)
	v_cndmask_b32_e64 v3, v3, 0, s10
	s_delay_alu instid0(VALU_DEP_1)
	v_or_b32_e32 v102, v3, v2
.LBB4_1098:                             ;   in Loop: Header=BB4_128 Depth=2
	s_or_b32 exec_lo, exec_lo, s42
                                        ; implicit-def: $vgpr2
.LBB4_1099:                             ;   in Loop: Header=BB4_128 Depth=2
	s_and_not1_saveexec_b32 s10, s41
; %bb.1100:                             ;   in Loop: Header=BB4_128 Depth=2
	v_or_b32_e32 v102, 0x7e, v2
; %bb.1101:                             ;   in Loop: Header=BB4_128 Depth=2
	s_or_b32 exec_lo, exec_lo, s10
                                        ; implicit-def: $vgpr2
.LBB4_1102:                             ;   in Loop: Header=BB4_128 Depth=2
	s_and_not1_saveexec_b32 s10, s40
; %bb.1103:                             ;   in Loop: Header=BB4_128 Depth=2
	v_or_b32_e32 v102, 0x7f, v2
; %bb.1104:                             ;   in Loop: Header=BB4_128 Depth=2
	s_or_b32 exec_lo, exec_lo, s10
	v_dual_mov_b32 v2, 0 :: v_dual_mov_b32 v3, 0
	s_mov_b32 s10, exec_lo
	v_cmpx_lt_u32_e32 0xffffff, v38
	s_cbranch_execz .LBB4_1112
; %bb.1105:                             ;   in Loop: Header=BB4_128 Depth=2
	v_lshrrev_b32_e32 v100, 24, v38
	v_bfrev_b32_e32 v3, 1
	s_mov_b32 s40, exec_lo
	s_delay_alu instid0(VALU_DEP_2)
	v_cmpx_ne_u32_e32 0x80, v100
	s_cbranch_execz .LBB4_1111
; %bb.1106:                             ;   in Loop: Header=BB4_128 Depth=2
	v_bfe_u32 v101, v38, 24, 7
	v_mov_b32_e32 v3, 0x7f800001
	s_mov_b32 s41, exec_lo
	s_delay_alu instid0(VALU_DEP_2)
	v_cmpx_ne_u32_e32 0x7f, v101
	s_cbranch_execz .LBB4_1110
; %bb.1107:                             ;   in Loop: Header=BB4_128 Depth=2
	v_dual_lshrrev_b32 v3, 3, v101 :: v_dual_bitop2_b32 v38, 7, v100 bitop3:0x40
	s_mov_b32 s42, exec_lo
	v_cmpx_gt_u32_e32 8, v101
; %bb.1108:                             ;   in Loop: Header=BB4_128 Depth=2
	s_delay_alu instid0(VALU_DEP_2) | instskip(NEXT) | instid1(VALU_DEP_1)
	v_clz_i32_u32_e32 v3, v38
	v_min_u32_e32 v3, 32, v3
	s_delay_alu instid0(VALU_DEP_1) | instskip(NEXT) | instid1(VALU_DEP_1)
	v_subrev_nc_u32_e32 v20, 28, v3
	v_lshlrev_b64_e32 v[20:21], v20, v[38:39]
	s_delay_alu instid0(VALU_DEP_1)
	v_dual_sub_nc_u32 v3, 29, v3 :: v_dual_bitop2_b32 v38, 7, v20 bitop3:0x40
; %bb.1109:                             ;   in Loop: Header=BB4_128 Depth=2
	s_or_b32 exec_lo, exec_lo, s42
	s_delay_alu instid0(VALU_DEP_1) | instskip(NEXT) | instid1(VALU_DEP_2)
	v_dual_lshlrev_b32 v20, 24, v100 :: v_dual_lshlrev_b32 v21, 20, v38
	v_lshl_add_u32 v3, v3, 23, 0x3c000000
	s_delay_alu instid0(VALU_DEP_2) | instskip(NEXT) | instid1(VALU_DEP_1)
	v_and_b32_e32 v20, 0x80000000, v20
	v_or3_b32 v3, v21, v20, v3
.LBB4_1110:                             ;   in Loop: Header=BB4_128 Depth=2
	s_or_b32 exec_lo, exec_lo, s41
.LBB4_1111:                             ;   in Loop: Header=BB4_128 Depth=2
	s_delay_alu instid0(SALU_CYCLE_1)
	s_or_b32 exec_lo, exec_lo, s40
.LBB4_1112:                             ;   in Loop: Header=BB4_128 Depth=2
	s_delay_alu instid0(SALU_CYCLE_1) | instskip(NEXT) | instid1(SALU_CYCLE_1)
	s_or_b32 exec_lo, exec_lo, s10
	s_mov_b32 s10, exec_lo
	v_cmpx_lt_u64_e64 s[14:15], v[14:15]
	s_cbranch_execz .LBB4_1120
; %bb.1113:                             ;   in Loop: Header=BB4_128 Depth=2
	v_lshrrev_b32_e32 v14, 24, v15
	v_bfrev_b32_e32 v2, 1
	s_mov_b32 s40, exec_lo
	s_delay_alu instid0(VALU_DEP_2)
	v_cmpx_ne_u32_e32 0x80, v14
	s_cbranch_execz .LBB4_1119
; %bb.1114:                             ;   in Loop: Header=BB4_128 Depth=2
	v_bfe_u32 v15, v15, 24, 7
	v_mov_b32_e32 v2, 0x7f800001
	s_mov_b32 s41, exec_lo
	s_delay_alu instid0(VALU_DEP_2)
	v_cmpx_ne_u32_e32 0x7f, v15
	s_cbranch_execz .LBB4_1118
; %bb.1115:                             ;   in Loop: Header=BB4_128 Depth=2
	v_dual_lshrrev_b32 v2, 3, v15 :: v_dual_bitop2_b32 v38, 7, v14 bitop3:0x40
	s_mov_b32 s42, exec_lo
	v_cmpx_gt_u32_e32 8, v15
; %bb.1116:                             ;   in Loop: Header=BB4_128 Depth=2
	s_delay_alu instid0(VALU_DEP_2) | instskip(NEXT) | instid1(VALU_DEP_1)
	v_clz_i32_u32_e32 v2, v38
	v_min_u32_e32 v2, 32, v2
	s_delay_alu instid0(VALU_DEP_1) | instskip(NEXT) | instid1(VALU_DEP_1)
	v_subrev_nc_u32_e32 v15, 28, v2
	v_lshlrev_b64_e32 v[20:21], v15, v[38:39]
	s_delay_alu instid0(VALU_DEP_1)
	v_dual_sub_nc_u32 v2, 29, v2 :: v_dual_bitop2_b32 v38, 7, v20 bitop3:0x40
; %bb.1117:                             ;   in Loop: Header=BB4_128 Depth=2
	s_or_b32 exec_lo, exec_lo, s42
	v_lshlrev_b32_e32 v14, 24, v14
	s_delay_alu instid0(VALU_DEP_2) | instskip(NEXT) | instid1(VALU_DEP_3)
	v_lshlrev_b32_e32 v15, 20, v38
	v_lshl_add_u32 v2, v2, 23, 0x3c000000
	s_delay_alu instid0(VALU_DEP_3) | instskip(NEXT) | instid1(VALU_DEP_1)
	v_and_b32_e32 v14, 0x80000000, v14
	v_or3_b32 v2, v15, v14, v2
.LBB4_1118:                             ;   in Loop: Header=BB4_128 Depth=2
	s_or_b32 exec_lo, exec_lo, s41
.LBB4_1119:                             ;   in Loop: Header=BB4_128 Depth=2
	s_delay_alu instid0(SALU_CYCLE_1)
	s_or_b32 exec_lo, exec_lo, s40
.LBB4_1120:                             ;   in Loop: Header=BB4_128 Depth=2
	s_delay_alu instid0(SALU_CYCLE_1) | instskip(NEXT) | instid1(VALU_DEP_1)
	s_or_b32 exec_lo, exec_lo, s10
	v_add_f32_e32 v3, v3, v2
                                        ; implicit-def: $vgpr103
	s_mov_b32 s10, exec_lo
	s_delay_alu instid0(VALU_DEP_1) | instskip(SKIP_1) | instid1(VALU_DEP_2)
	v_and_b32_e32 v38, 0x7f800000, v3
	v_lshrrev_b32_e32 v2, 24, v3
	v_cmpx_ne_u64_e32 0x7f800000, v[38:39]
	s_xor_b32 s40, exec_lo, s10
	s_cbranch_execz .LBB4_1134
; %bb.1121:                             ;   in Loop: Header=BB4_128 Depth=2
	v_and_b32_e32 v38, 0x7fffffff, v3
	v_and_b32_e32 v2, 0x80, v2
                                        ; implicit-def: $vgpr103
	s_mov_b32 s10, exec_lo
	s_delay_alu instid0(VALU_DEP_2)
	v_cmpx_gt_u64_e32 0x43e00001, v[38:39]
	s_xor_b32 s41, exec_lo, s10
	s_cbranch_execz .LBB4_1131
; %bb.1122:                             ;   in Loop: Header=BB4_128 Depth=2
	v_mov_b32_e32 v103, 0
	s_mov_b32 s42, exec_lo
	v_cmpx_ne_u32_e32 0, v3
	s_cbranch_execz .LBB4_1130
; %bb.1123:                             ;   in Loop: Header=BB4_128 Depth=2
	v_bfe_u32 v103, v3, 23, 8
	v_and_b32_e32 v3, 0x7fffff, v3
	s_delay_alu instid0(VALU_DEP_2) | instskip(SKIP_1) | instid1(VALU_DEP_3)
	v_sub_nc_u32_e32 v14, 0x79, v103
	v_cmp_gt_u32_e32 vcc_lo, 0x7a, v103
	v_or_b32_e32 v20, 0x800000, v3
	s_delay_alu instid0(VALU_DEP_3) | instskip(SKIP_1) | instid1(VALU_DEP_2)
	v_cndmask_b32_e32 v14, 0, v14, vcc_lo
	v_cmp_eq_u32_e32 vcc_lo, 0, v103
	v_cndmask_b32_e64 v113, v14, 0x78, vcc_lo
	s_delay_alu instid0(VALU_DEP_1) | instskip(SKIP_1) | instid1(VALU_DEP_2)
	v_dual_cndmask_b32 v38, v20, v3, vcc_lo :: v_dual_add_nc_u32 v14, 20, v113
	v_add_nc_u32_e32 v21, 19, v113
	v_lshlrev_b64_e64 v[14:15], v14, -1
	s_delay_alu instid0(VALU_DEP_2) | instskip(NEXT) | instid1(VALU_DEP_2)
	v_lshlrev_b64_e64 v[20:21], v21, 1
	v_bfi_b32 v101, v15, 0, 0
	s_delay_alu instid0(VALU_DEP_3) | instskip(SKIP_1) | instid1(VALU_DEP_2)
	v_bfi_b32 v100, v14, 0, v38
	v_lshrrev_b64 v[14:15], v113, v[38:39]
	v_cmp_eq_u64_e64 s10, v[100:101], v[20:21]
	s_delay_alu instid0(VALU_DEP_2)
	v_mov_b64_e32 v[100:101], v[14:15]
	s_and_saveexec_b32 s43, s10
; %bb.1124:                             ;   in Loop: Header=BB4_128 Depth=2
	v_bfe_u32 v38, v14, 20, 1
	s_delay_alu instid0(VALU_DEP_1) | instskip(NEXT) | instid1(VALU_DEP_1)
	v_add_nc_u64_e32 v[20:21], v[14:15], v[38:39]
	v_add_nc_u64_e32 v[100:101], -1, v[20:21]
; %bb.1125:                             ;   in Loop: Header=BB4_128 Depth=2
	s_or_b32 exec_lo, exec_lo, s43
	v_add_nc_u32_e32 v3, 0xffffff81, v103
	v_lshrrev_b32_e32 v15, 23, v14
	s_mov_b32 s10, exec_lo
	s_delay_alu instid0(VALU_DEP_2) | instskip(NEXT) | instid1(VALU_DEP_1)
	v_cndmask_b32_e64 v3, v3, 0xffffff82, vcc_lo
	v_add3_u32 v101, v113, v3, v15
	v_and_b32_e32 v3, 0xfffff, v100
	s_delay_alu instid0(VALU_DEP_1) | instskip(NEXT) | instid1(VALU_DEP_1)
	v_dual_add_nc_u32 v100, 6, v101 :: v_dual_add_nc_u32 v38, v3, v14
                                        ; implicit-def: $vgpr14_vgpr15
                                        ; implicit-def: $vgpr3
	v_cmpx_ne_u32_e32 0, v100
	s_xor_b32 s10, exec_lo, s10
; %bb.1126:                             ;   in Loop: Header=BB4_128 Depth=2
	s_delay_alu instid0(VALU_DEP_2) | instskip(SKIP_2) | instid1(VALU_DEP_2)
	v_cmp_lt_u64_e32 vcc_lo, 0xffffff, v[38:39]
	v_add_nc_u32_e32 v3, 7, v101
	v_cndmask_b32_e64 v14, 0, 1, vcc_lo
	v_cndmask_b32_e32 v3, v100, v3, vcc_lo
	s_delay_alu instid0(VALU_DEP_2)
	v_lshrrev_b64 v[14:15], v14, v[38:39]
; %bb.1127:                             ;   in Loop: Header=BB4_128 Depth=2
	s_and_not1_saveexec_b32 s10, s10
; %bb.1128:                             ;   in Loop: Header=BB4_128 Depth=2
	v_mov_b64_e32 v[14:15], v[38:39]
	v_bfe_u32 v3, v38, 23, 1
; %bb.1129:                             ;   in Loop: Header=BB4_128 Depth=2
	s_or_b32 exec_lo, exec_lo, s10
	s_delay_alu instid0(VALU_DEP_2) | instskip(NEXT) | instid1(VALU_DEP_2)
	v_lshrrev_b64 v[14:15], 20, v[14:15]
	v_cmp_gt_i32_e32 vcc_lo, 16, v3
	v_min_i32_e32 v20, 15, v3
	v_cmp_eq_u32_e64 s10, 0, v3
	s_delay_alu instid0(VALU_DEP_2) | instskip(SKIP_1) | instid1(VALU_DEP_2)
	v_dual_cndmask_b32 v14, 7, v14, vcc_lo :: v_dual_lshlrev_b32 v20, 3, v20
	v_cndmask_b32_e32 v15, 0, v15, vcc_lo
	v_and_b32_e32 v20, 0xf8, v20
	s_delay_alu instid0(VALU_DEP_2) | instskip(NEXT) | instid1(VALU_DEP_2)
	v_cmp_eq_u64_e32 vcc_lo, 0, v[14:15]
	v_and_or_b32 v3, v14, 7, v20
	s_and_b32 s10, s10, vcc_lo
	s_delay_alu instid0(VALU_DEP_1) | instid1(SALU_CYCLE_1)
	v_cndmask_b32_e64 v3, v3, 0, s10
	s_delay_alu instid0(VALU_DEP_1)
	v_or_b32_e32 v103, v3, v2
.LBB4_1130:                             ;   in Loop: Header=BB4_128 Depth=2
	s_or_b32 exec_lo, exec_lo, s42
                                        ; implicit-def: $vgpr2
.LBB4_1131:                             ;   in Loop: Header=BB4_128 Depth=2
	s_and_not1_saveexec_b32 s10, s41
; %bb.1132:                             ;   in Loop: Header=BB4_128 Depth=2
	v_or_b32_e32 v103, 0x7e, v2
; %bb.1133:                             ;   in Loop: Header=BB4_128 Depth=2
	s_or_b32 exec_lo, exec_lo, s10
                                        ; implicit-def: $vgpr2
.LBB4_1134:                             ;   in Loop: Header=BB4_128 Depth=2
	s_and_not1_saveexec_b32 s10, s40
; %bb.1135:                             ;   in Loop: Header=BB4_128 Depth=2
	v_or_b32_e32 v103, 0x7f, v2
; %bb.1136:                             ;   in Loop: Header=BB4_128 Depth=2
	s_or_b32 exec_lo, exec_lo, s10
	v_lshl_or_b32 v2, v88, 8, v75
	v_dual_lshlrev_b32 v14, 16, v90 :: v_dual_lshlrev_b32 v15, 24, v91
	v_mov_b32_e32 v3, 0
	s_mov_b32 s10, exec_lo
	s_delay_alu instid0(VALU_DEP_2)
	v_or3_b32 v38, v14, v15, v2
	v_mov_b32_e32 v14, 0
	v_cmpx_ne_u32_e32 0, v75
	s_cbranch_execz .LBB4_1142
; %bb.1137:                             ;   in Loop: Header=BB4_128 Depth=2
	v_bfrev_b32_e32 v14, 1
	s_mov_b32 s40, exec_lo
	v_cmpx_ne_u32_e32 0x80, v75
	s_cbranch_execz .LBB4_1141
; %bb.1138:                             ;   in Loop: Header=BB4_128 Depth=2
	v_and_b32_e32 v15, 0x7f, v75
	v_mov_b32_e32 v14, 0x7f800001
	s_mov_b32 s41, exec_lo
	s_delay_alu instid0(VALU_DEP_2)
	v_cmpx_ne_u32_e32 0x7f, v15
	s_cbranch_execz .LBB4_1140
; %bb.1139:                             ;   in Loop: Header=BB4_128 Depth=2
	v_and_b32_e32 v14, 7, v75
	v_cmp_gt_u32_e32 vcc_lo, 8, v15
	s_delay_alu instid0(VALU_DEP_2) | instskip(NEXT) | instid1(VALU_DEP_1)
	v_clz_i32_u32_e32 v14, v14
	v_min_u32_e32 v14, 32, v14
	v_lshrrev_b32_e32 v20, 3, v15
	s_delay_alu instid0(VALU_DEP_2) | instskip(SKIP_1) | instid1(VALU_DEP_1)
	v_subrev_nc_u32_e32 v21, 28, v14
	v_sub_nc_u32_e32 v14, 29, v14
	v_dual_cndmask_b32 v20, v20, v14, vcc_lo :: v_dual_cndmask_b32 v14, 0, v21, vcc_lo
	s_delay_alu instid0(VALU_DEP_1) | instskip(NEXT) | instid1(VALU_DEP_2)
	v_lshl_add_u32 v20, v20, 23, 0x3c000000
	v_lshlrev_b64_e32 v[14:15], v14, v[38:39]
	v_lshlrev_b32_e32 v15, 24, v38
	s_delay_alu instid0(VALU_DEP_1) | instskip(NEXT) | instid1(VALU_DEP_3)
	v_and_b32_e32 v15, 0x80000000, v15
	v_lshlrev_b32_e32 v14, 20, v14
	s_delay_alu instid0(VALU_DEP_1) | instskip(NEXT) | instid1(VALU_DEP_1)
	v_and_b32_e32 v14, 0x700000, v14
	v_or3_b32 v14, v14, v15, v20
.LBB4_1140:                             ;   in Loop: Header=BB4_128 Depth=2
	s_or_b32 exec_lo, exec_lo, s41
.LBB4_1141:                             ;   in Loop: Header=BB4_128 Depth=2
	s_delay_alu instid0(SALU_CYCLE_1)
	s_or_b32 exec_lo, exec_lo, s40
.LBB4_1142:                             ;   in Loop: Header=BB4_128 Depth=2
	s_delay_alu instid0(SALU_CYCLE_1) | instskip(SKIP_2) | instid1(VALU_DEP_1)
	s_or_b32 exec_lo, exec_lo, s10
	v_and_b32_e32 v15, 0xff, v16
	s_mov_b32 s10, exec_lo
	v_cmpx_ne_u16_e32 0, v15
	s_cbranch_execz .LBB4_1148
; %bb.1143:                             ;   in Loop: Header=BB4_128 Depth=2
	v_bfrev_b32_e32 v3, 1
	s_mov_b32 s40, exec_lo
	v_cmpx_ne_u16_e32 0x80, v15
	s_cbranch_execz .LBB4_1147
; %bb.1144:                             ;   in Loop: Header=BB4_128 Depth=2
	v_and_b32_e32 v15, 0x7f, v16
	v_mov_b32_e32 v3, 0x7f800001
	s_mov_b32 s41, exec_lo
	s_delay_alu instid0(VALU_DEP_2)
	v_cmpx_ne_u32_e32 0x7f, v15
	s_cbranch_execz .LBB4_1146
; %bb.1145:                             ;   in Loop: Header=BB4_128 Depth=2
	v_dual_lshrrev_b32 v20, 3, v15 :: v_dual_bitop2_b32 v3, 7, v16 bitop3:0x40
	v_cmp_gt_u32_e32 vcc_lo, 8, v15
	s_delay_alu instid0(VALU_DEP_2) | instskip(NEXT) | instid1(VALU_DEP_1)
	v_clz_i32_u32_e32 v3, v3
	v_min_u32_e32 v3, 32, v3
	s_delay_alu instid0(VALU_DEP_1) | instskip(NEXT) | instid1(VALU_DEP_1)
	v_subrev_nc_u32_e32 v21, 28, v3
	v_dual_sub_nc_u32 v3, 29, v3 :: v_dual_cndmask_b32 v15, 0, v21, vcc_lo
	s_delay_alu instid0(VALU_DEP_1) | instskip(NEXT) | instid1(VALU_DEP_2)
	v_cndmask_b32_e32 v3, v20, v3, vcc_lo
	v_lshlrev_b64_e32 v[20:21], v15, v[16:17]
	v_lshlrev_b32_e32 v15, 24, v16
	s_delay_alu instid0(VALU_DEP_3) | instskip(NEXT) | instid1(VALU_DEP_2)
	v_lshl_add_u32 v3, v3, 23, 0x3c000000
	v_and_b32_e32 v15, 0x80000000, v15
	s_delay_alu instid0(VALU_DEP_4) | instskip(NEXT) | instid1(VALU_DEP_1)
	v_lshlrev_b32_e32 v20, 20, v20
	v_and_b32_e32 v20, 0x700000, v20
	s_delay_alu instid0(VALU_DEP_1)
	v_or3_b32 v3, v20, v15, v3
.LBB4_1146:                             ;   in Loop: Header=BB4_128 Depth=2
	s_or_b32 exec_lo, exec_lo, s41
.LBB4_1147:                             ;   in Loop: Header=BB4_128 Depth=2
	s_delay_alu instid0(SALU_CYCLE_1)
	s_or_b32 exec_lo, exec_lo, s40
.LBB4_1148:                             ;   in Loop: Header=BB4_128 Depth=2
	s_delay_alu instid0(SALU_CYCLE_1) | instskip(NEXT) | instid1(VALU_DEP_1)
	s_or_b32 exec_lo, exec_lo, s10
	v_dual_add_f32 v14, v14, v3 :: v_dual_mov_b32 v21, v39
                                        ; implicit-def: $vgpr75
	s_mov_b32 s10, exec_lo
	s_delay_alu instid0(VALU_DEP_1) | instskip(SKIP_1) | instid1(VALU_DEP_2)
	v_and_b32_e32 v20, 0x7f800000, v14
	v_lshrrev_b32_e32 v3, 24, v14
	v_cmpx_ne_u64_e32 0x7f800000, v[20:21]
	s_xor_b32 s40, exec_lo, s10
	s_cbranch_execz .LBB4_1162
; %bb.1149:                             ;   in Loop: Header=BB4_128 Depth=2
	v_and_b32_e32 v20, 0x7fffffff, v14
	v_mov_b32_e32 v21, v39
	v_and_b32_e32 v3, 0x80, v3
                                        ; implicit-def: $vgpr75
	s_mov_b32 s10, exec_lo
	s_delay_alu instid0(VALU_DEP_2)
	v_cmpx_gt_u64_e32 0x43e00001, v[20:21]
	s_xor_b32 s41, exec_lo, s10
	s_cbranch_execz .LBB4_1159
; %bb.1150:                             ;   in Loop: Header=BB4_128 Depth=2
	v_mov_b32_e32 v75, 0
	s_mov_b32 s42, exec_lo
	v_cmpx_ne_u32_e32 0, v14
	s_cbranch_execz .LBB4_1158
; %bb.1151:                             ;   in Loop: Header=BB4_128 Depth=2
	v_bfe_u32 v113, v14, 23, 8
	v_and_b32_e32 v20, 0x7fffff, v14
	s_delay_alu instid0(VALU_DEP_2) | instskip(NEXT) | instid1(VALU_DEP_2)
	v_cmp_gt_u32_e32 vcc_lo, 0x7a, v113
	v_or_b32_e32 v21, 0x800000, v20
	v_sub_nc_u32_e32 v15, 0x79, v113
	s_delay_alu instid0(VALU_DEP_1) | instskip(SKIP_1) | instid1(VALU_DEP_4)
	v_cndmask_b32_e32 v15, 0, v15, vcc_lo
	v_cmp_eq_u32_e32 vcc_lo, 0, v113
	v_dual_cndmask_b32 v20, v21, v20 :: v_dual_mov_b32 v21, v39
	s_delay_alu instid0(VALU_DEP_3) | instskip(NEXT) | instid1(VALU_DEP_1)
	v_cndmask_b32_e64 v75, v15, 0x78, vcc_lo
	v_dual_add_nc_u32 v14, 20, v75 :: v_dual_add_nc_u32 v100, 19, v75
	s_delay_alu instid0(VALU_DEP_1) | instskip(NEXT) | instid1(VALU_DEP_2)
	v_lshlrev_b64_e64 v[14:15], v14, -1
	v_lshlrev_b64_e64 v[100:101], v100, 1
	s_delay_alu instid0(VALU_DEP_2) | instskip(NEXT) | instid1(VALU_DEP_3)
	v_bfi_b32 v91, v15, 0, 0
	v_bfi_b32 v90, v14, 0, v20
	v_lshrrev_b64 v[14:15], v75, v[20:21]
	s_delay_alu instid0(VALU_DEP_2) | instskip(NEXT) | instid1(VALU_DEP_2)
	v_cmp_eq_u64_e64 s10, v[90:91], v[100:101]
	v_mov_b64_e32 v[100:101], v[14:15]
	s_and_saveexec_b32 s43, s10
; %bb.1152:                             ;   in Loop: Header=BB4_128 Depth=2
	v_bfe_u32 v20, v14, 20, 1
	v_mov_b32_e32 v21, v39
	s_delay_alu instid0(VALU_DEP_1) | instskip(NEXT) | instid1(VALU_DEP_1)
	v_add_nc_u64_e32 v[20:21], v[14:15], v[20:21]
	v_add_nc_u64_e32 v[100:101], -1, v[20:21]
; %bb.1153:                             ;   in Loop: Header=BB4_128 Depth=2
	s_or_b32 exec_lo, exec_lo, s43
	v_add_nc_u32_e32 v15, 0xffffff81, v113
	v_lshrrev_b32_e32 v20, 23, v14
	s_mov_b32 s10, exec_lo
	s_delay_alu instid0(VALU_DEP_2) | instskip(NEXT) | instid1(VALU_DEP_1)
	v_cndmask_b32_e64 v15, v15, 0xffffff82, vcc_lo
	v_add3_u32 v101, v75, v15, v20
	v_and_b32_e32 v15, 0xfffff, v100
                                        ; implicit-def: $vgpr100
	s_delay_alu instid0(VALU_DEP_1) | instskip(SKIP_1) | instid1(VALU_DEP_2)
	v_dual_add_nc_u32 v113, 6, v101 :: v_dual_add_nc_u32 v14, v15, v14
	v_mov_b32_e32 v15, v39
	v_cmpx_ne_u32_e32 0, v113
	s_xor_b32 s10, exec_lo, s10
; %bb.1154:                             ;   in Loop: Header=BB4_128 Depth=2
	s_delay_alu instid0(VALU_DEP_2) | instskip(SKIP_1) | instid1(VALU_DEP_1)
	v_cmp_lt_u64_e32 vcc_lo, 0xffffff, v[14:15]
	v_add_nc_u32_e32 v20, 7, v101
	v_cndmask_b32_e32 v100, v113, v20, vcc_lo
	v_cndmask_b32_e64 v20, 0, 1, vcc_lo
	s_delay_alu instid0(VALU_DEP_1)
	v_lshrrev_b64 v[14:15], v20, v[14:15]
; %bb.1155:                             ;   in Loop: Header=BB4_128 Depth=2
	s_and_not1_saveexec_b32 s10, s10
; %bb.1156:                             ;   in Loop: Header=BB4_128 Depth=2
	s_delay_alu instid0(VALU_DEP_1)
	v_bfe_u32 v100, v14, 23, 1
; %bb.1157:                             ;   in Loop: Header=BB4_128 Depth=2
	s_or_b32 exec_lo, exec_lo, s10
	s_delay_alu instid0(VALU_DEP_2) | instskip(NEXT) | instid1(VALU_DEP_2)
	v_lshrrev_b64 v[14:15], 20, v[14:15]
	v_cmp_gt_i32_e32 vcc_lo, 16, v100
	v_min_i32_e32 v20, 15, v100
	v_cmp_eq_u32_e64 s10, 0, v100
	s_delay_alu instid0(VALU_DEP_2) | instskip(SKIP_1) | instid1(VALU_DEP_2)
	v_dual_cndmask_b32 v15, 0, v15 :: v_dual_lshlrev_b32 v20, 3, v20
	v_cndmask_b32_e32 v14, 7, v14, vcc_lo
	v_and_b32_e32 v20, 0xf8, v20
	s_delay_alu instid0(VALU_DEP_2) | instskip(NEXT) | instid1(VALU_DEP_2)
	v_cmp_eq_u64_e32 vcc_lo, 0, v[14:15]
	v_and_or_b32 v14, v14, 7, v20
	s_and_b32 s10, s10, vcc_lo
	s_delay_alu instid0(VALU_DEP_1) | instid1(SALU_CYCLE_1)
	v_cndmask_b32_e64 v14, v14, 0, s10
	s_delay_alu instid0(VALU_DEP_1)
	v_or_b32_e32 v75, v14, v3
.LBB4_1158:                             ;   in Loop: Header=BB4_128 Depth=2
	s_or_b32 exec_lo, exec_lo, s42
                                        ; implicit-def: $vgpr3
.LBB4_1159:                             ;   in Loop: Header=BB4_128 Depth=2
	s_and_not1_saveexec_b32 s10, s41
; %bb.1160:                             ;   in Loop: Header=BB4_128 Depth=2
	v_or_b32_e32 v75, 0x7e, v3
; %bb.1161:                             ;   in Loop: Header=BB4_128 Depth=2
	s_or_b32 exec_lo, exec_lo, s10
                                        ; implicit-def: $vgpr3
.LBB4_1162:                             ;   in Loop: Header=BB4_128 Depth=2
	s_and_not1_saveexec_b32 s10, s40
; %bb.1163:                             ;   in Loop: Header=BB4_128 Depth=2
	v_or_b32_e32 v75, 0x7f, v3
; %bb.1164:                             ;   in Loop: Header=BB4_128 Depth=2
	s_or_b32 exec_lo, exec_lo, s10
	v_lshrrev_b16 v14, 8, v2
	v_dual_mov_b32 v3, 0 :: v_dual_mov_b32 v100, 0
	s_mov_b32 s10, exec_lo
	s_delay_alu instid0(VALU_DEP_2)
	v_cmpx_ne_u16_e32 0, v14
	s_cbranch_execz .LBB4_1172
; %bb.1165:                             ;   in Loop: Header=BB4_128 Depth=2
	v_bfrev_b32_e32 v100, 1
	s_mov_b32 s40, exec_lo
	v_cmpx_ne_u16_e32 0x80, v14
	s_cbranch_execz .LBB4_1171
; %bb.1166:                             ;   in Loop: Header=BB4_128 Depth=2
	v_and_b32_e32 v14, 0xffff, v14
	v_mov_b32_e32 v100, 0x7f800001
	s_mov_b32 s41, exec_lo
	s_delay_alu instid0(VALU_DEP_2) | instskip(NEXT) | instid1(VALU_DEP_1)
	v_and_b32_e32 v101, 0x7f, v14
	v_cmpx_ne_u32_e32 0x7f, v101
	s_cbranch_execz .LBB4_1170
; %bb.1167:                             ;   in Loop: Header=BB4_128 Depth=2
	v_dual_mov_b32 v15, v39 :: v_dual_bitop2_b32 v14, 7, v14 bitop3:0x40
	v_lshrrev_b32_e32 v100, 3, v101
	s_mov_b32 s42, exec_lo
	v_cmpx_gt_u32_e32 8, v101
; %bb.1168:                             ;   in Loop: Header=BB4_128 Depth=2
	s_delay_alu instid0(VALU_DEP_3) | instskip(NEXT) | instid1(VALU_DEP_1)
	v_clz_i32_u32_e32 v20, v14
	v_min_u32_e32 v20, 32, v20
	s_delay_alu instid0(VALU_DEP_1) | instskip(NEXT) | instid1(VALU_DEP_1)
	v_subrev_nc_u32_e32 v21, 28, v20
	v_lshlrev_b64_e32 v[14:15], v21, v[14:15]
	s_delay_alu instid0(VALU_DEP_1)
	v_dual_sub_nc_u32 v100, 29, v20 :: v_dual_bitop2_b32 v14, 7, v14 bitop3:0x40
; %bb.1169:                             ;   in Loop: Header=BB4_128 Depth=2
	s_or_b32 exec_lo, exec_lo, s42
	v_lshlrev_b32_e32 v2, 16, v2
	s_delay_alu instid0(VALU_DEP_2) | instskip(NEXT) | instid1(VALU_DEP_3)
	v_lshlrev_b32_e32 v14, 20, v14
	v_lshl_add_u32 v15, v100, 23, 0x3c000000
	s_delay_alu instid0(VALU_DEP_3) | instskip(NEXT) | instid1(VALU_DEP_1)
	v_and_b32_e32 v2, 0x80000000, v2
	v_or3_b32 v100, v14, v2, v15
.LBB4_1170:                             ;   in Loop: Header=BB4_128 Depth=2
	s_or_b32 exec_lo, exec_lo, s41
.LBB4_1171:                             ;   in Loop: Header=BB4_128 Depth=2
	s_delay_alu instid0(SALU_CYCLE_1)
	s_or_b32 exec_lo, exec_lo, s40
.LBB4_1172:                             ;   in Loop: Header=BB4_128 Depth=2
	s_delay_alu instid0(SALU_CYCLE_1) | instskip(SKIP_2) | instid1(VALU_DEP_1)
	s_or_b32 exec_lo, exec_lo, s10
	v_lshrrev_b16 v2, 8, v16
	s_mov_b32 s10, exec_lo
	v_cmpx_ne_u16_e32 0, v2
	s_cbranch_execz .LBB4_1180
; %bb.1173:                             ;   in Loop: Header=BB4_128 Depth=2
	v_bfrev_b32_e32 v3, 1
	s_mov_b32 s40, exec_lo
	v_cmpx_ne_u16_e32 0x80, v2
	s_cbranch_execz .LBB4_1179
; %bb.1174:                             ;   in Loop: Header=BB4_128 Depth=2
	v_and_b32_e32 v2, 0xffff, v2
	v_mov_b32_e32 v3, 0x7f800001
	s_mov_b32 s41, exec_lo
	s_delay_alu instid0(VALU_DEP_2) | instskip(NEXT) | instid1(VALU_DEP_1)
	v_and_b32_e32 v101, 0x7f, v2
	v_cmpx_ne_u32_e32 0x7f, v101
	s_cbranch_execz .LBB4_1178
; %bb.1175:                             ;   in Loop: Header=BB4_128 Depth=2
	v_dual_mov_b32 v15, v39 :: v_dual_bitop2_b32 v14, 7, v2 bitop3:0x40
	v_lshrrev_b32_e32 v2, 3, v101
	s_mov_b32 s42, exec_lo
	v_cmpx_gt_u32_e32 8, v101
; %bb.1176:                             ;   in Loop: Header=BB4_128 Depth=2
	s_delay_alu instid0(VALU_DEP_3) | instskip(NEXT) | instid1(VALU_DEP_1)
	v_clz_i32_u32_e32 v2, v14
	v_min_u32_e32 v2, 32, v2
	s_delay_alu instid0(VALU_DEP_1) | instskip(SKIP_1) | instid1(VALU_DEP_2)
	v_subrev_nc_u32_e32 v3, 28, v2
	v_sub_nc_u32_e32 v2, 29, v2
	v_lshlrev_b64_e32 v[14:15], v3, v[14:15]
	s_delay_alu instid0(VALU_DEP_1)
	v_and_b32_e32 v14, 7, v14
; %bb.1177:                             ;   in Loop: Header=BB4_128 Depth=2
	s_or_b32 exec_lo, exec_lo, s42
	s_delay_alu instid0(VALU_DEP_1) | instskip(SKIP_1) | instid1(VALU_DEP_2)
	v_dual_lshlrev_b32 v3, 16, v16 :: v_dual_lshlrev_b32 v14, 20, v14
	v_lshl_add_u32 v2, v2, 23, 0x3c000000
	v_and_b32_e32 v3, 0x80000000, v3
	s_delay_alu instid0(VALU_DEP_1)
	v_or3_b32 v3, v14, v3, v2
.LBB4_1178:                             ;   in Loop: Header=BB4_128 Depth=2
	s_or_b32 exec_lo, exec_lo, s41
.LBB4_1179:                             ;   in Loop: Header=BB4_128 Depth=2
	s_delay_alu instid0(SALU_CYCLE_1)
	s_or_b32 exec_lo, exec_lo, s40
.LBB4_1180:                             ;   in Loop: Header=BB4_128 Depth=2
	s_delay_alu instid0(SALU_CYCLE_1) | instskip(NEXT) | instid1(VALU_DEP_1)
	s_or_b32 exec_lo, exec_lo, s10
	v_dual_add_f32 v3, v100, v3 :: v_dual_mov_b32 v15, v39
                                        ; implicit-def: $vgpr88
	s_mov_b32 s10, exec_lo
	s_delay_alu instid0(VALU_DEP_1) | instskip(SKIP_1) | instid1(VALU_DEP_2)
	v_and_b32_e32 v14, 0x7f800000, v3
	v_lshrrev_b32_e32 v2, 24, v3
	v_cmpx_ne_u64_e32 0x7f800000, v[14:15]
	s_xor_b32 s40, exec_lo, s10
	s_cbranch_execz .LBB4_1194
; %bb.1181:                             ;   in Loop: Header=BB4_128 Depth=2
	v_and_b32_e32 v14, 0x7fffffff, v3
	v_mov_b32_e32 v15, v39
	v_and_b32_e32 v2, 0x80, v2
                                        ; implicit-def: $vgpr88
	s_mov_b32 s10, exec_lo
	s_delay_alu instid0(VALU_DEP_2)
	v_cmpx_gt_u64_e32 0x43e00001, v[14:15]
	s_xor_b32 s41, exec_lo, s10
	s_cbranch_execz .LBB4_1191
; %bb.1182:                             ;   in Loop: Header=BB4_128 Depth=2
	v_mov_b32_e32 v88, 0
	s_mov_b32 s42, exec_lo
	v_cmpx_ne_u32_e32 0, v3
	s_cbranch_execz .LBB4_1190
; %bb.1183:                             ;   in Loop: Header=BB4_128 Depth=2
	v_bfe_u32 v113, v3, 23, 8
	v_and_b32_e32 v3, 0x7fffff, v3
	s_delay_alu instid0(VALU_DEP_2) | instskip(SKIP_1) | instid1(VALU_DEP_3)
	v_dual_mov_b32 v21, v39 :: v_dual_sub_nc_u32 v14, 0x79, v113
	v_cmp_gt_u32_e32 vcc_lo, 0x7a, v113
	v_or_b32_e32 v20, 0x800000, v3
	s_delay_alu instid0(VALU_DEP_3) | instskip(SKIP_1) | instid1(VALU_DEP_2)
	v_cndmask_b32_e32 v14, 0, v14, vcc_lo
	v_cmp_eq_u32_e32 vcc_lo, 0, v113
	v_cndmask_b32_e64 v88, v14, 0x78, vcc_lo
	s_delay_alu instid0(VALU_DEP_1) | instskip(SKIP_1) | instid1(VALU_DEP_2)
	v_dual_cndmask_b32 v20, v20, v3, vcc_lo :: v_dual_add_nc_u32 v14, 20, v88
	v_add_nc_u32_e32 v100, 19, v88
	v_lshlrev_b64_e64 v[14:15], v14, -1
	s_delay_alu instid0(VALU_DEP_2) | instskip(NEXT) | instid1(VALU_DEP_2)
	v_lshlrev_b64_e64 v[100:101], v100, 1
	v_bfi_b32 v91, v15, 0, 0
	s_delay_alu instid0(VALU_DEP_3) | instskip(SKIP_1) | instid1(VALU_DEP_2)
	v_bfi_b32 v90, v14, 0, v20
	v_lshrrev_b64 v[14:15], v88, v[20:21]
	v_cmp_eq_u64_e64 s10, v[90:91], v[100:101]
	s_delay_alu instid0(VALU_DEP_2)
	v_mov_b64_e32 v[100:101], v[14:15]
	s_and_saveexec_b32 s43, s10
; %bb.1184:                             ;   in Loop: Header=BB4_128 Depth=2
	v_bfe_u32 v20, v14, 20, 1
	v_mov_b32_e32 v21, v39
	s_delay_alu instid0(VALU_DEP_1) | instskip(NEXT) | instid1(VALU_DEP_1)
	v_add_nc_u64_e32 v[20:21], v[14:15], v[20:21]
	v_add_nc_u64_e32 v[100:101], -1, v[20:21]
; %bb.1185:                             ;   in Loop: Header=BB4_128 Depth=2
	s_or_b32 exec_lo, exec_lo, s43
	v_add_nc_u32_e32 v3, 0xffffff81, v113
	v_lshrrev_b32_e32 v15, 23, v14
	s_mov_b32 s10, exec_lo
	s_delay_alu instid0(VALU_DEP_2) | instskip(NEXT) | instid1(VALU_DEP_1)
	v_cndmask_b32_e64 v3, v3, 0xffffff82, vcc_lo
	v_add3_u32 v101, v88, v3, v15
	v_and_b32_e32 v3, 0xfffff, v100
	s_delay_alu instid0(VALU_DEP_2) | instskip(NEXT) | instid1(VALU_DEP_2)
	v_dual_mov_b32 v15, v39 :: v_dual_add_nc_u32 v100, 6, v101
	v_add_nc_u32_e32 v14, v3, v14
                                        ; implicit-def: $vgpr3
	s_delay_alu instid0(VALU_DEP_2)
	v_cmpx_ne_u32_e32 0, v100
	s_xor_b32 s10, exec_lo, s10
; %bb.1186:                             ;   in Loop: Header=BB4_128 Depth=2
	s_delay_alu instid0(VALU_DEP_2) | instskip(SKIP_2) | instid1(VALU_DEP_2)
	v_cmp_lt_u64_e32 vcc_lo, 0xffffff, v[14:15]
	v_add_nc_u32_e32 v3, 7, v101
	v_cndmask_b32_e64 v20, 0, 1, vcc_lo
	v_cndmask_b32_e32 v3, v100, v3, vcc_lo
	s_delay_alu instid0(VALU_DEP_2)
	v_lshrrev_b64 v[14:15], v20, v[14:15]
; %bb.1187:                             ;   in Loop: Header=BB4_128 Depth=2
	s_and_not1_saveexec_b32 s10, s10
; %bb.1188:                             ;   in Loop: Header=BB4_128 Depth=2
	s_delay_alu instid0(VALU_DEP_1)
	v_bfe_u32 v3, v14, 23, 1
; %bb.1189:                             ;   in Loop: Header=BB4_128 Depth=2
	s_or_b32 exec_lo, exec_lo, s10
	s_delay_alu instid0(VALU_DEP_2) | instskip(NEXT) | instid1(VALU_DEP_2)
	v_lshrrev_b64 v[14:15], 20, v[14:15]
	v_cmp_gt_i32_e32 vcc_lo, 16, v3
	v_min_i32_e32 v20, 15, v3
	v_cmp_eq_u32_e64 s10, 0, v3
	s_delay_alu instid0(VALU_DEP_2) | instskip(SKIP_1) | instid1(VALU_DEP_2)
	v_dual_cndmask_b32 v14, 7, v14, vcc_lo :: v_dual_lshlrev_b32 v20, 3, v20
	v_cndmask_b32_e32 v15, 0, v15, vcc_lo
	v_and_b32_e32 v20, 0xf8, v20
	s_delay_alu instid0(VALU_DEP_2) | instskip(NEXT) | instid1(VALU_DEP_2)
	v_cmp_eq_u64_e32 vcc_lo, 0, v[14:15]
	v_and_or_b32 v3, v14, 7, v20
	s_and_b32 s10, s10, vcc_lo
	s_delay_alu instid0(VALU_DEP_1) | instid1(SALU_CYCLE_1)
	v_cndmask_b32_e64 v3, v3, 0, s10
	s_delay_alu instid0(VALU_DEP_1)
	v_or_b32_e32 v88, v3, v2
.LBB4_1190:                             ;   in Loop: Header=BB4_128 Depth=2
	s_or_b32 exec_lo, exec_lo, s42
                                        ; implicit-def: $vgpr2
.LBB4_1191:                             ;   in Loop: Header=BB4_128 Depth=2
	s_and_not1_saveexec_b32 s10, s41
; %bb.1192:                             ;   in Loop: Header=BB4_128 Depth=2
	v_or_b32_e32 v88, 0x7e, v2
; %bb.1193:                             ;   in Loop: Header=BB4_128 Depth=2
	s_or_b32 exec_lo, exec_lo, s10
                                        ; implicit-def: $vgpr2
.LBB4_1194:                             ;   in Loop: Header=BB4_128 Depth=2
	s_and_not1_saveexec_b32 s10, s40
; %bb.1195:                             ;   in Loop: Header=BB4_128 Depth=2
	v_or_b32_e32 v88, 0x7f, v2
; %bb.1196:                             ;   in Loop: Header=BB4_128 Depth=2
	s_or_b32 exec_lo, exec_lo, s10
	v_dual_lshrrev_b32 v100, 16, v38 :: v_dual_mov_b32 v2, 0
	v_mov_b32_e32 v3, 0
	s_mov_b32 s10, exec_lo
	s_delay_alu instid0(VALU_DEP_2) | instskip(NEXT) | instid1(VALU_DEP_1)
	v_and_b32_e32 v14, 0xff, v100
	v_cmpx_ne_u16_e32 0, v14
	s_cbranch_execz .LBB4_1204
; %bb.1197:                             ;   in Loop: Header=BB4_128 Depth=2
	v_bfrev_b32_e32 v3, 1
	s_mov_b32 s40, exec_lo
	v_cmpx_ne_u16_e32 0x80, v14
	s_cbranch_execz .LBB4_1203
; %bb.1198:                             ;   in Loop: Header=BB4_128 Depth=2
	v_bfe_u32 v101, v38, 16, 7
	v_mov_b32_e32 v3, 0x7f800001
	s_mov_b32 s41, exec_lo
	s_delay_alu instid0(VALU_DEP_2)
	v_cmpx_ne_u32_e32 0x7f, v101
	s_cbranch_execz .LBB4_1202
; %bb.1199:                             ;   in Loop: Header=BB4_128 Depth=2
	v_dual_mov_b32 v15, v39 :: v_dual_bitop2_b32 v14, 7, v100 bitop3:0x40
	v_lshrrev_b32_e32 v3, 3, v101
	s_mov_b32 s42, exec_lo
	v_cmpx_gt_u32_e32 8, v101
; %bb.1200:                             ;   in Loop: Header=BB4_128 Depth=2
	s_delay_alu instid0(VALU_DEP_3) | instskip(NEXT) | instid1(VALU_DEP_1)
	v_clz_i32_u32_e32 v3, v14
	v_min_u32_e32 v3, 32, v3
	s_delay_alu instid0(VALU_DEP_1) | instskip(NEXT) | instid1(VALU_DEP_1)
	v_subrev_nc_u32_e32 v20, 28, v3
	v_lshlrev_b64_e32 v[14:15], v20, v[14:15]
	s_delay_alu instid0(VALU_DEP_1)
	v_dual_sub_nc_u32 v3, 29, v3 :: v_dual_bitop2_b32 v14, 7, v14 bitop3:0x40
; %bb.1201:                             ;   in Loop: Header=BB4_128 Depth=2
	s_or_b32 exec_lo, exec_lo, s42
	s_delay_alu instid0(VALU_DEP_1) | instskip(NEXT) | instid1(VALU_DEP_2)
	v_dual_lshlrev_b32 v15, 24, v100 :: v_dual_lshlrev_b32 v14, 20, v14
	v_lshl_add_u32 v3, v3, 23, 0x3c000000
	s_delay_alu instid0(VALU_DEP_2) | instskip(NEXT) | instid1(VALU_DEP_1)
	v_and_b32_e32 v15, 0x80000000, v15
	v_or3_b32 v3, v14, v15, v3
.LBB4_1202:                             ;   in Loop: Header=BB4_128 Depth=2
	s_or_b32 exec_lo, exec_lo, s41
.LBB4_1203:                             ;   in Loop: Header=BB4_128 Depth=2
	s_delay_alu instid0(SALU_CYCLE_1)
	s_or_b32 exec_lo, exec_lo, s40
.LBB4_1204:                             ;   in Loop: Header=BB4_128 Depth=2
	s_delay_alu instid0(SALU_CYCLE_1) | instskip(SKIP_2) | instid1(VALU_DEP_1)
	s_or_b32 exec_lo, exec_lo, s10
	v_lshrrev_b32_e32 v14, 16, v16
	s_mov_b32 s10, exec_lo
	v_and_b32_e32 v15, 0xff, v14
	s_delay_alu instid0(VALU_DEP_1)
	v_cmpx_ne_u16_e32 0, v15
	s_cbranch_execz .LBB4_1212
; %bb.1205:                             ;   in Loop: Header=BB4_128 Depth=2
	v_bfrev_b32_e32 v2, 1
	s_mov_b32 s40, exec_lo
	v_cmpx_ne_u16_e32 0x80, v15
	s_cbranch_execz .LBB4_1211
; %bb.1206:                             ;   in Loop: Header=BB4_128 Depth=2
	v_bfe_u32 v100, v16, 16, 7
	v_mov_b32_e32 v2, 0x7f800001
	s_mov_b32 s41, exec_lo
	s_delay_alu instid0(VALU_DEP_2)
	v_cmpx_ne_u32_e32 0x7f, v100
	s_cbranch_execz .LBB4_1210
; %bb.1207:                             ;   in Loop: Header=BB4_128 Depth=2
	v_dual_mov_b32 v15, v39 :: v_dual_bitop2_b32 v14, 7, v14 bitop3:0x40
	v_lshrrev_b32_e32 v2, 3, v100
	s_mov_b32 s42, exec_lo
	v_cmpx_gt_u32_e32 8, v100
; %bb.1208:                             ;   in Loop: Header=BB4_128 Depth=2
	s_delay_alu instid0(VALU_DEP_3) | instskip(NEXT) | instid1(VALU_DEP_1)
	v_clz_i32_u32_e32 v2, v14
	v_min_u32_e32 v2, 32, v2
	s_delay_alu instid0(VALU_DEP_1) | instskip(SKIP_1) | instid1(VALU_DEP_2)
	v_subrev_nc_u32_e32 v20, 28, v2
	v_sub_nc_u32_e32 v2, 29, v2
	v_lshlrev_b64_e32 v[14:15], v20, v[14:15]
	s_delay_alu instid0(VALU_DEP_1)
	v_and_b32_e32 v14, 7, v14
; %bb.1209:                             ;   in Loop: Header=BB4_128 Depth=2
	s_or_b32 exec_lo, exec_lo, s42
	s_delay_alu instid0(VALU_DEP_1) | instskip(SKIP_1) | instid1(VALU_DEP_2)
	v_dual_lshlrev_b32 v15, 8, v16 :: v_dual_lshlrev_b32 v14, 20, v14
	v_lshl_add_u32 v2, v2, 23, 0x3c000000
	v_and_b32_e32 v15, 0x80000000, v15
	s_delay_alu instid0(VALU_DEP_1)
	v_or3_b32 v2, v14, v15, v2
.LBB4_1210:                             ;   in Loop: Header=BB4_128 Depth=2
	s_or_b32 exec_lo, exec_lo, s41
.LBB4_1211:                             ;   in Loop: Header=BB4_128 Depth=2
	s_delay_alu instid0(SALU_CYCLE_1)
	s_or_b32 exec_lo, exec_lo, s40
.LBB4_1212:                             ;   in Loop: Header=BB4_128 Depth=2
	s_delay_alu instid0(SALU_CYCLE_1) | instskip(NEXT) | instid1(VALU_DEP_1)
	s_or_b32 exec_lo, exec_lo, s10
	v_add_f32_e32 v3, v3, v2
	v_mov_b32_e32 v15, v39
                                        ; implicit-def: $vgpr90
	s_mov_b32 s10, exec_lo
	s_delay_alu instid0(VALU_DEP_2) | instskip(SKIP_1) | instid1(VALU_DEP_2)
	v_and_b32_e32 v14, 0x7f800000, v3
	v_lshrrev_b32_e32 v2, 24, v3
	v_cmpx_ne_u64_e32 0x7f800000, v[14:15]
	s_xor_b32 s40, exec_lo, s10
	s_cbranch_execz .LBB4_1226
; %bb.1213:                             ;   in Loop: Header=BB4_128 Depth=2
	v_and_b32_e32 v14, 0x7fffffff, v3
	v_mov_b32_e32 v15, v39
	v_and_b32_e32 v2, 0x80, v2
                                        ; implicit-def: $vgpr90
	s_mov_b32 s10, exec_lo
	s_delay_alu instid0(VALU_DEP_2)
	v_cmpx_gt_u64_e32 0x43e00001, v[14:15]
	s_xor_b32 s41, exec_lo, s10
	s_cbranch_execz .LBB4_1223
; %bb.1214:                             ;   in Loop: Header=BB4_128 Depth=2
	v_mov_b32_e32 v90, 0
	s_mov_b32 s42, exec_lo
	v_cmpx_ne_u32_e32 0, v3
	s_cbranch_execz .LBB4_1222
; %bb.1215:                             ;   in Loop: Header=BB4_128 Depth=2
	v_bfe_u32 v113, v3, 23, 8
	v_and_b32_e32 v3, 0x7fffff, v3
	s_delay_alu instid0(VALU_DEP_2) | instskip(SKIP_1) | instid1(VALU_DEP_3)
	v_dual_mov_b32 v21, v39 :: v_dual_sub_nc_u32 v14, 0x79, v113
	v_cmp_gt_u32_e32 vcc_lo, 0x7a, v113
	v_or_b32_e32 v20, 0x800000, v3
	s_delay_alu instid0(VALU_DEP_3) | instskip(SKIP_1) | instid1(VALU_DEP_3)
	v_cndmask_b32_e32 v14, 0, v14, vcc_lo
	v_cmp_eq_u32_e32 vcc_lo, 0, v113
	v_cndmask_b32_e32 v20, v20, v3, vcc_lo
	s_delay_alu instid0(VALU_DEP_3) | instskip(NEXT) | instid1(VALU_DEP_1)
	v_cndmask_b32_e64 v90, v14, 0x78, vcc_lo
	v_dual_add_nc_u32 v14, 20, v90 :: v_dual_add_nc_u32 v100, 19, v90
	s_delay_alu instid0(VALU_DEP_1) | instskip(NEXT) | instid1(VALU_DEP_2)
	v_lshlrev_b64_e64 v[14:15], v14, -1
	v_lshlrev_b64_e64 v[100:101], v100, 1
	s_delay_alu instid0(VALU_DEP_2) | instskip(NEXT) | instid1(VALU_DEP_3)
	v_bfi_b32 v93, v15, 0, 0
	v_bfi_b32 v92, v14, 0, v20
	v_lshrrev_b64 v[14:15], v90, v[20:21]
	s_delay_alu instid0(VALU_DEP_2) | instskip(NEXT) | instid1(VALU_DEP_2)
	v_cmp_eq_u64_e64 s10, v[92:93], v[100:101]
	v_mov_b64_e32 v[100:101], v[14:15]
	s_and_saveexec_b32 s43, s10
; %bb.1216:                             ;   in Loop: Header=BB4_128 Depth=2
	v_bfe_u32 v20, v14, 20, 1
	v_mov_b32_e32 v21, v39
	s_delay_alu instid0(VALU_DEP_1) | instskip(NEXT) | instid1(VALU_DEP_1)
	v_add_nc_u64_e32 v[20:21], v[14:15], v[20:21]
	v_add_nc_u64_e32 v[100:101], -1, v[20:21]
; %bb.1217:                             ;   in Loop: Header=BB4_128 Depth=2
	s_or_b32 exec_lo, exec_lo, s43
	v_add_nc_u32_e32 v3, 0xffffff81, v113
	v_lshrrev_b32_e32 v15, 23, v14
	s_mov_b32 s10, exec_lo
	s_delay_alu instid0(VALU_DEP_2) | instskip(NEXT) | instid1(VALU_DEP_1)
	v_cndmask_b32_e64 v3, v3, 0xffffff82, vcc_lo
	v_add3_u32 v101, v90, v3, v15
	v_and_b32_e32 v3, 0xfffff, v100
	s_delay_alu instid0(VALU_DEP_2) | instskip(NEXT) | instid1(VALU_DEP_2)
	v_dual_mov_b32 v15, v39 :: v_dual_add_nc_u32 v100, 6, v101
	v_add_nc_u32_e32 v14, v3, v14
                                        ; implicit-def: $vgpr3
	s_delay_alu instid0(VALU_DEP_2)
	v_cmpx_ne_u32_e32 0, v100
	s_xor_b32 s10, exec_lo, s10
; %bb.1218:                             ;   in Loop: Header=BB4_128 Depth=2
	s_delay_alu instid0(VALU_DEP_2) | instskip(SKIP_2) | instid1(VALU_DEP_2)
	v_cmp_lt_u64_e32 vcc_lo, 0xffffff, v[14:15]
	v_add_nc_u32_e32 v3, 7, v101
	v_cndmask_b32_e64 v20, 0, 1, vcc_lo
	v_cndmask_b32_e32 v3, v100, v3, vcc_lo
	s_delay_alu instid0(VALU_DEP_2)
	v_lshrrev_b64 v[14:15], v20, v[14:15]
; %bb.1219:                             ;   in Loop: Header=BB4_128 Depth=2
	s_and_not1_saveexec_b32 s10, s10
; %bb.1220:                             ;   in Loop: Header=BB4_128 Depth=2
	s_delay_alu instid0(VALU_DEP_1)
	v_bfe_u32 v3, v14, 23, 1
; %bb.1221:                             ;   in Loop: Header=BB4_128 Depth=2
	s_or_b32 exec_lo, exec_lo, s10
	s_delay_alu instid0(VALU_DEP_2) | instskip(NEXT) | instid1(VALU_DEP_2)
	v_lshrrev_b64 v[14:15], 20, v[14:15]
	v_cmp_gt_i32_e32 vcc_lo, 16, v3
	v_min_i32_e32 v20, 15, v3
	v_cmp_eq_u32_e64 s10, 0, v3
	s_delay_alu instid0(VALU_DEP_2) | instskip(SKIP_1) | instid1(VALU_DEP_2)
	v_dual_cndmask_b32 v14, 7, v14, vcc_lo :: v_dual_lshlrev_b32 v20, 3, v20
	v_cndmask_b32_e32 v15, 0, v15, vcc_lo
	v_and_b32_e32 v20, 0xf8, v20
	s_delay_alu instid0(VALU_DEP_2) | instskip(NEXT) | instid1(VALU_DEP_2)
	v_cmp_eq_u64_e32 vcc_lo, 0, v[14:15]
	v_and_or_b32 v3, v14, 7, v20
	s_and_b32 s10, s10, vcc_lo
	s_delay_alu instid0(VALU_DEP_1) | instid1(SALU_CYCLE_1)
	v_cndmask_b32_e64 v3, v3, 0, s10
	s_delay_alu instid0(VALU_DEP_1)
	v_or_b32_e32 v90, v3, v2
.LBB4_1222:                             ;   in Loop: Header=BB4_128 Depth=2
	s_or_b32 exec_lo, exec_lo, s42
                                        ; implicit-def: $vgpr2
.LBB4_1223:                             ;   in Loop: Header=BB4_128 Depth=2
	s_and_not1_saveexec_b32 s10, s41
; %bb.1224:                             ;   in Loop: Header=BB4_128 Depth=2
	v_or_b32_e32 v90, 0x7e, v2
; %bb.1225:                             ;   in Loop: Header=BB4_128 Depth=2
	s_or_b32 exec_lo, exec_lo, s10
                                        ; implicit-def: $vgpr2
.LBB4_1226:                             ;   in Loop: Header=BB4_128 Depth=2
	s_and_not1_saveexec_b32 s10, s40
; %bb.1227:                             ;   in Loop: Header=BB4_128 Depth=2
	v_or_b32_e32 v90, 0x7f, v2
; %bb.1228:                             ;   in Loop: Header=BB4_128 Depth=2
	s_or_b32 exec_lo, exec_lo, s10
	v_dual_mov_b32 v2, 0 :: v_dual_mov_b32 v3, 0
	s_mov_b32 s10, exec_lo
	v_cmpx_lt_u32_e32 0xffffff, v38
	s_cbranch_execz .LBB4_1236
; %bb.1229:                             ;   in Loop: Header=BB4_128 Depth=2
	v_lshrrev_b32_e32 v14, 24, v38
	v_bfrev_b32_e32 v3, 1
	s_mov_b32 s40, exec_lo
	s_delay_alu instid0(VALU_DEP_2)
	v_cmpx_ne_u32_e32 0x80, v14
	s_cbranch_execz .LBB4_1235
; %bb.1230:                             ;   in Loop: Header=BB4_128 Depth=2
	v_bfe_u32 v15, v38, 24, 7
	v_mov_b32_e32 v3, 0x7f800001
	s_mov_b32 s41, exec_lo
	s_delay_alu instid0(VALU_DEP_2)
	v_cmpx_ne_u32_e32 0x7f, v15
	s_cbranch_execz .LBB4_1234
; %bb.1231:                             ;   in Loop: Header=BB4_128 Depth=2
	v_dual_lshrrev_b32 v3, 3, v15 :: v_dual_bitop2_b32 v38, 7, v14 bitop3:0x40
	s_mov_b32 s42, exec_lo
	v_cmpx_gt_u32_e32 8, v15
; %bb.1232:                             ;   in Loop: Header=BB4_128 Depth=2
	s_delay_alu instid0(VALU_DEP_2) | instskip(NEXT) | instid1(VALU_DEP_1)
	v_clz_i32_u32_e32 v3, v38
	v_min_u32_e32 v3, 32, v3
	s_delay_alu instid0(VALU_DEP_1) | instskip(NEXT) | instid1(VALU_DEP_1)
	v_subrev_nc_u32_e32 v15, 28, v3
	v_lshlrev_b64_e32 v[20:21], v15, v[38:39]
	s_delay_alu instid0(VALU_DEP_1)
	v_dual_sub_nc_u32 v3, 29, v3 :: v_dual_bitop2_b32 v38, 7, v20 bitop3:0x40
; %bb.1233:                             ;   in Loop: Header=BB4_128 Depth=2
	s_or_b32 exec_lo, exec_lo, s42
	v_lshlrev_b32_e32 v14, 24, v14
	s_delay_alu instid0(VALU_DEP_2) | instskip(NEXT) | instid1(VALU_DEP_3)
	v_lshlrev_b32_e32 v15, 20, v38
	v_lshl_add_u32 v3, v3, 23, 0x3c000000
	s_delay_alu instid0(VALU_DEP_3) | instskip(NEXT) | instid1(VALU_DEP_1)
	v_and_b32_e32 v14, 0x80000000, v14
	v_or3_b32 v3, v15, v14, v3
.LBB4_1234:                             ;   in Loop: Header=BB4_128 Depth=2
	s_or_b32 exec_lo, exec_lo, s41
.LBB4_1235:                             ;   in Loop: Header=BB4_128 Depth=2
	s_delay_alu instid0(SALU_CYCLE_1)
	s_or_b32 exec_lo, exec_lo, s40
.LBB4_1236:                             ;   in Loop: Header=BB4_128 Depth=2
	s_delay_alu instid0(SALU_CYCLE_1) | instskip(NEXT) | instid1(SALU_CYCLE_1)
	s_or_b32 exec_lo, exec_lo, s10
	s_mov_b32 s10, exec_lo
	v_cmpx_lt_u32_e32 0xffffff, v16
	s_cbranch_execz .LBB4_1244
; %bb.1237:                             ;   in Loop: Header=BB4_128 Depth=2
	v_lshrrev_b32_e32 v14, 24, v16
	v_bfrev_b32_e32 v2, 1
	s_mov_b32 s40, exec_lo
	s_delay_alu instid0(VALU_DEP_2)
	v_cmpx_ne_u32_e32 0x80, v14
	s_cbranch_execz .LBB4_1243
; %bb.1238:                             ;   in Loop: Header=BB4_128 Depth=2
	v_bfe_u32 v15, v16, 24, 7
	v_mov_b32_e32 v2, 0x7f800001
	s_mov_b32 s41, exec_lo
	s_delay_alu instid0(VALU_DEP_2)
	v_cmpx_ne_u32_e32 0x7f, v15
	s_cbranch_execz .LBB4_1242
; %bb.1239:                             ;   in Loop: Header=BB4_128 Depth=2
	v_dual_lshrrev_b32 v2, 3, v15 :: v_dual_bitop2_b32 v38, 7, v14 bitop3:0x40
	s_mov_b32 s42, exec_lo
	v_cmpx_gt_u32_e32 8, v15
; %bb.1240:                             ;   in Loop: Header=BB4_128 Depth=2
	s_delay_alu instid0(VALU_DEP_2) | instskip(NEXT) | instid1(VALU_DEP_1)
	v_clz_i32_u32_e32 v2, v38
	v_min_u32_e32 v2, 32, v2
	s_delay_alu instid0(VALU_DEP_1) | instskip(NEXT) | instid1(VALU_DEP_1)
	v_subrev_nc_u32_e32 v15, 28, v2
	v_lshlrev_b64_e32 v[20:21], v15, v[38:39]
	s_delay_alu instid0(VALU_DEP_1)
	v_dual_sub_nc_u32 v2, 29, v2 :: v_dual_bitop2_b32 v38, 7, v20 bitop3:0x40
; %bb.1241:                             ;   in Loop: Header=BB4_128 Depth=2
	s_or_b32 exec_lo, exec_lo, s42
	v_lshlrev_b32_e32 v14, 24, v14
	s_delay_alu instid0(VALU_DEP_2) | instskip(NEXT) | instid1(VALU_DEP_3)
	v_lshlrev_b32_e32 v15, 20, v38
	v_lshl_add_u32 v2, v2, 23, 0x3c000000
	s_delay_alu instid0(VALU_DEP_3) | instskip(NEXT) | instid1(VALU_DEP_1)
	v_and_b32_e32 v14, 0x80000000, v14
	v_or3_b32 v2, v15, v14, v2
.LBB4_1242:                             ;   in Loop: Header=BB4_128 Depth=2
	s_or_b32 exec_lo, exec_lo, s41
.LBB4_1243:                             ;   in Loop: Header=BB4_128 Depth=2
	s_delay_alu instid0(SALU_CYCLE_1)
	s_or_b32 exec_lo, exec_lo, s40
.LBB4_1244:                             ;   in Loop: Header=BB4_128 Depth=2
	s_delay_alu instid0(SALU_CYCLE_1) | instskip(NEXT) | instid1(VALU_DEP_1)
	s_or_b32 exec_lo, exec_lo, s10
	v_add_f32_e32 v3, v3, v2
                                        ; implicit-def: $vgpr91
	s_mov_b32 s10, exec_lo
	s_delay_alu instid0(VALU_DEP_1) | instskip(SKIP_1) | instid1(VALU_DEP_2)
	v_and_b32_e32 v38, 0x7f800000, v3
	v_lshrrev_b32_e32 v2, 24, v3
	v_cmpx_ne_u64_e32 0x7f800000, v[38:39]
	s_xor_b32 s40, exec_lo, s10
	s_cbranch_execz .LBB4_1258
; %bb.1245:                             ;   in Loop: Header=BB4_128 Depth=2
	v_and_b32_e32 v38, 0x7fffffff, v3
	v_and_b32_e32 v2, 0x80, v2
                                        ; implicit-def: $vgpr91
	s_mov_b32 s10, exec_lo
	s_delay_alu instid0(VALU_DEP_2)
	v_cmpx_gt_u64_e32 0x43e00001, v[38:39]
	s_xor_b32 s41, exec_lo, s10
	s_cbranch_execz .LBB4_1255
; %bb.1246:                             ;   in Loop: Header=BB4_128 Depth=2
	v_mov_b32_e32 v91, 0
	s_mov_b32 s42, exec_lo
	v_cmpx_ne_u32_e32 0, v3
	s_cbranch_execz .LBB4_1254
; %bb.1247:                             ;   in Loop: Header=BB4_128 Depth=2
	v_bfe_u32 v113, v3, 23, 8
	v_and_b32_e32 v3, 0x7fffff, v3
	s_delay_alu instid0(VALU_DEP_2) | instskip(SKIP_1) | instid1(VALU_DEP_3)
	v_sub_nc_u32_e32 v14, 0x79, v113
	v_cmp_gt_u32_e32 vcc_lo, 0x7a, v113
	v_or_b32_e32 v20, 0x800000, v3
	s_delay_alu instid0(VALU_DEP_3) | instskip(SKIP_1) | instid1(VALU_DEP_2)
	v_cndmask_b32_e32 v14, 0, v14, vcc_lo
	v_cmp_eq_u32_e32 vcc_lo, 0, v113
	v_cndmask_b32_e64 v91, v14, 0x78, vcc_lo
	s_delay_alu instid0(VALU_DEP_4) | instskip(NEXT) | instid1(VALU_DEP_2)
	v_cndmask_b32_e32 v38, v20, v3, vcc_lo
	v_dual_add_nc_u32 v14, 20, v91 :: v_dual_add_nc_u32 v21, 19, v91
	s_delay_alu instid0(VALU_DEP_1) | instskip(NEXT) | instid1(VALU_DEP_2)
	v_lshlrev_b64_e64 v[14:15], v14, -1
	v_lshlrev_b64_e64 v[20:21], v21, 1
	s_delay_alu instid0(VALU_DEP_2) | instskip(NEXT) | instid1(VALU_DEP_3)
	v_bfi_b32 v101, v15, 0, 0
	v_bfi_b32 v100, v14, 0, v38
	v_lshrrev_b64 v[14:15], v91, v[38:39]
	s_delay_alu instid0(VALU_DEP_2) | instskip(NEXT) | instid1(VALU_DEP_2)
	v_cmp_eq_u64_e64 s10, v[100:101], v[20:21]
	v_mov_b64_e32 v[100:101], v[14:15]
	s_and_saveexec_b32 s43, s10
; %bb.1248:                             ;   in Loop: Header=BB4_128 Depth=2
	v_bfe_u32 v38, v14, 20, 1
	s_delay_alu instid0(VALU_DEP_1) | instskip(NEXT) | instid1(VALU_DEP_1)
	v_add_nc_u64_e32 v[20:21], v[14:15], v[38:39]
	v_add_nc_u64_e32 v[100:101], -1, v[20:21]
; %bb.1249:                             ;   in Loop: Header=BB4_128 Depth=2
	s_or_b32 exec_lo, exec_lo, s43
	v_add_nc_u32_e32 v3, 0xffffff81, v113
	v_lshrrev_b32_e32 v15, 23, v14
	s_mov_b32 s10, exec_lo
	s_delay_alu instid0(VALU_DEP_2) | instskip(NEXT) | instid1(VALU_DEP_1)
	v_cndmask_b32_e64 v3, v3, 0xffffff82, vcc_lo
	v_add3_u32 v101, v91, v3, v15
	v_and_b32_e32 v3, 0xfffff, v100
	s_delay_alu instid0(VALU_DEP_1) | instskip(NEXT) | instid1(VALU_DEP_1)
	v_dual_add_nc_u32 v100, 6, v101 :: v_dual_add_nc_u32 v38, v3, v14
                                        ; implicit-def: $vgpr14_vgpr15
                                        ; implicit-def: $vgpr3
	v_cmpx_ne_u32_e32 0, v100
	s_xor_b32 s10, exec_lo, s10
; %bb.1250:                             ;   in Loop: Header=BB4_128 Depth=2
	s_delay_alu instid0(VALU_DEP_2) | instskip(SKIP_2) | instid1(VALU_DEP_2)
	v_cmp_lt_u64_e32 vcc_lo, 0xffffff, v[38:39]
	v_add_nc_u32_e32 v3, 7, v101
	v_cndmask_b32_e64 v14, 0, 1, vcc_lo
	v_cndmask_b32_e32 v3, v100, v3, vcc_lo
	s_delay_alu instid0(VALU_DEP_2)
	v_lshrrev_b64 v[14:15], v14, v[38:39]
; %bb.1251:                             ;   in Loop: Header=BB4_128 Depth=2
	s_and_not1_saveexec_b32 s10, s10
; %bb.1252:                             ;   in Loop: Header=BB4_128 Depth=2
	v_mov_b64_e32 v[14:15], v[38:39]
	v_bfe_u32 v3, v38, 23, 1
; %bb.1253:                             ;   in Loop: Header=BB4_128 Depth=2
	s_or_b32 exec_lo, exec_lo, s10
	s_delay_alu instid0(VALU_DEP_2) | instskip(NEXT) | instid1(VALU_DEP_2)
	v_lshrrev_b64 v[14:15], 20, v[14:15]
	v_cmp_gt_i32_e32 vcc_lo, 16, v3
	v_min_i32_e32 v20, 15, v3
	v_cmp_eq_u32_e64 s10, 0, v3
	s_delay_alu instid0(VALU_DEP_2) | instskip(SKIP_1) | instid1(VALU_DEP_2)
	v_dual_cndmask_b32 v14, 7, v14, vcc_lo :: v_dual_lshlrev_b32 v20, 3, v20
	v_cndmask_b32_e32 v15, 0, v15, vcc_lo
	v_and_b32_e32 v20, 0xf8, v20
	s_delay_alu instid0(VALU_DEP_2) | instskip(NEXT) | instid1(VALU_DEP_2)
	v_cmp_eq_u64_e32 vcc_lo, 0, v[14:15]
	v_and_or_b32 v3, v14, 7, v20
	s_and_b32 s10, s10, vcc_lo
	s_delay_alu instid0(VALU_DEP_1) | instid1(SALU_CYCLE_1)
	v_cndmask_b32_e64 v3, v3, 0, s10
	s_delay_alu instid0(VALU_DEP_1)
	v_or_b32_e32 v91, v3, v2
.LBB4_1254:                             ;   in Loop: Header=BB4_128 Depth=2
	s_or_b32 exec_lo, exec_lo, s42
                                        ; implicit-def: $vgpr2
.LBB4_1255:                             ;   in Loop: Header=BB4_128 Depth=2
	s_and_not1_saveexec_b32 s10, s41
; %bb.1256:                             ;   in Loop: Header=BB4_128 Depth=2
	v_or_b32_e32 v91, 0x7e, v2
; %bb.1257:                             ;   in Loop: Header=BB4_128 Depth=2
	s_or_b32 exec_lo, exec_lo, s10
                                        ; implicit-def: $vgpr2
.LBB4_1258:                             ;   in Loop: Header=BB4_128 Depth=2
	s_and_not1_saveexec_b32 s10, s40
; %bb.1259:                             ;   in Loop: Header=BB4_128 Depth=2
	v_or_b32_e32 v91, 0x7f, v2
; %bb.1260:                             ;   in Loop: Header=BB4_128 Depth=2
	s_or_b32 exec_lo, exec_lo, s10
	v_dual_lshlrev_b32 v3, 24, v89 :: v_dual_lshlrev_b32 v15, 16, v79
	v_lshl_or_b32 v2, v76, 8, v63
	v_mov_b32_e32 v14, 0
	s_mov_b32 s10, exec_lo
	s_delay_alu instid0(VALU_DEP_2)
	v_or3_b32 v38, v15, v3, v2
	v_mov_b32_e32 v3, 0
	v_cmpx_ne_u32_e32 0, v63
	s_cbranch_execz .LBB4_1266
; %bb.1261:                             ;   in Loop: Header=BB4_128 Depth=2
	v_bfrev_b32_e32 v3, 1
	s_mov_b32 s40, exec_lo
	v_cmpx_ne_u32_e32 0x80, v63
	s_cbranch_execz .LBB4_1265
; %bb.1262:                             ;   in Loop: Header=BB4_128 Depth=2
	v_and_b32_e32 v15, 0x7f, v63
	v_mov_b32_e32 v3, 0x7f800001
	s_mov_b32 s41, exec_lo
	s_delay_alu instid0(VALU_DEP_2)
	v_cmpx_ne_u32_e32 0x7f, v15
	s_cbranch_execz .LBB4_1264
; %bb.1263:                             ;   in Loop: Header=BB4_128 Depth=2
	v_cmp_gt_u32_e32 vcc_lo, 8, v15
	v_and_b32_e32 v3, 7, v63
	v_lshrrev_b32_e32 v20, 3, v15
	s_delay_alu instid0(VALU_DEP_2) | instskip(NEXT) | instid1(VALU_DEP_1)
	v_clz_i32_u32_e32 v3, v3
	v_min_u32_e32 v3, 32, v3
	s_delay_alu instid0(VALU_DEP_1) | instskip(NEXT) | instid1(VALU_DEP_1)
	v_subrev_nc_u32_e32 v21, 28, v3
	v_dual_sub_nc_u32 v3, 29, v3 :: v_dual_cndmask_b32 v15, 0, v21, vcc_lo
	s_delay_alu instid0(VALU_DEP_1) | instskip(NEXT) | instid1(VALU_DEP_2)
	v_cndmask_b32_e32 v3, v20, v3, vcc_lo
	v_lshlrev_b64_e32 v[20:21], v15, v[38:39]
	v_lshlrev_b32_e32 v15, 24, v38
	s_delay_alu instid0(VALU_DEP_3) | instskip(NEXT) | instid1(VALU_DEP_2)
	v_lshl_add_u32 v3, v3, 23, 0x3c000000
	v_and_b32_e32 v15, 0x80000000, v15
	s_delay_alu instid0(VALU_DEP_4) | instskip(NEXT) | instid1(VALU_DEP_1)
	v_lshlrev_b32_e32 v20, 20, v20
	v_and_b32_e32 v20, 0x700000, v20
	s_delay_alu instid0(VALU_DEP_1)
	v_or3_b32 v3, v20, v15, v3
.LBB4_1264:                             ;   in Loop: Header=BB4_128 Depth=2
	s_or_b32 exec_lo, exec_lo, s41
.LBB4_1265:                             ;   in Loop: Header=BB4_128 Depth=2
	s_delay_alu instid0(SALU_CYCLE_1)
	s_or_b32 exec_lo, exec_lo, s40
.LBB4_1266:                             ;   in Loop: Header=BB4_128 Depth=2
	s_delay_alu instid0(SALU_CYCLE_1) | instskip(SKIP_2) | instid1(VALU_DEP_1)
	s_or_b32 exec_lo, exec_lo, s10
	v_and_b32_e32 v15, 0xff, v17
	s_mov_b32 s10, exec_lo
	v_cmpx_ne_u16_e32 0, v15
	s_cbranch_execz .LBB4_1272
; %bb.1267:                             ;   in Loop: Header=BB4_128 Depth=2
	v_bfrev_b32_e32 v14, 1
	s_mov_b32 s40, exec_lo
	v_cmpx_ne_u16_e32 0x80, v15
	s_cbranch_execz .LBB4_1271
; %bb.1268:                             ;   in Loop: Header=BB4_128 Depth=2
	v_and_b32_e32 v15, 0x7f, v17
	v_mov_b32_e32 v14, 0x7f800001
	s_mov_b32 s41, exec_lo
	s_delay_alu instid0(VALU_DEP_2)
	v_cmpx_ne_u32_e32 0x7f, v15
	s_cbranch_execz .LBB4_1270
; %bb.1269:                             ;   in Loop: Header=BB4_128 Depth=2
	v_dual_lshrrev_b32 v20, 3, v15 :: v_dual_bitop2_b32 v14, 7, v17 bitop3:0x40
	v_cmp_gt_u32_e32 vcc_lo, 8, v15
	s_delay_alu instid0(VALU_DEP_2) | instskip(NEXT) | instid1(VALU_DEP_1)
	v_clz_i32_u32_e32 v14, v14
	v_min_u32_e32 v14, 32, v14
	s_delay_alu instid0(VALU_DEP_1) | instskip(SKIP_2) | instid1(VALU_DEP_2)
	v_sub_nc_u32_e32 v21, 29, v14
	v_subrev_nc_u32_e32 v100, 28, v14
	v_dual_mov_b32 v14, v17 :: v_dual_mov_b32 v15, v39
	v_dual_cndmask_b32 v101, v20, v21 :: v_dual_cndmask_b32 v20, 0, v100
	s_delay_alu instid0(VALU_DEP_1) | instskip(SKIP_1) | instid1(VALU_DEP_1)
	v_lshlrev_b64_e32 v[20:21], v20, v[14:15]
	v_lshlrev_b32_e32 v14, 24, v14
	v_and_b32_e32 v14, 0x80000000, v14
	s_delay_alu instid0(VALU_DEP_3) | instskip(SKIP_1) | instid1(VALU_DEP_2)
	v_lshlrev_b32_e32 v15, 20, v20
	v_lshl_add_u32 v20, v101, 23, 0x3c000000
	v_and_b32_e32 v15, 0x700000, v15
	s_delay_alu instid0(VALU_DEP_1)
	v_or3_b32 v14, v15, v14, v20
.LBB4_1270:                             ;   in Loop: Header=BB4_128 Depth=2
	s_or_b32 exec_lo, exec_lo, s41
.LBB4_1271:                             ;   in Loop: Header=BB4_128 Depth=2
	s_delay_alu instid0(SALU_CYCLE_1)
	s_or_b32 exec_lo, exec_lo, s40
.LBB4_1272:                             ;   in Loop: Header=BB4_128 Depth=2
	s_delay_alu instid0(SALU_CYCLE_1) | instskip(NEXT) | instid1(VALU_DEP_1)
	s_or_b32 exec_lo, exec_lo, s10
	v_add_f32_e32 v14, v3, v14
	v_mov_b32_e32 v21, v39
                                        ; implicit-def: $vgpr63
	s_mov_b32 s10, exec_lo
	s_delay_alu instid0(VALU_DEP_2) | instskip(SKIP_1) | instid1(VALU_DEP_2)
	v_and_b32_e32 v20, 0x7f800000, v14
	v_lshrrev_b32_e32 v3, 24, v14
	v_cmpx_ne_u64_e32 0x7f800000, v[20:21]
	s_xor_b32 s40, exec_lo, s10
	s_cbranch_execz .LBB4_1286
; %bb.1273:                             ;   in Loop: Header=BB4_128 Depth=2
	v_and_b32_e32 v20, 0x7fffffff, v14
	v_mov_b32_e32 v21, v39
	v_and_b32_e32 v3, 0x80, v3
                                        ; implicit-def: $vgpr63
	s_mov_b32 s10, exec_lo
	s_delay_alu instid0(VALU_DEP_2)
	v_cmpx_gt_u64_e32 0x43e00001, v[20:21]
	s_xor_b32 s41, exec_lo, s10
	s_cbranch_execz .LBB4_1283
; %bb.1274:                             ;   in Loop: Header=BB4_128 Depth=2
	v_mov_b32_e32 v63, 0
	s_mov_b32 s42, exec_lo
	v_cmpx_ne_u32_e32 0, v14
	s_cbranch_execz .LBB4_1282
; %bb.1275:                             ;   in Loop: Header=BB4_128 Depth=2
	v_bfe_u32 v113, v14, 23, 8
	v_and_b32_e32 v20, 0x7fffff, v14
	s_delay_alu instid0(VALU_DEP_2) | instskip(NEXT) | instid1(VALU_DEP_2)
	v_cmp_gt_u32_e32 vcc_lo, 0x7a, v113
	v_or_b32_e32 v21, 0x800000, v20
	v_sub_nc_u32_e32 v15, 0x79, v113
	s_delay_alu instid0(VALU_DEP_1) | instskip(SKIP_1) | instid1(VALU_DEP_4)
	v_cndmask_b32_e32 v15, 0, v15, vcc_lo
	v_cmp_eq_u32_e32 vcc_lo, 0, v113
	v_dual_cndmask_b32 v20, v21, v20 :: v_dual_mov_b32 v21, v39
	s_delay_alu instid0(VALU_DEP_3) | instskip(NEXT) | instid1(VALU_DEP_1)
	v_cndmask_b32_e64 v63, v15, 0x78, vcc_lo
	v_dual_add_nc_u32 v14, 20, v63 :: v_dual_add_nc_u32 v100, 19, v63
	s_delay_alu instid0(VALU_DEP_1) | instskip(NEXT) | instid1(VALU_DEP_2)
	v_lshlrev_b64_e64 v[14:15], v14, -1
	v_lshlrev_b64_e64 v[100:101], v100, 1
	s_delay_alu instid0(VALU_DEP_2) | instskip(NEXT) | instid1(VALU_DEP_3)
	v_bfi_b32 v93, v15, 0, 0
	v_bfi_b32 v92, v14, 0, v20
	v_lshrrev_b64 v[14:15], v63, v[20:21]
	s_delay_alu instid0(VALU_DEP_2) | instskip(NEXT) | instid1(VALU_DEP_2)
	v_cmp_eq_u64_e64 s10, v[92:93], v[100:101]
	v_mov_b64_e32 v[100:101], v[14:15]
	s_and_saveexec_b32 s43, s10
; %bb.1276:                             ;   in Loop: Header=BB4_128 Depth=2
	v_bfe_u32 v20, v14, 20, 1
	v_mov_b32_e32 v21, v39
	s_delay_alu instid0(VALU_DEP_1) | instskip(NEXT) | instid1(VALU_DEP_1)
	v_add_nc_u64_e32 v[20:21], v[14:15], v[20:21]
	v_add_nc_u64_e32 v[100:101], -1, v[20:21]
; %bb.1277:                             ;   in Loop: Header=BB4_128 Depth=2
	s_or_b32 exec_lo, exec_lo, s43
	v_add_nc_u32_e32 v15, 0xffffff81, v113
	v_lshrrev_b32_e32 v20, 23, v14
	s_mov_b32 s10, exec_lo
	s_delay_alu instid0(VALU_DEP_2) | instskip(NEXT) | instid1(VALU_DEP_1)
	v_cndmask_b32_e64 v15, v15, 0xffffff82, vcc_lo
	v_add3_u32 v101, v63, v15, v20
	v_and_b32_e32 v15, 0xfffff, v100
                                        ; implicit-def: $vgpr100
	s_delay_alu instid0(VALU_DEP_1) | instskip(SKIP_1) | instid1(VALU_DEP_2)
	v_dual_add_nc_u32 v113, 6, v101 :: v_dual_add_nc_u32 v14, v15, v14
	v_mov_b32_e32 v15, v39
	v_cmpx_ne_u32_e32 0, v113
	s_xor_b32 s10, exec_lo, s10
; %bb.1278:                             ;   in Loop: Header=BB4_128 Depth=2
	s_delay_alu instid0(VALU_DEP_2) | instskip(SKIP_1) | instid1(VALU_DEP_1)
	v_cmp_lt_u64_e32 vcc_lo, 0xffffff, v[14:15]
	v_add_nc_u32_e32 v20, 7, v101
	v_cndmask_b32_e32 v100, v113, v20, vcc_lo
	v_cndmask_b32_e64 v20, 0, 1, vcc_lo
	s_delay_alu instid0(VALU_DEP_1)
	v_lshrrev_b64 v[14:15], v20, v[14:15]
; %bb.1279:                             ;   in Loop: Header=BB4_128 Depth=2
	s_and_not1_saveexec_b32 s10, s10
; %bb.1280:                             ;   in Loop: Header=BB4_128 Depth=2
	s_delay_alu instid0(VALU_DEP_1)
	v_bfe_u32 v100, v14, 23, 1
; %bb.1281:                             ;   in Loop: Header=BB4_128 Depth=2
	s_or_b32 exec_lo, exec_lo, s10
	s_delay_alu instid0(VALU_DEP_2) | instskip(NEXT) | instid1(VALU_DEP_2)
	v_lshrrev_b64 v[14:15], 20, v[14:15]
	v_cmp_gt_i32_e32 vcc_lo, 16, v100
	v_min_i32_e32 v20, 15, v100
	v_cmp_eq_u32_e64 s10, 0, v100
	s_delay_alu instid0(VALU_DEP_2) | instskip(SKIP_1) | instid1(VALU_DEP_2)
	v_dual_cndmask_b32 v15, 0, v15 :: v_dual_lshlrev_b32 v20, 3, v20
	v_cndmask_b32_e32 v14, 7, v14, vcc_lo
	v_and_b32_e32 v20, 0xf8, v20
	s_delay_alu instid0(VALU_DEP_2) | instskip(NEXT) | instid1(VALU_DEP_2)
	v_cmp_eq_u64_e32 vcc_lo, 0, v[14:15]
	v_and_or_b32 v14, v14, 7, v20
	s_and_b32 s10, s10, vcc_lo
	s_delay_alu instid0(VALU_DEP_1) | instid1(SALU_CYCLE_1)
	v_cndmask_b32_e64 v14, v14, 0, s10
	s_delay_alu instid0(VALU_DEP_1)
	v_or_b32_e32 v63, v14, v3
.LBB4_1282:                             ;   in Loop: Header=BB4_128 Depth=2
	s_or_b32 exec_lo, exec_lo, s42
                                        ; implicit-def: $vgpr3
.LBB4_1283:                             ;   in Loop: Header=BB4_128 Depth=2
	s_and_not1_saveexec_b32 s10, s41
; %bb.1284:                             ;   in Loop: Header=BB4_128 Depth=2
	v_or_b32_e32 v63, 0x7e, v3
; %bb.1285:                             ;   in Loop: Header=BB4_128 Depth=2
	s_or_b32 exec_lo, exec_lo, s10
                                        ; implicit-def: $vgpr3
.LBB4_1286:                             ;   in Loop: Header=BB4_128 Depth=2
	s_and_not1_saveexec_b32 s10, s40
; %bb.1287:                             ;   in Loop: Header=BB4_128 Depth=2
	v_or_b32_e32 v63, 0x7f, v3
; %bb.1288:                             ;   in Loop: Header=BB4_128 Depth=2
	s_or_b32 exec_lo, exec_lo, s10
	v_lshrrev_b16 v14, 8, v2
	v_dual_mov_b32 v3, 0 :: v_dual_mov_b32 v100, 0
	s_mov_b32 s10, exec_lo
	s_delay_alu instid0(VALU_DEP_2)
	v_cmpx_ne_u16_e32 0, v14
	s_cbranch_execz .LBB4_1296
; %bb.1289:                             ;   in Loop: Header=BB4_128 Depth=2
	v_bfrev_b32_e32 v100, 1
	s_mov_b32 s40, exec_lo
	v_cmpx_ne_u16_e32 0x80, v14
	s_cbranch_execz .LBB4_1295
; %bb.1290:                             ;   in Loop: Header=BB4_128 Depth=2
	v_and_b32_e32 v14, 0xffff, v14
	v_mov_b32_e32 v100, 0x7f800001
	s_mov_b32 s41, exec_lo
	s_delay_alu instid0(VALU_DEP_2) | instskip(NEXT) | instid1(VALU_DEP_1)
	v_and_b32_e32 v101, 0x7f, v14
	v_cmpx_ne_u32_e32 0x7f, v101
	s_cbranch_execz .LBB4_1294
; %bb.1291:                             ;   in Loop: Header=BB4_128 Depth=2
	v_dual_mov_b32 v15, v39 :: v_dual_bitop2_b32 v14, 7, v14 bitop3:0x40
	v_lshrrev_b32_e32 v100, 3, v101
	s_mov_b32 s42, exec_lo
	v_cmpx_gt_u32_e32 8, v101
; %bb.1292:                             ;   in Loop: Header=BB4_128 Depth=2
	s_delay_alu instid0(VALU_DEP_3) | instskip(NEXT) | instid1(VALU_DEP_1)
	v_clz_i32_u32_e32 v20, v14
	v_min_u32_e32 v20, 32, v20
	s_delay_alu instid0(VALU_DEP_1) | instskip(NEXT) | instid1(VALU_DEP_1)
	v_subrev_nc_u32_e32 v21, 28, v20
	v_lshlrev_b64_e32 v[14:15], v21, v[14:15]
	s_delay_alu instid0(VALU_DEP_1)
	v_dual_sub_nc_u32 v100, 29, v20 :: v_dual_bitop2_b32 v14, 7, v14 bitop3:0x40
; %bb.1293:                             ;   in Loop: Header=BB4_128 Depth=2
	s_or_b32 exec_lo, exec_lo, s42
	v_lshlrev_b32_e32 v2, 16, v2
	s_delay_alu instid0(VALU_DEP_2) | instskip(NEXT) | instid1(VALU_DEP_3)
	v_lshlrev_b32_e32 v14, 20, v14
	v_lshl_add_u32 v15, v100, 23, 0x3c000000
	s_delay_alu instid0(VALU_DEP_3) | instskip(NEXT) | instid1(VALU_DEP_1)
	v_and_b32_e32 v2, 0x80000000, v2
	v_or3_b32 v100, v14, v2, v15
.LBB4_1294:                             ;   in Loop: Header=BB4_128 Depth=2
	s_or_b32 exec_lo, exec_lo, s41
.LBB4_1295:                             ;   in Loop: Header=BB4_128 Depth=2
	s_delay_alu instid0(SALU_CYCLE_1)
	s_or_b32 exec_lo, exec_lo, s40
.LBB4_1296:                             ;   in Loop: Header=BB4_128 Depth=2
	s_delay_alu instid0(SALU_CYCLE_1) | instskip(SKIP_2) | instid1(VALU_DEP_1)
	s_or_b32 exec_lo, exec_lo, s10
	v_lshrrev_b16 v2, 8, v17
	s_mov_b32 s10, exec_lo
	v_cmpx_ne_u16_e32 0, v2
	s_cbranch_execz .LBB4_1304
; %bb.1297:                             ;   in Loop: Header=BB4_128 Depth=2
	v_bfrev_b32_e32 v3, 1
	s_mov_b32 s40, exec_lo
	v_cmpx_ne_u16_e32 0x80, v2
	s_cbranch_execz .LBB4_1303
; %bb.1298:                             ;   in Loop: Header=BB4_128 Depth=2
	v_and_b32_e32 v2, 0xffff, v2
	v_mov_b32_e32 v3, 0x7f800001
	s_mov_b32 s41, exec_lo
	s_delay_alu instid0(VALU_DEP_2) | instskip(NEXT) | instid1(VALU_DEP_1)
	v_and_b32_e32 v101, 0x7f, v2
	v_cmpx_ne_u32_e32 0x7f, v101
	s_cbranch_execz .LBB4_1302
; %bb.1299:                             ;   in Loop: Header=BB4_128 Depth=2
	v_dual_mov_b32 v15, v39 :: v_dual_bitop2_b32 v14, 7, v2 bitop3:0x40
	v_lshrrev_b32_e32 v2, 3, v101
	s_mov_b32 s42, exec_lo
	v_cmpx_gt_u32_e32 8, v101
; %bb.1300:                             ;   in Loop: Header=BB4_128 Depth=2
	s_delay_alu instid0(VALU_DEP_3) | instskip(NEXT) | instid1(VALU_DEP_1)
	v_clz_i32_u32_e32 v2, v14
	v_min_u32_e32 v2, 32, v2
	s_delay_alu instid0(VALU_DEP_1) | instskip(SKIP_1) | instid1(VALU_DEP_2)
	v_subrev_nc_u32_e32 v3, 28, v2
	v_sub_nc_u32_e32 v2, 29, v2
	v_lshlrev_b64_e32 v[14:15], v3, v[14:15]
	s_delay_alu instid0(VALU_DEP_1)
	v_and_b32_e32 v14, 7, v14
; %bb.1301:                             ;   in Loop: Header=BB4_128 Depth=2
	s_or_b32 exec_lo, exec_lo, s42
	s_delay_alu instid0(VALU_DEP_1) | instskip(SKIP_1) | instid1(VALU_DEP_2)
	v_dual_lshlrev_b32 v3, 16, v17 :: v_dual_lshlrev_b32 v14, 20, v14
	v_lshl_add_u32 v2, v2, 23, 0x3c000000
	v_and_b32_e32 v3, 0x80000000, v3
	s_delay_alu instid0(VALU_DEP_1)
	v_or3_b32 v3, v14, v3, v2
.LBB4_1302:                             ;   in Loop: Header=BB4_128 Depth=2
	s_or_b32 exec_lo, exec_lo, s41
.LBB4_1303:                             ;   in Loop: Header=BB4_128 Depth=2
	s_delay_alu instid0(SALU_CYCLE_1)
	s_or_b32 exec_lo, exec_lo, s40
.LBB4_1304:                             ;   in Loop: Header=BB4_128 Depth=2
	s_delay_alu instid0(SALU_CYCLE_1) | instskip(NEXT) | instid1(VALU_DEP_1)
	s_or_b32 exec_lo, exec_lo, s10
	v_dual_add_f32 v3, v100, v3 :: v_dual_mov_b32 v15, v39
                                        ; implicit-def: $vgpr76
	s_mov_b32 s10, exec_lo
	s_delay_alu instid0(VALU_DEP_1) | instskip(SKIP_1) | instid1(VALU_DEP_2)
	v_and_b32_e32 v14, 0x7f800000, v3
	v_lshrrev_b32_e32 v2, 24, v3
	v_cmpx_ne_u64_e32 0x7f800000, v[14:15]
	s_xor_b32 s40, exec_lo, s10
	s_cbranch_execz .LBB4_1318
; %bb.1305:                             ;   in Loop: Header=BB4_128 Depth=2
	v_and_b32_e32 v14, 0x7fffffff, v3
	v_mov_b32_e32 v15, v39
	v_and_b32_e32 v2, 0x80, v2
                                        ; implicit-def: $vgpr76
	s_mov_b32 s10, exec_lo
	s_delay_alu instid0(VALU_DEP_2)
	v_cmpx_gt_u64_e32 0x43e00001, v[14:15]
	s_xor_b32 s41, exec_lo, s10
	s_cbranch_execz .LBB4_1315
; %bb.1306:                             ;   in Loop: Header=BB4_128 Depth=2
	v_mov_b32_e32 v76, 0
	s_mov_b32 s42, exec_lo
	v_cmpx_ne_u32_e32 0, v3
	s_cbranch_execz .LBB4_1314
; %bb.1307:                             ;   in Loop: Header=BB4_128 Depth=2
	v_bfe_u32 v113, v3, 23, 8
	v_and_b32_e32 v3, 0x7fffff, v3
	s_delay_alu instid0(VALU_DEP_2) | instskip(SKIP_1) | instid1(VALU_DEP_3)
	v_dual_mov_b32 v21, v39 :: v_dual_sub_nc_u32 v14, 0x79, v113
	v_cmp_gt_u32_e32 vcc_lo, 0x7a, v113
	v_or_b32_e32 v20, 0x800000, v3
	s_delay_alu instid0(VALU_DEP_3) | instskip(SKIP_1) | instid1(VALU_DEP_2)
	v_cndmask_b32_e32 v14, 0, v14, vcc_lo
	v_cmp_eq_u32_e32 vcc_lo, 0, v113
	v_cndmask_b32_e64 v76, v14, 0x78, vcc_lo
	s_delay_alu instid0(VALU_DEP_1) | instskip(SKIP_1) | instid1(VALU_DEP_2)
	v_dual_cndmask_b32 v20, v20, v3, vcc_lo :: v_dual_add_nc_u32 v14, 20, v76
	v_add_nc_u32_e32 v100, 19, v76
	v_lshlrev_b64_e64 v[14:15], v14, -1
	s_delay_alu instid0(VALU_DEP_2) | instskip(NEXT) | instid1(VALU_DEP_2)
	v_lshlrev_b64_e64 v[100:101], v100, 1
	v_bfi_b32 v93, v15, 0, 0
	s_delay_alu instid0(VALU_DEP_3) | instskip(SKIP_1) | instid1(VALU_DEP_2)
	v_bfi_b32 v92, v14, 0, v20
	v_lshrrev_b64 v[14:15], v76, v[20:21]
	v_cmp_eq_u64_e64 s10, v[92:93], v[100:101]
	s_delay_alu instid0(VALU_DEP_2)
	v_mov_b64_e32 v[100:101], v[14:15]
	s_and_saveexec_b32 s43, s10
; %bb.1308:                             ;   in Loop: Header=BB4_128 Depth=2
	v_bfe_u32 v20, v14, 20, 1
	v_mov_b32_e32 v21, v39
	s_delay_alu instid0(VALU_DEP_1) | instskip(NEXT) | instid1(VALU_DEP_1)
	v_add_nc_u64_e32 v[20:21], v[14:15], v[20:21]
	v_add_nc_u64_e32 v[100:101], -1, v[20:21]
; %bb.1309:                             ;   in Loop: Header=BB4_128 Depth=2
	s_or_b32 exec_lo, exec_lo, s43
	v_add_nc_u32_e32 v3, 0xffffff81, v113
	v_lshrrev_b32_e32 v15, 23, v14
	s_mov_b32 s10, exec_lo
	s_delay_alu instid0(VALU_DEP_2) | instskip(NEXT) | instid1(VALU_DEP_1)
	v_cndmask_b32_e64 v3, v3, 0xffffff82, vcc_lo
	v_add3_u32 v101, v76, v3, v15
	v_and_b32_e32 v3, 0xfffff, v100
	s_delay_alu instid0(VALU_DEP_2) | instskip(NEXT) | instid1(VALU_DEP_2)
	v_dual_mov_b32 v15, v39 :: v_dual_add_nc_u32 v100, 6, v101
	v_add_nc_u32_e32 v14, v3, v14
                                        ; implicit-def: $vgpr3
	s_delay_alu instid0(VALU_DEP_2)
	v_cmpx_ne_u32_e32 0, v100
	s_xor_b32 s10, exec_lo, s10
; %bb.1310:                             ;   in Loop: Header=BB4_128 Depth=2
	s_delay_alu instid0(VALU_DEP_2) | instskip(SKIP_2) | instid1(VALU_DEP_2)
	v_cmp_lt_u64_e32 vcc_lo, 0xffffff, v[14:15]
	v_add_nc_u32_e32 v3, 7, v101
	v_cndmask_b32_e64 v20, 0, 1, vcc_lo
	v_cndmask_b32_e32 v3, v100, v3, vcc_lo
	s_delay_alu instid0(VALU_DEP_2)
	v_lshrrev_b64 v[14:15], v20, v[14:15]
; %bb.1311:                             ;   in Loop: Header=BB4_128 Depth=2
	s_and_not1_saveexec_b32 s10, s10
; %bb.1312:                             ;   in Loop: Header=BB4_128 Depth=2
	s_delay_alu instid0(VALU_DEP_1)
	v_bfe_u32 v3, v14, 23, 1
; %bb.1313:                             ;   in Loop: Header=BB4_128 Depth=2
	s_or_b32 exec_lo, exec_lo, s10
	s_delay_alu instid0(VALU_DEP_2) | instskip(NEXT) | instid1(VALU_DEP_2)
	v_lshrrev_b64 v[14:15], 20, v[14:15]
	v_cmp_gt_i32_e32 vcc_lo, 16, v3
	v_min_i32_e32 v20, 15, v3
	v_cmp_eq_u32_e64 s10, 0, v3
	s_delay_alu instid0(VALU_DEP_2) | instskip(SKIP_1) | instid1(VALU_DEP_2)
	v_dual_cndmask_b32 v14, 7, v14, vcc_lo :: v_dual_lshlrev_b32 v20, 3, v20
	v_cndmask_b32_e32 v15, 0, v15, vcc_lo
	v_and_b32_e32 v20, 0xf8, v20
	s_delay_alu instid0(VALU_DEP_2) | instskip(NEXT) | instid1(VALU_DEP_2)
	v_cmp_eq_u64_e32 vcc_lo, 0, v[14:15]
	v_and_or_b32 v3, v14, 7, v20
	s_and_b32 s10, s10, vcc_lo
	s_delay_alu instid0(VALU_DEP_1) | instid1(SALU_CYCLE_1)
	v_cndmask_b32_e64 v3, v3, 0, s10
	s_delay_alu instid0(VALU_DEP_1)
	v_or_b32_e32 v76, v3, v2
.LBB4_1314:                             ;   in Loop: Header=BB4_128 Depth=2
	s_or_b32 exec_lo, exec_lo, s42
                                        ; implicit-def: $vgpr2
.LBB4_1315:                             ;   in Loop: Header=BB4_128 Depth=2
	s_and_not1_saveexec_b32 s10, s41
; %bb.1316:                             ;   in Loop: Header=BB4_128 Depth=2
	v_or_b32_e32 v76, 0x7e, v2
; %bb.1317:                             ;   in Loop: Header=BB4_128 Depth=2
	s_or_b32 exec_lo, exec_lo, s10
                                        ; implicit-def: $vgpr2
.LBB4_1318:                             ;   in Loop: Header=BB4_128 Depth=2
	s_and_not1_saveexec_b32 s10, s40
; %bb.1319:                             ;   in Loop: Header=BB4_128 Depth=2
	v_or_b32_e32 v76, 0x7f, v2
; %bb.1320:                             ;   in Loop: Header=BB4_128 Depth=2
	s_or_b32 exec_lo, exec_lo, s10
	v_dual_lshrrev_b32 v100, 16, v38 :: v_dual_mov_b32 v2, 0
	v_mov_b32_e32 v3, 0
	s_mov_b32 s10, exec_lo
	s_delay_alu instid0(VALU_DEP_2) | instskip(NEXT) | instid1(VALU_DEP_1)
	v_and_b32_e32 v14, 0xff, v100
	v_cmpx_ne_u16_e32 0, v14
	s_cbranch_execz .LBB4_1328
; %bb.1321:                             ;   in Loop: Header=BB4_128 Depth=2
	v_bfrev_b32_e32 v3, 1
	s_mov_b32 s40, exec_lo
	v_cmpx_ne_u16_e32 0x80, v14
	s_cbranch_execz .LBB4_1327
; %bb.1322:                             ;   in Loop: Header=BB4_128 Depth=2
	v_bfe_u32 v101, v38, 16, 7
	v_mov_b32_e32 v3, 0x7f800001
	s_mov_b32 s41, exec_lo
	s_delay_alu instid0(VALU_DEP_2)
	v_cmpx_ne_u32_e32 0x7f, v101
	s_cbranch_execz .LBB4_1326
; %bb.1323:                             ;   in Loop: Header=BB4_128 Depth=2
	v_dual_mov_b32 v15, v39 :: v_dual_bitop2_b32 v14, 7, v100 bitop3:0x40
	v_lshrrev_b32_e32 v3, 3, v101
	s_mov_b32 s42, exec_lo
	v_cmpx_gt_u32_e32 8, v101
; %bb.1324:                             ;   in Loop: Header=BB4_128 Depth=2
	s_delay_alu instid0(VALU_DEP_3) | instskip(NEXT) | instid1(VALU_DEP_1)
	v_clz_i32_u32_e32 v3, v14
	v_min_u32_e32 v3, 32, v3
	s_delay_alu instid0(VALU_DEP_1) | instskip(NEXT) | instid1(VALU_DEP_1)
	v_subrev_nc_u32_e32 v20, 28, v3
	v_lshlrev_b64_e32 v[14:15], v20, v[14:15]
	s_delay_alu instid0(VALU_DEP_1)
	v_dual_sub_nc_u32 v3, 29, v3 :: v_dual_bitop2_b32 v14, 7, v14 bitop3:0x40
; %bb.1325:                             ;   in Loop: Header=BB4_128 Depth=2
	s_or_b32 exec_lo, exec_lo, s42
	s_delay_alu instid0(VALU_DEP_1) | instskip(NEXT) | instid1(VALU_DEP_2)
	v_dual_lshlrev_b32 v15, 24, v100 :: v_dual_lshlrev_b32 v14, 20, v14
	v_lshl_add_u32 v3, v3, 23, 0x3c000000
	s_delay_alu instid0(VALU_DEP_2) | instskip(NEXT) | instid1(VALU_DEP_1)
	v_and_b32_e32 v15, 0x80000000, v15
	v_or3_b32 v3, v14, v15, v3
.LBB4_1326:                             ;   in Loop: Header=BB4_128 Depth=2
	s_or_b32 exec_lo, exec_lo, s41
.LBB4_1327:                             ;   in Loop: Header=BB4_128 Depth=2
	s_delay_alu instid0(SALU_CYCLE_1)
	s_or_b32 exec_lo, exec_lo, s40
.LBB4_1328:                             ;   in Loop: Header=BB4_128 Depth=2
	s_delay_alu instid0(SALU_CYCLE_1) | instskip(SKIP_2) | instid1(VALU_DEP_1)
	s_or_b32 exec_lo, exec_lo, s10
	v_lshrrev_b32_e32 v14, 16, v17
	s_mov_b32 s10, exec_lo
	v_and_b32_e32 v15, 0xff, v14
	s_delay_alu instid0(VALU_DEP_1)
	v_cmpx_ne_u16_e32 0, v15
	s_cbranch_execz .LBB4_1336
; %bb.1329:                             ;   in Loop: Header=BB4_128 Depth=2
	v_bfrev_b32_e32 v2, 1
	s_mov_b32 s40, exec_lo
	v_cmpx_ne_u16_e32 0x80, v15
	s_cbranch_execz .LBB4_1335
; %bb.1330:                             ;   in Loop: Header=BB4_128 Depth=2
	v_bfe_u32 v100, v17, 16, 7
	v_mov_b32_e32 v2, 0x7f800001
	s_mov_b32 s41, exec_lo
	s_delay_alu instid0(VALU_DEP_2)
	v_cmpx_ne_u32_e32 0x7f, v100
	s_cbranch_execz .LBB4_1334
; %bb.1331:                             ;   in Loop: Header=BB4_128 Depth=2
	v_dual_mov_b32 v15, v39 :: v_dual_bitop2_b32 v14, 7, v14 bitop3:0x40
	v_lshrrev_b32_e32 v2, 3, v100
	s_mov_b32 s42, exec_lo
	v_cmpx_gt_u32_e32 8, v100
; %bb.1332:                             ;   in Loop: Header=BB4_128 Depth=2
	s_delay_alu instid0(VALU_DEP_3) | instskip(NEXT) | instid1(VALU_DEP_1)
	v_clz_i32_u32_e32 v2, v14
	v_min_u32_e32 v2, 32, v2
	s_delay_alu instid0(VALU_DEP_1) | instskip(SKIP_1) | instid1(VALU_DEP_2)
	v_subrev_nc_u32_e32 v20, 28, v2
	v_sub_nc_u32_e32 v2, 29, v2
	v_lshlrev_b64_e32 v[14:15], v20, v[14:15]
	s_delay_alu instid0(VALU_DEP_1)
	v_and_b32_e32 v14, 7, v14
; %bb.1333:                             ;   in Loop: Header=BB4_128 Depth=2
	s_or_b32 exec_lo, exec_lo, s42
	s_delay_alu instid0(VALU_DEP_1) | instskip(SKIP_1) | instid1(VALU_DEP_2)
	v_dual_lshlrev_b32 v15, 8, v17 :: v_dual_lshlrev_b32 v14, 20, v14
	v_lshl_add_u32 v2, v2, 23, 0x3c000000
	v_and_b32_e32 v15, 0x80000000, v15
	s_delay_alu instid0(VALU_DEP_1)
	v_or3_b32 v2, v14, v15, v2
.LBB4_1334:                             ;   in Loop: Header=BB4_128 Depth=2
	s_or_b32 exec_lo, exec_lo, s41
.LBB4_1335:                             ;   in Loop: Header=BB4_128 Depth=2
	s_delay_alu instid0(SALU_CYCLE_1)
	s_or_b32 exec_lo, exec_lo, s40
.LBB4_1336:                             ;   in Loop: Header=BB4_128 Depth=2
	s_delay_alu instid0(SALU_CYCLE_1) | instskip(NEXT) | instid1(VALU_DEP_1)
	s_or_b32 exec_lo, exec_lo, s10
	v_add_f32_e32 v3, v3, v2
	v_mov_b32_e32 v15, v39
                                        ; implicit-def: $vgpr100
	s_mov_b32 s10, exec_lo
	s_delay_alu instid0(VALU_DEP_2) | instskip(SKIP_1) | instid1(VALU_DEP_2)
	v_and_b32_e32 v14, 0x7f800000, v3
	v_lshrrev_b32_e32 v2, 24, v3
	v_cmpx_ne_u64_e32 0x7f800000, v[14:15]
	s_xor_b32 s40, exec_lo, s10
	s_cbranch_execz .LBB4_1350
; %bb.1337:                             ;   in Loop: Header=BB4_128 Depth=2
	v_and_b32_e32 v14, 0x7fffffff, v3
	v_mov_b32_e32 v15, v39
	v_and_b32_e32 v2, 0x80, v2
                                        ; implicit-def: $vgpr100
	s_mov_b32 s10, exec_lo
	s_delay_alu instid0(VALU_DEP_2)
	v_cmpx_gt_u64_e32 0x43e00001, v[14:15]
	s_xor_b32 s41, exec_lo, s10
	s_cbranch_execz .LBB4_1347
; %bb.1338:                             ;   in Loop: Header=BB4_128 Depth=2
	v_mov_b32_e32 v100, 0
	s_mov_b32 s42, exec_lo
	v_cmpx_ne_u32_e32 0, v3
	s_cbranch_execz .LBB4_1346
; %bb.1339:                             ;   in Loop: Header=BB4_128 Depth=2
	v_bfe_u32 v113, v3, 23, 8
	v_and_b32_e32 v3, 0x7fffff, v3
	s_delay_alu instid0(VALU_DEP_2) | instskip(SKIP_1) | instid1(VALU_DEP_3)
	v_dual_mov_b32 v21, v39 :: v_dual_sub_nc_u32 v14, 0x79, v113
	v_cmp_gt_u32_e32 vcc_lo, 0x7a, v113
	v_or_b32_e32 v20, 0x800000, v3
	s_delay_alu instid0(VALU_DEP_3) | instskip(SKIP_1) | instid1(VALU_DEP_2)
	v_cndmask_b32_e32 v14, 0, v14, vcc_lo
	v_cmp_eq_u32_e32 vcc_lo, 0, v113
	v_cndmask_b32_e64 v79, v14, 0x78, vcc_lo
	s_delay_alu instid0(VALU_DEP_4) | instskip(NEXT) | instid1(VALU_DEP_2)
	v_cndmask_b32_e32 v20, v20, v3, vcc_lo
	v_dual_add_nc_u32 v14, 20, v79 :: v_dual_add_nc_u32 v100, 19, v79
	s_delay_alu instid0(VALU_DEP_1) | instskip(NEXT) | instid1(VALU_DEP_2)
	v_lshlrev_b64_e64 v[14:15], v14, -1
	v_lshlrev_b64_e64 v[100:101], v100, 1
	s_delay_alu instid0(VALU_DEP_2) | instskip(NEXT) | instid1(VALU_DEP_3)
	v_bfi_b32 v93, v15, 0, 0
	v_bfi_b32 v92, v14, 0, v20
	v_lshrrev_b64 v[14:15], v79, v[20:21]
	s_delay_alu instid0(VALU_DEP_2) | instskip(NEXT) | instid1(VALU_DEP_2)
	v_cmp_eq_u64_e64 s10, v[92:93], v[100:101]
	v_mov_b64_e32 v[100:101], v[14:15]
	s_and_saveexec_b32 s43, s10
; %bb.1340:                             ;   in Loop: Header=BB4_128 Depth=2
	v_bfe_u32 v20, v14, 20, 1
	v_mov_b32_e32 v21, v39
	s_delay_alu instid0(VALU_DEP_1) | instskip(NEXT) | instid1(VALU_DEP_1)
	v_add_nc_u64_e32 v[20:21], v[14:15], v[20:21]
	v_add_nc_u64_e32 v[100:101], -1, v[20:21]
; %bb.1341:                             ;   in Loop: Header=BB4_128 Depth=2
	s_or_b32 exec_lo, exec_lo, s43
	v_add_nc_u32_e32 v3, 0xffffff81, v113
	v_lshrrev_b32_e32 v15, 23, v14
	s_mov_b32 s10, exec_lo
	s_delay_alu instid0(VALU_DEP_2) | instskip(NEXT) | instid1(VALU_DEP_1)
	v_cndmask_b32_e64 v3, v3, 0xffffff82, vcc_lo
	v_add3_u32 v101, v79, v3, v15
	v_and_b32_e32 v3, 0xfffff, v100
	s_delay_alu instid0(VALU_DEP_2) | instskip(NEXT) | instid1(VALU_DEP_2)
	v_dual_mov_b32 v15, v39 :: v_dual_add_nc_u32 v100, 6, v101
	v_add_nc_u32_e32 v14, v3, v14
                                        ; implicit-def: $vgpr3
	s_delay_alu instid0(VALU_DEP_2)
	v_cmpx_ne_u32_e32 0, v100
	s_xor_b32 s10, exec_lo, s10
; %bb.1342:                             ;   in Loop: Header=BB4_128 Depth=2
	s_delay_alu instid0(VALU_DEP_2) | instskip(SKIP_2) | instid1(VALU_DEP_2)
	v_cmp_lt_u64_e32 vcc_lo, 0xffffff, v[14:15]
	v_add_nc_u32_e32 v3, 7, v101
	v_cndmask_b32_e64 v20, 0, 1, vcc_lo
	v_cndmask_b32_e32 v3, v100, v3, vcc_lo
	s_delay_alu instid0(VALU_DEP_2)
	v_lshrrev_b64 v[14:15], v20, v[14:15]
; %bb.1343:                             ;   in Loop: Header=BB4_128 Depth=2
	s_and_not1_saveexec_b32 s10, s10
; %bb.1344:                             ;   in Loop: Header=BB4_128 Depth=2
	s_delay_alu instid0(VALU_DEP_1)
	v_bfe_u32 v3, v14, 23, 1
; %bb.1345:                             ;   in Loop: Header=BB4_128 Depth=2
	s_or_b32 exec_lo, exec_lo, s10
	s_delay_alu instid0(VALU_DEP_2) | instskip(NEXT) | instid1(VALU_DEP_2)
	v_lshrrev_b64 v[14:15], 20, v[14:15]
	v_cmp_gt_i32_e32 vcc_lo, 16, v3
	v_min_i32_e32 v20, 15, v3
	v_cmp_eq_u32_e64 s10, 0, v3
	s_delay_alu instid0(VALU_DEP_2) | instskip(SKIP_1) | instid1(VALU_DEP_2)
	v_dual_cndmask_b32 v14, 7, v14, vcc_lo :: v_dual_lshlrev_b32 v20, 3, v20
	v_cndmask_b32_e32 v15, 0, v15, vcc_lo
	v_and_b32_e32 v20, 0xf8, v20
	s_delay_alu instid0(VALU_DEP_2) | instskip(NEXT) | instid1(VALU_DEP_2)
	v_cmp_eq_u64_e32 vcc_lo, 0, v[14:15]
	v_and_or_b32 v3, v14, 7, v20
	s_and_b32 s10, s10, vcc_lo
	s_delay_alu instid0(VALU_DEP_1) | instid1(SALU_CYCLE_1)
	v_cndmask_b32_e64 v3, v3, 0, s10
	s_delay_alu instid0(VALU_DEP_1)
	v_or_b32_e32 v100, v3, v2
.LBB4_1346:                             ;   in Loop: Header=BB4_128 Depth=2
	s_or_b32 exec_lo, exec_lo, s42
                                        ; implicit-def: $vgpr2
.LBB4_1347:                             ;   in Loop: Header=BB4_128 Depth=2
	s_and_not1_saveexec_b32 s10, s41
; %bb.1348:                             ;   in Loop: Header=BB4_128 Depth=2
	v_or_b32_e32 v100, 0x7e, v2
; %bb.1349:                             ;   in Loop: Header=BB4_128 Depth=2
	s_or_b32 exec_lo, exec_lo, s10
                                        ; implicit-def: $vgpr2
.LBB4_1350:                             ;   in Loop: Header=BB4_128 Depth=2
	s_and_not1_saveexec_b32 s10, s40
; %bb.1351:                             ;   in Loop: Header=BB4_128 Depth=2
	v_or_b32_e32 v100, 0x7f, v2
; %bb.1352:                             ;   in Loop: Header=BB4_128 Depth=2
	s_or_b32 exec_lo, exec_lo, s10
	v_dual_mov_b32 v2, 0 :: v_dual_mov_b32 v3, 0
	s_mov_b32 s10, exec_lo
	v_cmpx_lt_u32_e32 0xffffff, v38
	s_cbranch_execz .LBB4_1360
; %bb.1353:                             ;   in Loop: Header=BB4_128 Depth=2
	v_lshrrev_b32_e32 v14, 24, v38
	v_bfrev_b32_e32 v3, 1
	s_mov_b32 s40, exec_lo
	s_delay_alu instid0(VALU_DEP_2)
	v_cmpx_ne_u32_e32 0x80, v14
	s_cbranch_execz .LBB4_1359
; %bb.1354:                             ;   in Loop: Header=BB4_128 Depth=2
	v_bfe_u32 v15, v38, 24, 7
	v_mov_b32_e32 v3, 0x7f800001
	s_mov_b32 s41, exec_lo
	s_delay_alu instid0(VALU_DEP_2)
	v_cmpx_ne_u32_e32 0x7f, v15
	s_cbranch_execz .LBB4_1358
; %bb.1355:                             ;   in Loop: Header=BB4_128 Depth=2
	v_dual_lshrrev_b32 v3, 3, v15 :: v_dual_bitop2_b32 v38, 7, v14 bitop3:0x40
	s_mov_b32 s42, exec_lo
	v_cmpx_gt_u32_e32 8, v15
; %bb.1356:                             ;   in Loop: Header=BB4_128 Depth=2
	s_delay_alu instid0(VALU_DEP_2) | instskip(NEXT) | instid1(VALU_DEP_1)
	v_clz_i32_u32_e32 v3, v38
	v_min_u32_e32 v3, 32, v3
	s_delay_alu instid0(VALU_DEP_1) | instskip(NEXT) | instid1(VALU_DEP_1)
	v_subrev_nc_u32_e32 v15, 28, v3
	v_lshlrev_b64_e32 v[20:21], v15, v[38:39]
	s_delay_alu instid0(VALU_DEP_1)
	v_dual_sub_nc_u32 v3, 29, v3 :: v_dual_bitop2_b32 v38, 7, v20 bitop3:0x40
; %bb.1357:                             ;   in Loop: Header=BB4_128 Depth=2
	s_or_b32 exec_lo, exec_lo, s42
	v_lshlrev_b32_e32 v14, 24, v14
	s_delay_alu instid0(VALU_DEP_2) | instskip(NEXT) | instid1(VALU_DEP_3)
	v_lshlrev_b32_e32 v15, 20, v38
	v_lshl_add_u32 v3, v3, 23, 0x3c000000
	s_delay_alu instid0(VALU_DEP_3) | instskip(NEXT) | instid1(VALU_DEP_1)
	v_and_b32_e32 v14, 0x80000000, v14
	v_or3_b32 v3, v15, v14, v3
.LBB4_1358:                             ;   in Loop: Header=BB4_128 Depth=2
	s_or_b32 exec_lo, exec_lo, s41
.LBB4_1359:                             ;   in Loop: Header=BB4_128 Depth=2
	s_delay_alu instid0(SALU_CYCLE_1)
	s_or_b32 exec_lo, exec_lo, s40
.LBB4_1360:                             ;   in Loop: Header=BB4_128 Depth=2
	s_delay_alu instid0(SALU_CYCLE_1) | instskip(NEXT) | instid1(SALU_CYCLE_1)
	s_or_b32 exec_lo, exec_lo, s10
	s_mov_b32 s10, exec_lo
	v_cmpx_lt_u64_e64 s[14:15], v[16:17]
	s_cbranch_execz .LBB4_1368
; %bb.1361:                             ;   in Loop: Header=BB4_128 Depth=2
	v_lshrrev_b32_e32 v14, 24, v17
	v_bfrev_b32_e32 v2, 1
	s_mov_b32 s40, exec_lo
	s_delay_alu instid0(VALU_DEP_2)
	v_cmpx_ne_u32_e32 0x80, v14
	s_cbranch_execz .LBB4_1367
; %bb.1362:                             ;   in Loop: Header=BB4_128 Depth=2
	v_bfe_u32 v15, v17, 24, 7
	v_mov_b32_e32 v2, 0x7f800001
	s_mov_b32 s41, exec_lo
	s_delay_alu instid0(VALU_DEP_2)
	v_cmpx_ne_u32_e32 0x7f, v15
	s_cbranch_execz .LBB4_1366
; %bb.1363:                             ;   in Loop: Header=BB4_128 Depth=2
	v_dual_lshrrev_b32 v2, 3, v15 :: v_dual_bitop2_b32 v38, 7, v14 bitop3:0x40
	s_mov_b32 s42, exec_lo
	v_cmpx_gt_u32_e32 8, v15
; %bb.1364:                             ;   in Loop: Header=BB4_128 Depth=2
	s_delay_alu instid0(VALU_DEP_2) | instskip(NEXT) | instid1(VALU_DEP_1)
	v_clz_i32_u32_e32 v2, v38
	v_min_u32_e32 v2, 32, v2
	s_delay_alu instid0(VALU_DEP_1) | instskip(NEXT) | instid1(VALU_DEP_1)
	v_subrev_nc_u32_e32 v15, 28, v2
	v_lshlrev_b64_e32 v[16:17], v15, v[38:39]
	s_delay_alu instid0(VALU_DEP_1)
	v_dual_sub_nc_u32 v2, 29, v2 :: v_dual_bitop2_b32 v38, 7, v16 bitop3:0x40
; %bb.1365:                             ;   in Loop: Header=BB4_128 Depth=2
	s_or_b32 exec_lo, exec_lo, s42
	v_lshlrev_b32_e32 v14, 24, v14
	s_delay_alu instid0(VALU_DEP_2) | instskip(NEXT) | instid1(VALU_DEP_3)
	v_lshlrev_b32_e32 v15, 20, v38
	v_lshl_add_u32 v2, v2, 23, 0x3c000000
	s_delay_alu instid0(VALU_DEP_3) | instskip(NEXT) | instid1(VALU_DEP_1)
	v_and_b32_e32 v14, 0x80000000, v14
	v_or3_b32 v2, v15, v14, v2
.LBB4_1366:                             ;   in Loop: Header=BB4_128 Depth=2
	s_or_b32 exec_lo, exec_lo, s41
.LBB4_1367:                             ;   in Loop: Header=BB4_128 Depth=2
	s_delay_alu instid0(SALU_CYCLE_1)
	s_or_b32 exec_lo, exec_lo, s40
.LBB4_1368:                             ;   in Loop: Header=BB4_128 Depth=2
	s_delay_alu instid0(SALU_CYCLE_1) | instskip(NEXT) | instid1(VALU_DEP_1)
	s_or_b32 exec_lo, exec_lo, s10
	v_add_f32_e32 v3, v3, v2
                                        ; implicit-def: $vgpr101
	s_mov_b32 s10, exec_lo
	s_delay_alu instid0(VALU_DEP_1) | instskip(SKIP_1) | instid1(VALU_DEP_2)
	v_and_b32_e32 v38, 0x7f800000, v3
	v_lshrrev_b32_e32 v2, 24, v3
	v_cmpx_ne_u64_e32 0x7f800000, v[38:39]
	s_xor_b32 s40, exec_lo, s10
	s_cbranch_execz .LBB4_1382
; %bb.1369:                             ;   in Loop: Header=BB4_128 Depth=2
	v_and_b32_e32 v38, 0x7fffffff, v3
	v_and_b32_e32 v2, 0x80, v2
                                        ; implicit-def: $vgpr101
	s_mov_b32 s10, exec_lo
	s_delay_alu instid0(VALU_DEP_2)
	v_cmpx_gt_u64_e32 0x43e00001, v[38:39]
	s_xor_b32 s41, exec_lo, s10
	s_cbranch_execz .LBB4_1379
; %bb.1370:                             ;   in Loop: Header=BB4_128 Depth=2
	v_mov_b32_e32 v101, 0
	s_mov_b32 s42, exec_lo
	v_cmpx_ne_u32_e32 0, v3
	s_cbranch_execz .LBB4_1378
; %bb.1371:                             ;   in Loop: Header=BB4_128 Depth=2
	v_bfe_u32 v101, v3, 23, 8
	v_and_b32_e32 v3, 0x7fffff, v3
	s_delay_alu instid0(VALU_DEP_2) | instskip(SKIP_1) | instid1(VALU_DEP_3)
	v_sub_nc_u32_e32 v14, 0x79, v101
	v_cmp_gt_u32_e32 vcc_lo, 0x7a, v101
	v_or_b32_e32 v16, 0x800000, v3
	s_delay_alu instid0(VALU_DEP_3) | instskip(SKIP_1) | instid1(VALU_DEP_2)
	v_cndmask_b32_e32 v14, 0, v14, vcc_lo
	v_cmp_eq_u32_e32 vcc_lo, 0, v101
	v_cndmask_b32_e64 v113, v14, 0x78, vcc_lo
	s_delay_alu instid0(VALU_DEP_1) | instskip(SKIP_1) | instid1(VALU_DEP_2)
	v_dual_cndmask_b32 v38, v16, v3, vcc_lo :: v_dual_add_nc_u32 v14, 20, v113
	v_add_nc_u32_e32 v17, 19, v113
	v_lshlrev_b64_e64 v[14:15], v14, -1
	s_delay_alu instid0(VALU_DEP_2) | instskip(NEXT) | instid1(VALU_DEP_2)
	v_lshlrev_b64_e64 v[16:17], v17, 1
	v_bfi_b32 v21, v15, 0, 0
	s_delay_alu instid0(VALU_DEP_3) | instskip(SKIP_1) | instid1(VALU_DEP_2)
	v_bfi_b32 v20, v14, 0, v38
	v_lshrrev_b64 v[14:15], v113, v[38:39]
	v_cmp_eq_u64_e64 s10, v[20:21], v[16:17]
	s_delay_alu instid0(VALU_DEP_2)
	v_mov_b64_e32 v[16:17], v[14:15]
	s_and_saveexec_b32 s43, s10
; %bb.1372:                             ;   in Loop: Header=BB4_128 Depth=2
	v_bfe_u32 v38, v14, 20, 1
	s_delay_alu instid0(VALU_DEP_1) | instskip(NEXT) | instid1(VALU_DEP_1)
	v_add_nc_u64_e32 v[16:17], v[14:15], v[38:39]
	v_add_nc_u64_e32 v[16:17], -1, v[16:17]
; %bb.1373:                             ;   in Loop: Header=BB4_128 Depth=2
	s_or_b32 exec_lo, exec_lo, s43
	v_add_nc_u32_e32 v3, 0xffffff81, v101
	v_lshrrev_b32_e32 v15, 23, v14
	s_mov_b32 s10, exec_lo
	s_delay_alu instid0(VALU_DEP_2) | instskip(NEXT) | instid1(VALU_DEP_1)
	v_cndmask_b32_e64 v3, v3, 0xffffff82, vcc_lo
	v_add3_u32 v17, v113, v3, v15
	v_and_b32_e32 v3, 0xfffff, v16
	s_delay_alu instid0(VALU_DEP_1) | instskip(NEXT) | instid1(VALU_DEP_1)
	v_dual_add_nc_u32 v16, 6, v17 :: v_dual_add_nc_u32 v38, v3, v14
                                        ; implicit-def: $vgpr14_vgpr15
                                        ; implicit-def: $vgpr3
	v_cmpx_ne_u32_e32 0, v16
	s_xor_b32 s10, exec_lo, s10
; %bb.1374:                             ;   in Loop: Header=BB4_128 Depth=2
	s_delay_alu instid0(VALU_DEP_2) | instskip(SKIP_2) | instid1(VALU_DEP_2)
	v_cmp_lt_u64_e32 vcc_lo, 0xffffff, v[38:39]
	v_add_nc_u32_e32 v3, 7, v17
	v_cndmask_b32_e64 v14, 0, 1, vcc_lo
	v_cndmask_b32_e32 v3, v16, v3, vcc_lo
	s_delay_alu instid0(VALU_DEP_2)
	v_lshrrev_b64 v[14:15], v14, v[38:39]
; %bb.1375:                             ;   in Loop: Header=BB4_128 Depth=2
	s_and_not1_saveexec_b32 s10, s10
; %bb.1376:                             ;   in Loop: Header=BB4_128 Depth=2
	v_mov_b64_e32 v[14:15], v[38:39]
	v_bfe_u32 v3, v38, 23, 1
; %bb.1377:                             ;   in Loop: Header=BB4_128 Depth=2
	s_or_b32 exec_lo, exec_lo, s10
	s_delay_alu instid0(VALU_DEP_2) | instskip(NEXT) | instid1(VALU_DEP_2)
	v_lshrrev_b64 v[14:15], 20, v[14:15]
	v_cmp_gt_i32_e32 vcc_lo, 16, v3
	v_min_i32_e32 v16, 15, v3
	v_cmp_eq_u32_e64 s10, 0, v3
	s_delay_alu instid0(VALU_DEP_2) | instskip(SKIP_1) | instid1(VALU_DEP_2)
	v_dual_cndmask_b32 v14, 7, v14, vcc_lo :: v_dual_lshlrev_b32 v16, 3, v16
	v_cndmask_b32_e32 v15, 0, v15, vcc_lo
	v_and_b32_e32 v16, 0xf8, v16
	s_delay_alu instid0(VALU_DEP_2) | instskip(NEXT) | instid1(VALU_DEP_2)
	v_cmp_eq_u64_e32 vcc_lo, 0, v[14:15]
	v_and_or_b32 v3, v14, 7, v16
	s_and_b32 s10, s10, vcc_lo
	s_delay_alu instid0(VALU_DEP_1) | instid1(SALU_CYCLE_1)
	v_cndmask_b32_e64 v3, v3, 0, s10
	s_delay_alu instid0(VALU_DEP_1)
	v_or_b32_e32 v101, v3, v2
.LBB4_1378:                             ;   in Loop: Header=BB4_128 Depth=2
	s_or_b32 exec_lo, exec_lo, s42
                                        ; implicit-def: $vgpr2
.LBB4_1379:                             ;   in Loop: Header=BB4_128 Depth=2
	s_and_not1_saveexec_b32 s10, s41
; %bb.1380:                             ;   in Loop: Header=BB4_128 Depth=2
	v_or_b32_e32 v101, 0x7e, v2
; %bb.1381:                             ;   in Loop: Header=BB4_128 Depth=2
	s_or_b32 exec_lo, exec_lo, s10
                                        ; implicit-def: $vgpr2
.LBB4_1382:                             ;   in Loop: Header=BB4_128 Depth=2
	s_and_not1_saveexec_b32 s10, s40
; %bb.1383:                             ;   in Loop: Header=BB4_128 Depth=2
	v_or_b32_e32 v101, 0x7f, v2
; %bb.1384:                             ;   in Loop: Header=BB4_128 Depth=2
	s_or_b32 exec_lo, exec_lo, s10
	v_lshl_or_b32 v2, v72, 8, v58
	v_dual_mov_b32 v3, 0 :: v_dual_lshlrev_b32 v14, 16, v74
	v_lshlrev_b32_e32 v15, 24, v78
	s_mov_b32 s10, exec_lo
	s_delay_alu instid0(VALU_DEP_1)
	v_or3_b32 v38, v14, v15, v2
	v_mov_b32_e32 v14, 0
	v_cmpx_ne_u32_e32 0, v58
	s_cbranch_execz .LBB4_1390
; %bb.1385:                             ;   in Loop: Header=BB4_128 Depth=2
	v_bfrev_b32_e32 v14, 1
	s_mov_b32 s40, exec_lo
	v_cmpx_ne_u32_e32 0x80, v58
	s_cbranch_execz .LBB4_1389
; %bb.1386:                             ;   in Loop: Header=BB4_128 Depth=2
	v_and_b32_e32 v15, 0x7f, v58
	v_mov_b32_e32 v14, 0x7f800001
	s_mov_b32 s41, exec_lo
	s_delay_alu instid0(VALU_DEP_2)
	v_cmpx_ne_u32_e32 0x7f, v15
	s_cbranch_execz .LBB4_1388
; %bb.1387:                             ;   in Loop: Header=BB4_128 Depth=2
	v_dual_lshrrev_b32 v16, 3, v15 :: v_dual_bitop2_b32 v14, 7, v58 bitop3:0x40
	v_cmp_gt_u32_e32 vcc_lo, 8, v15
	s_delay_alu instid0(VALU_DEP_2) | instskip(NEXT) | instid1(VALU_DEP_1)
	v_clz_i32_u32_e32 v14, v14
	v_min_u32_e32 v14, 32, v14
	s_delay_alu instid0(VALU_DEP_1) | instskip(SKIP_1) | instid1(VALU_DEP_1)
	v_subrev_nc_u32_e32 v17, 28, v14
	v_sub_nc_u32_e32 v14, 29, v14
	v_dual_cndmask_b32 v16, v16, v14, vcc_lo :: v_dual_cndmask_b32 v14, 0, v17, vcc_lo
	s_delay_alu instid0(VALU_DEP_1) | instskip(NEXT) | instid1(VALU_DEP_2)
	v_lshl_add_u32 v16, v16, 23, 0x3c000000
	v_lshlrev_b64_e32 v[14:15], v14, v[38:39]
	v_lshlrev_b32_e32 v15, 24, v38
	s_delay_alu instid0(VALU_DEP_1) | instskip(NEXT) | instid1(VALU_DEP_3)
	v_and_b32_e32 v15, 0x80000000, v15
	v_lshlrev_b32_e32 v14, 20, v14
	s_delay_alu instid0(VALU_DEP_1) | instskip(NEXT) | instid1(VALU_DEP_1)
	v_and_b32_e32 v14, 0x700000, v14
	v_or3_b32 v14, v14, v15, v16
.LBB4_1388:                             ;   in Loop: Header=BB4_128 Depth=2
	s_or_b32 exec_lo, exec_lo, s41
.LBB4_1389:                             ;   in Loop: Header=BB4_128 Depth=2
	s_delay_alu instid0(SALU_CYCLE_1)
	s_or_b32 exec_lo, exec_lo, s40
.LBB4_1390:                             ;   in Loop: Header=BB4_128 Depth=2
	s_delay_alu instid0(SALU_CYCLE_1) | instskip(SKIP_3) | instid1(VALU_DEP_1)
	s_or_b32 exec_lo, exec_lo, s10
	s_wait_loadcnt 0x0
	v_and_b32_e32 v15, 0xff, v10
	s_mov_b32 s10, exec_lo
	v_cmpx_ne_u16_e32 0, v15
	s_cbranch_execz .LBB4_1396
; %bb.1391:                             ;   in Loop: Header=BB4_128 Depth=2
	v_bfrev_b32_e32 v3, 1
	s_mov_b32 s40, exec_lo
	v_cmpx_ne_u16_e32 0x80, v15
	s_cbranch_execz .LBB4_1395
; %bb.1392:                             ;   in Loop: Header=BB4_128 Depth=2
	v_and_b32_e32 v15, 0x7f, v10
	v_mov_b32_e32 v3, 0x7f800001
	s_mov_b32 s41, exec_lo
	s_delay_alu instid0(VALU_DEP_2)
	v_cmpx_ne_u32_e32 0x7f, v15
	s_cbranch_execz .LBB4_1394
; %bb.1393:                             ;   in Loop: Header=BB4_128 Depth=2
	v_dual_lshrrev_b32 v16, 3, v15 :: v_dual_bitop2_b32 v3, 7, v10 bitop3:0x40
	v_cmp_gt_u32_e32 vcc_lo, 8, v15
	s_delay_alu instid0(VALU_DEP_2) | instskip(NEXT) | instid1(VALU_DEP_1)
	v_clz_i32_u32_e32 v3, v3
	v_min_u32_e32 v3, 32, v3
	s_delay_alu instid0(VALU_DEP_1) | instskip(NEXT) | instid1(VALU_DEP_1)
	v_subrev_nc_u32_e32 v17, 28, v3
	v_dual_sub_nc_u32 v3, 29, v3 :: v_dual_cndmask_b32 v15, 0, v17, vcc_lo
	s_delay_alu instid0(VALU_DEP_1) | instskip(NEXT) | instid1(VALU_DEP_2)
	v_cndmask_b32_e32 v3, v16, v3, vcc_lo
	v_lshlrev_b64_e32 v[16:17], v15, v[10:11]
	v_lshlrev_b32_e32 v15, 24, v10
	s_delay_alu instid0(VALU_DEP_3) | instskip(NEXT) | instid1(VALU_DEP_2)
	v_lshl_add_u32 v3, v3, 23, 0x3c000000
	v_and_b32_e32 v15, 0x80000000, v15
	s_delay_alu instid0(VALU_DEP_4) | instskip(NEXT) | instid1(VALU_DEP_1)
	v_lshlrev_b32_e32 v16, 20, v16
	v_and_b32_e32 v16, 0x700000, v16
	s_delay_alu instid0(VALU_DEP_1)
	v_or3_b32 v3, v16, v15, v3
.LBB4_1394:                             ;   in Loop: Header=BB4_128 Depth=2
	s_or_b32 exec_lo, exec_lo, s41
.LBB4_1395:                             ;   in Loop: Header=BB4_128 Depth=2
	s_delay_alu instid0(SALU_CYCLE_1)
	s_or_b32 exec_lo, exec_lo, s40
.LBB4_1396:                             ;   in Loop: Header=BB4_128 Depth=2
	s_delay_alu instid0(SALU_CYCLE_1) | instskip(NEXT) | instid1(VALU_DEP_1)
	s_or_b32 exec_lo, exec_lo, s10
	v_dual_add_f32 v14, v14, v3 :: v_dual_mov_b32 v17, v39
                                        ; implicit-def: $vgpr58
	s_mov_b32 s10, exec_lo
	s_delay_alu instid0(VALU_DEP_1) | instskip(SKIP_1) | instid1(VALU_DEP_2)
	v_and_b32_e32 v16, 0x7f800000, v14
	v_lshrrev_b32_e32 v3, 24, v14
	v_cmpx_ne_u64_e32 0x7f800000, v[16:17]
	s_xor_b32 s40, exec_lo, s10
	s_cbranch_execz .LBB4_1410
; %bb.1397:                             ;   in Loop: Header=BB4_128 Depth=2
	v_and_b32_e32 v16, 0x7fffffff, v14
	v_mov_b32_e32 v17, v39
	v_and_b32_e32 v3, 0x80, v3
                                        ; implicit-def: $vgpr58
	s_mov_b32 s10, exec_lo
	s_delay_alu instid0(VALU_DEP_2)
	v_cmpx_gt_u64_e32 0x43e00001, v[16:17]
	s_xor_b32 s41, exec_lo, s10
	s_cbranch_execz .LBB4_1407
; %bb.1398:                             ;   in Loop: Header=BB4_128 Depth=2
	v_mov_b32_e32 v58, 0
	s_mov_b32 s42, exec_lo
	v_cmpx_ne_u32_e32 0, v14
	s_cbranch_execz .LBB4_1406
; %bb.1399:                             ;   in Loop: Header=BB4_128 Depth=2
	v_bfe_u32 v113, v14, 23, 8
	v_and_b32_e32 v16, 0x7fffff, v14
	s_mov_b32 s43, exec_lo
	s_delay_alu instid0(VALU_DEP_2) | instskip(NEXT) | instid1(VALU_DEP_2)
	v_cmp_gt_u32_e32 vcc_lo, 0x7a, v113
	v_or_b32_e32 v17, 0x800000, v16
	v_sub_nc_u32_e32 v15, 0x79, v113
	s_delay_alu instid0(VALU_DEP_1) | instskip(SKIP_1) | instid1(VALU_DEP_2)
	v_cndmask_b32_e32 v15, 0, v15, vcc_lo
	v_cmp_eq_u32_e32 vcc_lo, 0, v113
	v_cndmask_b32_e64 v58, v15, 0x78, vcc_lo
	v_dual_cndmask_b32 v16, v17, v16 :: v_dual_mov_b32 v17, v39
	s_delay_alu instid0(VALU_DEP_2) | instskip(NEXT) | instid1(VALU_DEP_1)
	v_dual_add_nc_u32 v20, 19, v58 :: v_dual_add_nc_u32 v14, 20, v58
	v_lshlrev_b64_e64 v[20:21], v20, 1
	s_delay_alu instid0(VALU_DEP_2) | instskip(NEXT) | instid1(VALU_DEP_1)
	v_lshlrev_b64_e64 v[14:15], v14, -1
	v_bfi_b32 v79, v15, 0, 0
	s_delay_alu instid0(VALU_DEP_2) | instskip(SKIP_1) | instid1(VALU_DEP_1)
	v_bfi_b32 v78, v14, 0, v16
	v_lshrrev_b64 v[14:15], v58, v[16:17]
	v_mov_b64_e32 v[16:17], v[14:15]
	s_delay_alu instid0(VALU_DEP_3)
	v_cmpx_eq_u64_e64 v[78:79], v[20:21]
; %bb.1400:                             ;   in Loop: Header=BB4_128 Depth=2
	v_bfe_u32 v16, v14, 20, 1
	v_mov_b32_e32 v17, v39
	s_delay_alu instid0(VALU_DEP_1) | instskip(NEXT) | instid1(VALU_DEP_1)
	v_add_nc_u64_e32 v[16:17], v[14:15], v[16:17]
	v_add_nc_u64_e32 v[16:17], -1, v[16:17]
; %bb.1401:                             ;   in Loop: Header=BB4_128 Depth=2
	s_or_b32 exec_lo, exec_lo, s43
	v_add_nc_u32_e32 v15, 0xffffff81, v113
	v_lshrrev_b32_e32 v17, 23, v14
	s_mov_b32 s10, exec_lo
	s_delay_alu instid0(VALU_DEP_2) | instskip(NEXT) | instid1(VALU_DEP_1)
	v_cndmask_b32_e64 v15, v15, 0xffffff82, vcc_lo
	v_add3_u32 v17, v58, v15, v17
	v_and_b32_e32 v15, 0xfffff, v16
                                        ; implicit-def: $vgpr16
	s_delay_alu instid0(VALU_DEP_1) | instskip(SKIP_1) | instid1(VALU_DEP_2)
	v_dual_add_nc_u32 v113, 6, v17 :: v_dual_add_nc_u32 v14, v15, v14
	v_mov_b32_e32 v15, v39
	v_cmpx_ne_u32_e32 0, v113
	s_xor_b32 s10, exec_lo, s10
; %bb.1402:                             ;   in Loop: Header=BB4_128 Depth=2
	s_delay_alu instid0(VALU_DEP_2) | instskip(SKIP_2) | instid1(VALU_DEP_2)
	v_cmp_lt_u64_e32 vcc_lo, 0xffffff, v[14:15]
	v_add_nc_u32_e32 v16, 7, v17
	v_cndmask_b32_e64 v17, 0, 1, vcc_lo
	v_cndmask_b32_e32 v16, v113, v16, vcc_lo
	s_delay_alu instid0(VALU_DEP_2)
	v_lshrrev_b64 v[14:15], v17, v[14:15]
; %bb.1403:                             ;   in Loop: Header=BB4_128 Depth=2
	s_and_not1_saveexec_b32 s10, s10
; %bb.1404:                             ;   in Loop: Header=BB4_128 Depth=2
	s_delay_alu instid0(VALU_DEP_1)
	v_bfe_u32 v16, v14, 23, 1
; %bb.1405:                             ;   in Loop: Header=BB4_128 Depth=2
	s_or_b32 exec_lo, exec_lo, s10
	s_delay_alu instid0(VALU_DEP_2) | instskip(NEXT) | instid1(VALU_DEP_2)
	v_lshrrev_b64 v[14:15], 20, v[14:15]
	v_cmp_gt_i32_e32 vcc_lo, 16, v16
	v_min_i32_e32 v17, 15, v16
	v_cmp_eq_u32_e64 s10, 0, v16
	s_delay_alu instid0(VALU_DEP_2) | instskip(SKIP_1) | instid1(VALU_DEP_2)
	v_dual_cndmask_b32 v15, 0, v15, vcc_lo :: v_dual_lshlrev_b32 v17, 3, v17
	v_cndmask_b32_e32 v14, 7, v14, vcc_lo
	v_and_b32_e32 v17, 0xf8, v17
	s_delay_alu instid0(VALU_DEP_2) | instskip(NEXT) | instid1(VALU_DEP_2)
	v_cmp_eq_u64_e32 vcc_lo, 0, v[14:15]
	v_and_or_b32 v14, v14, 7, v17
	s_and_b32 s10, s10, vcc_lo
	s_delay_alu instid0(VALU_DEP_1) | instid1(SALU_CYCLE_1)
	v_cndmask_b32_e64 v14, v14, 0, s10
	s_delay_alu instid0(VALU_DEP_1)
	v_or_b32_e32 v58, v14, v3
.LBB4_1406:                             ;   in Loop: Header=BB4_128 Depth=2
	s_or_b32 exec_lo, exec_lo, s42
                                        ; implicit-def: $vgpr3
.LBB4_1407:                             ;   in Loop: Header=BB4_128 Depth=2
	s_and_not1_saveexec_b32 s10, s41
; %bb.1408:                             ;   in Loop: Header=BB4_128 Depth=2
	v_or_b32_e32 v58, 0x7e, v3
; %bb.1409:                             ;   in Loop: Header=BB4_128 Depth=2
	s_or_b32 exec_lo, exec_lo, s10
                                        ; implicit-def: $vgpr3
.LBB4_1410:                             ;   in Loop: Header=BB4_128 Depth=2
	s_and_not1_saveexec_b32 s10, s40
; %bb.1411:                             ;   in Loop: Header=BB4_128 Depth=2
	v_or_b32_e32 v58, 0x7f, v3
; %bb.1412:                             ;   in Loop: Header=BB4_128 Depth=2
	s_or_b32 exec_lo, exec_lo, s10
	v_lshrrev_b16 v14, 8, v2
	v_dual_mov_b32 v3, 0 :: v_dual_mov_b32 v16, 0
	s_mov_b32 s10, exec_lo
	s_delay_alu instid0(VALU_DEP_2)
	v_cmpx_ne_u16_e32 0, v14
	s_cbranch_execz .LBB4_1420
; %bb.1413:                             ;   in Loop: Header=BB4_128 Depth=2
	v_bfrev_b32_e32 v16, 1
	s_mov_b32 s40, exec_lo
	v_cmpx_ne_u16_e32 0x80, v14
	s_cbranch_execz .LBB4_1419
; %bb.1414:                             ;   in Loop: Header=BB4_128 Depth=2
	v_and_b32_e32 v14, 0xffff, v14
	v_mov_b32_e32 v16, 0x7f800001
	s_mov_b32 s41, exec_lo
	s_delay_alu instid0(VALU_DEP_2) | instskip(NEXT) | instid1(VALU_DEP_1)
	v_and_b32_e32 v17, 0x7f, v14
	v_cmpx_ne_u32_e32 0x7f, v17
	s_cbranch_execz .LBB4_1418
; %bb.1415:                             ;   in Loop: Header=BB4_128 Depth=2
	v_dual_mov_b32 v15, v39 :: v_dual_bitop2_b32 v14, 7, v14 bitop3:0x40
	v_lshrrev_b32_e32 v16, 3, v17
	s_mov_b32 s42, exec_lo
	v_cmpx_gt_u32_e32 8, v17
; %bb.1416:                             ;   in Loop: Header=BB4_128 Depth=2
	s_delay_alu instid0(VALU_DEP_3) | instskip(NEXT) | instid1(VALU_DEP_1)
	v_clz_i32_u32_e32 v16, v14
	v_min_u32_e32 v16, 32, v16
	s_delay_alu instid0(VALU_DEP_1) | instskip(NEXT) | instid1(VALU_DEP_1)
	v_subrev_nc_u32_e32 v17, 28, v16
	v_lshlrev_b64_e32 v[14:15], v17, v[14:15]
	s_delay_alu instid0(VALU_DEP_1)
	v_dual_sub_nc_u32 v16, 29, v16 :: v_dual_bitop2_b32 v14, 7, v14 bitop3:0x40
; %bb.1417:                             ;   in Loop: Header=BB4_128 Depth=2
	s_or_b32 exec_lo, exec_lo, s42
	v_lshlrev_b32_e32 v2, 16, v2
	s_delay_alu instid0(VALU_DEP_2) | instskip(NEXT) | instid1(VALU_DEP_3)
	v_lshlrev_b32_e32 v14, 20, v14
	v_lshl_add_u32 v15, v16, 23, 0x3c000000
	s_delay_alu instid0(VALU_DEP_3) | instskip(NEXT) | instid1(VALU_DEP_1)
	v_and_b32_e32 v2, 0x80000000, v2
	v_or3_b32 v16, v14, v2, v15
.LBB4_1418:                             ;   in Loop: Header=BB4_128 Depth=2
	s_or_b32 exec_lo, exec_lo, s41
.LBB4_1419:                             ;   in Loop: Header=BB4_128 Depth=2
	s_delay_alu instid0(SALU_CYCLE_1)
	s_or_b32 exec_lo, exec_lo, s40
.LBB4_1420:                             ;   in Loop: Header=BB4_128 Depth=2
	s_delay_alu instid0(SALU_CYCLE_1) | instskip(SKIP_2) | instid1(VALU_DEP_1)
	s_or_b32 exec_lo, exec_lo, s10
	v_lshrrev_b16 v2, 8, v10
	s_mov_b32 s10, exec_lo
	v_cmpx_ne_u16_e32 0, v2
	s_cbranch_execz .LBB4_1428
; %bb.1421:                             ;   in Loop: Header=BB4_128 Depth=2
	v_bfrev_b32_e32 v3, 1
	s_mov_b32 s40, exec_lo
	v_cmpx_ne_u16_e32 0x80, v2
	s_cbranch_execz .LBB4_1427
; %bb.1422:                             ;   in Loop: Header=BB4_128 Depth=2
	v_and_b32_e32 v2, 0xffff, v2
	v_mov_b32_e32 v3, 0x7f800001
	s_mov_b32 s41, exec_lo
	s_delay_alu instid0(VALU_DEP_2) | instskip(NEXT) | instid1(VALU_DEP_1)
	v_and_b32_e32 v17, 0x7f, v2
	v_cmpx_ne_u32_e32 0x7f, v17
	s_cbranch_execz .LBB4_1426
; %bb.1423:                             ;   in Loop: Header=BB4_128 Depth=2
	v_dual_mov_b32 v15, v39 :: v_dual_bitop2_b32 v14, 7, v2 bitop3:0x40
	v_lshrrev_b32_e32 v2, 3, v17
	s_mov_b32 s42, exec_lo
	v_cmpx_gt_u32_e32 8, v17
; %bb.1424:                             ;   in Loop: Header=BB4_128 Depth=2
	s_delay_alu instid0(VALU_DEP_3) | instskip(NEXT) | instid1(VALU_DEP_1)
	v_clz_i32_u32_e32 v2, v14
	v_min_u32_e32 v2, 32, v2
	s_delay_alu instid0(VALU_DEP_1) | instskip(SKIP_1) | instid1(VALU_DEP_2)
	v_subrev_nc_u32_e32 v3, 28, v2
	v_sub_nc_u32_e32 v2, 29, v2
	v_lshlrev_b64_e32 v[14:15], v3, v[14:15]
	s_delay_alu instid0(VALU_DEP_1)
	v_and_b32_e32 v14, 7, v14
; %bb.1425:                             ;   in Loop: Header=BB4_128 Depth=2
	s_or_b32 exec_lo, exec_lo, s42
	v_lshlrev_b32_e32 v3, 16, v10
	s_delay_alu instid0(VALU_DEP_2) | instskip(SKIP_1) | instid1(VALU_DEP_3)
	v_lshlrev_b32_e32 v14, 20, v14
	v_lshl_add_u32 v2, v2, 23, 0x3c000000
	v_and_b32_e32 v3, 0x80000000, v3
	s_delay_alu instid0(VALU_DEP_1)
	v_or3_b32 v3, v14, v3, v2
.LBB4_1426:                             ;   in Loop: Header=BB4_128 Depth=2
	s_or_b32 exec_lo, exec_lo, s41
.LBB4_1427:                             ;   in Loop: Header=BB4_128 Depth=2
	s_delay_alu instid0(SALU_CYCLE_1)
	s_or_b32 exec_lo, exec_lo, s40
.LBB4_1428:                             ;   in Loop: Header=BB4_128 Depth=2
	s_delay_alu instid0(SALU_CYCLE_1) | instskip(NEXT) | instid1(VALU_DEP_1)
	s_or_b32 exec_lo, exec_lo, s10
	v_dual_add_f32 v3, v16, v3 :: v_dual_mov_b32 v15, v39
                                        ; implicit-def: $vgpr72
	s_mov_b32 s10, exec_lo
	s_delay_alu instid0(VALU_DEP_1) | instskip(SKIP_1) | instid1(VALU_DEP_2)
	v_and_b32_e32 v14, 0x7f800000, v3
	v_lshrrev_b32_e32 v2, 24, v3
	v_cmpx_ne_u64_e32 0x7f800000, v[14:15]
	s_xor_b32 s40, exec_lo, s10
	s_cbranch_execz .LBB4_1442
; %bb.1429:                             ;   in Loop: Header=BB4_128 Depth=2
	v_and_b32_e32 v14, 0x7fffffff, v3
	v_mov_b32_e32 v15, v39
	v_and_b32_e32 v2, 0x80, v2
                                        ; implicit-def: $vgpr72
	s_mov_b32 s10, exec_lo
	s_delay_alu instid0(VALU_DEP_2)
	v_cmpx_gt_u64_e32 0x43e00001, v[14:15]
	s_xor_b32 s41, exec_lo, s10
	s_cbranch_execz .LBB4_1439
; %bb.1430:                             ;   in Loop: Header=BB4_128 Depth=2
	v_mov_b32_e32 v72, 0
	s_mov_b32 s42, exec_lo
	v_cmpx_ne_u32_e32 0, v3
	s_cbranch_execz .LBB4_1438
; %bb.1431:                             ;   in Loop: Header=BB4_128 Depth=2
	v_bfe_u32 v113, v3, 23, 8
	v_and_b32_e32 v3, 0x7fffff, v3
	s_mov_b32 s43, exec_lo
	s_delay_alu instid0(VALU_DEP_2) | instskip(SKIP_1) | instid1(VALU_DEP_3)
	v_dual_mov_b32 v17, v39 :: v_dual_sub_nc_u32 v14, 0x79, v113
	v_cmp_gt_u32_e32 vcc_lo, 0x7a, v113
	v_or_b32_e32 v16, 0x800000, v3
	s_delay_alu instid0(VALU_DEP_3) | instskip(SKIP_1) | instid1(VALU_DEP_2)
	v_cndmask_b32_e32 v14, 0, v14, vcc_lo
	v_cmp_eq_u32_e32 vcc_lo, 0, v113
	v_cndmask_b32_e64 v72, v14, 0x78, vcc_lo
	s_delay_alu instid0(VALU_DEP_1) | instskip(SKIP_1) | instid1(VALU_DEP_2)
	v_dual_cndmask_b32 v16, v16, v3, vcc_lo :: v_dual_add_nc_u32 v14, 20, v72
	v_add_nc_u32_e32 v20, 19, v72
	v_lshlrev_b64_e64 v[14:15], v14, -1
	s_delay_alu instid0(VALU_DEP_2) | instskip(NEXT) | instid1(VALU_DEP_2)
	v_lshlrev_b64_e64 v[20:21], v20, 1
	v_bfi_b32 v79, v15, 0, 0
	s_delay_alu instid0(VALU_DEP_3) | instskip(SKIP_1) | instid1(VALU_DEP_1)
	v_bfi_b32 v78, v14, 0, v16
	v_lshrrev_b64 v[14:15], v72, v[16:17]
	v_mov_b64_e32 v[16:17], v[14:15]
	s_delay_alu instid0(VALU_DEP_3)
	v_cmpx_eq_u64_e64 v[78:79], v[20:21]
; %bb.1432:                             ;   in Loop: Header=BB4_128 Depth=2
	v_bfe_u32 v16, v14, 20, 1
	v_mov_b32_e32 v17, v39
	s_delay_alu instid0(VALU_DEP_1) | instskip(NEXT) | instid1(VALU_DEP_1)
	v_add_nc_u64_e32 v[16:17], v[14:15], v[16:17]
	v_add_nc_u64_e32 v[16:17], -1, v[16:17]
; %bb.1433:                             ;   in Loop: Header=BB4_128 Depth=2
	s_or_b32 exec_lo, exec_lo, s43
	v_add_nc_u32_e32 v3, 0xffffff81, v113
	v_lshrrev_b32_e32 v15, 23, v14
	s_mov_b32 s10, exec_lo
	s_delay_alu instid0(VALU_DEP_2) | instskip(NEXT) | instid1(VALU_DEP_1)
	v_cndmask_b32_e64 v3, v3, 0xffffff82, vcc_lo
	v_add3_u32 v17, v72, v3, v15
	v_and_b32_e32 v3, 0xfffff, v16
	s_delay_alu instid0(VALU_DEP_2) | instskip(NEXT) | instid1(VALU_DEP_2)
	v_dual_mov_b32 v15, v39 :: v_dual_add_nc_u32 v16, 6, v17
	v_add_nc_u32_e32 v14, v3, v14
                                        ; implicit-def: $vgpr3
	s_delay_alu instid0(VALU_DEP_2)
	v_cmpx_ne_u32_e32 0, v16
	s_xor_b32 s10, exec_lo, s10
; %bb.1434:                             ;   in Loop: Header=BB4_128 Depth=2
	s_delay_alu instid0(VALU_DEP_2) | instskip(SKIP_1) | instid1(VALU_DEP_1)
	v_cmp_lt_u64_e32 vcc_lo, 0xffffff, v[14:15]
	v_add_nc_u32_e32 v3, 7, v17
	v_cndmask_b32_e32 v3, v16, v3, vcc_lo
	v_cndmask_b32_e64 v16, 0, 1, vcc_lo
	s_delay_alu instid0(VALU_DEP_1)
	v_lshrrev_b64 v[14:15], v16, v[14:15]
; %bb.1435:                             ;   in Loop: Header=BB4_128 Depth=2
	s_and_not1_saveexec_b32 s10, s10
; %bb.1436:                             ;   in Loop: Header=BB4_128 Depth=2
	s_delay_alu instid0(VALU_DEP_1)
	v_bfe_u32 v3, v14, 23, 1
; %bb.1437:                             ;   in Loop: Header=BB4_128 Depth=2
	s_or_b32 exec_lo, exec_lo, s10
	s_delay_alu instid0(VALU_DEP_2) | instskip(NEXT) | instid1(VALU_DEP_2)
	v_lshrrev_b64 v[14:15], 20, v[14:15]
	v_cmp_gt_i32_e32 vcc_lo, 16, v3
	v_min_i32_e32 v16, 15, v3
	v_cmp_eq_u32_e64 s10, 0, v3
	s_delay_alu instid0(VALU_DEP_2) | instskip(SKIP_1) | instid1(VALU_DEP_2)
	v_dual_cndmask_b32 v14, 7, v14, vcc_lo :: v_dual_lshlrev_b32 v16, 3, v16
	v_cndmask_b32_e32 v15, 0, v15, vcc_lo
	v_and_b32_e32 v16, 0xf8, v16
	s_delay_alu instid0(VALU_DEP_2) | instskip(NEXT) | instid1(VALU_DEP_2)
	v_cmp_eq_u64_e32 vcc_lo, 0, v[14:15]
	v_and_or_b32 v3, v14, 7, v16
	s_and_b32 s10, s10, vcc_lo
	s_delay_alu instid0(VALU_DEP_1) | instid1(SALU_CYCLE_1)
	v_cndmask_b32_e64 v3, v3, 0, s10
	s_delay_alu instid0(VALU_DEP_1)
	v_or_b32_e32 v72, v3, v2
.LBB4_1438:                             ;   in Loop: Header=BB4_128 Depth=2
	s_or_b32 exec_lo, exec_lo, s42
                                        ; implicit-def: $vgpr2
.LBB4_1439:                             ;   in Loop: Header=BB4_128 Depth=2
	s_and_not1_saveexec_b32 s10, s41
; %bb.1440:                             ;   in Loop: Header=BB4_128 Depth=2
	v_or_b32_e32 v72, 0x7e, v2
; %bb.1441:                             ;   in Loop: Header=BB4_128 Depth=2
	s_or_b32 exec_lo, exec_lo, s10
                                        ; implicit-def: $vgpr2
.LBB4_1442:                             ;   in Loop: Header=BB4_128 Depth=2
	s_and_not1_saveexec_b32 s10, s40
; %bb.1443:                             ;   in Loop: Header=BB4_128 Depth=2
	v_or_b32_e32 v72, 0x7f, v2
; %bb.1444:                             ;   in Loop: Header=BB4_128 Depth=2
	s_or_b32 exec_lo, exec_lo, s10
	v_dual_lshrrev_b32 v16, 16, v38 :: v_dual_mov_b32 v2, 0
	v_mov_b32_e32 v3, 0
	s_mov_b32 s10, exec_lo
	s_delay_alu instid0(VALU_DEP_2) | instskip(NEXT) | instid1(VALU_DEP_1)
	v_and_b32_e32 v14, 0xff, v16
	v_cmpx_ne_u16_e32 0, v14
	s_cbranch_execz .LBB4_1452
; %bb.1445:                             ;   in Loop: Header=BB4_128 Depth=2
	v_bfrev_b32_e32 v3, 1
	s_mov_b32 s40, exec_lo
	v_cmpx_ne_u16_e32 0x80, v14
	s_cbranch_execz .LBB4_1451
; %bb.1446:                             ;   in Loop: Header=BB4_128 Depth=2
	v_bfe_u32 v17, v38, 16, 7
	v_mov_b32_e32 v3, 0x7f800001
	s_mov_b32 s41, exec_lo
	s_delay_alu instid0(VALU_DEP_2)
	v_cmpx_ne_u32_e32 0x7f, v17
	s_cbranch_execz .LBB4_1450
; %bb.1447:                             ;   in Loop: Header=BB4_128 Depth=2
	v_dual_mov_b32 v15, v39 :: v_dual_bitop2_b32 v14, 7, v16 bitop3:0x40
	v_lshrrev_b32_e32 v3, 3, v17
	s_mov_b32 s42, exec_lo
	v_cmpx_gt_u32_e32 8, v17
; %bb.1448:                             ;   in Loop: Header=BB4_128 Depth=2
	s_delay_alu instid0(VALU_DEP_3) | instskip(NEXT) | instid1(VALU_DEP_1)
	v_clz_i32_u32_e32 v3, v14
	v_min_u32_e32 v3, 32, v3
	s_delay_alu instid0(VALU_DEP_1) | instskip(NEXT) | instid1(VALU_DEP_1)
	v_subrev_nc_u32_e32 v17, 28, v3
	v_lshlrev_b64_e32 v[14:15], v17, v[14:15]
	s_delay_alu instid0(VALU_DEP_1)
	v_dual_sub_nc_u32 v3, 29, v3 :: v_dual_bitop2_b32 v14, 7, v14 bitop3:0x40
; %bb.1449:                             ;   in Loop: Header=BB4_128 Depth=2
	s_or_b32 exec_lo, exec_lo, s42
	s_delay_alu instid0(VALU_DEP_1) | instskip(NEXT) | instid1(VALU_DEP_2)
	v_dual_lshlrev_b32 v15, 24, v16 :: v_dual_lshlrev_b32 v14, 20, v14
	v_lshl_add_u32 v3, v3, 23, 0x3c000000
	s_delay_alu instid0(VALU_DEP_2) | instskip(NEXT) | instid1(VALU_DEP_1)
	v_and_b32_e32 v15, 0x80000000, v15
	v_or3_b32 v3, v14, v15, v3
.LBB4_1450:                             ;   in Loop: Header=BB4_128 Depth=2
	s_or_b32 exec_lo, exec_lo, s41
.LBB4_1451:                             ;   in Loop: Header=BB4_128 Depth=2
	s_delay_alu instid0(SALU_CYCLE_1)
	s_or_b32 exec_lo, exec_lo, s40
.LBB4_1452:                             ;   in Loop: Header=BB4_128 Depth=2
	s_delay_alu instid0(SALU_CYCLE_1) | instskip(SKIP_2) | instid1(VALU_DEP_1)
	s_or_b32 exec_lo, exec_lo, s10
	v_lshrrev_b32_e32 v14, 16, v10
	s_mov_b32 s10, exec_lo
	v_and_b32_e32 v15, 0xff, v14
	s_delay_alu instid0(VALU_DEP_1)
	v_cmpx_ne_u16_e32 0, v15
	s_cbranch_execz .LBB4_1460
; %bb.1453:                             ;   in Loop: Header=BB4_128 Depth=2
	v_bfrev_b32_e32 v2, 1
	s_mov_b32 s40, exec_lo
	v_cmpx_ne_u16_e32 0x80, v15
	s_cbranch_execz .LBB4_1459
; %bb.1454:                             ;   in Loop: Header=BB4_128 Depth=2
	v_bfe_u32 v16, v10, 16, 7
	v_mov_b32_e32 v2, 0x7f800001
	s_mov_b32 s41, exec_lo
	s_delay_alu instid0(VALU_DEP_2)
	v_cmpx_ne_u32_e32 0x7f, v16
	s_cbranch_execz .LBB4_1458
; %bb.1455:                             ;   in Loop: Header=BB4_128 Depth=2
	v_dual_mov_b32 v15, v39 :: v_dual_bitop2_b32 v14, 7, v14 bitop3:0x40
	v_lshrrev_b32_e32 v2, 3, v16
	s_mov_b32 s42, exec_lo
	v_cmpx_gt_u32_e32 8, v16
; %bb.1456:                             ;   in Loop: Header=BB4_128 Depth=2
	s_delay_alu instid0(VALU_DEP_3) | instskip(NEXT) | instid1(VALU_DEP_1)
	v_clz_i32_u32_e32 v2, v14
	v_min_u32_e32 v2, 32, v2
	s_delay_alu instid0(VALU_DEP_1) | instskip(SKIP_1) | instid1(VALU_DEP_2)
	v_subrev_nc_u32_e32 v16, 28, v2
	v_sub_nc_u32_e32 v2, 29, v2
	v_lshlrev_b64_e32 v[14:15], v16, v[14:15]
	s_delay_alu instid0(VALU_DEP_1)
	v_and_b32_e32 v14, 7, v14
; %bb.1457:                             ;   in Loop: Header=BB4_128 Depth=2
	s_or_b32 exec_lo, exec_lo, s42
	v_lshlrev_b32_e32 v15, 8, v10
	s_delay_alu instid0(VALU_DEP_2) | instskip(SKIP_1) | instid1(VALU_DEP_3)
	v_lshlrev_b32_e32 v14, 20, v14
	v_lshl_add_u32 v2, v2, 23, 0x3c000000
	v_and_b32_e32 v15, 0x80000000, v15
	s_delay_alu instid0(VALU_DEP_1)
	v_or3_b32 v2, v14, v15, v2
.LBB4_1458:                             ;   in Loop: Header=BB4_128 Depth=2
	s_or_b32 exec_lo, exec_lo, s41
.LBB4_1459:                             ;   in Loop: Header=BB4_128 Depth=2
	s_delay_alu instid0(SALU_CYCLE_1)
	s_or_b32 exec_lo, exec_lo, s40
.LBB4_1460:                             ;   in Loop: Header=BB4_128 Depth=2
	s_delay_alu instid0(SALU_CYCLE_1) | instskip(NEXT) | instid1(VALU_DEP_1)
	s_or_b32 exec_lo, exec_lo, s10
	v_add_f32_e32 v3, v3, v2
	v_mov_b32_e32 v15, v39
                                        ; implicit-def: $vgpr74
	s_mov_b32 s10, exec_lo
	s_delay_alu instid0(VALU_DEP_2) | instskip(SKIP_1) | instid1(VALU_DEP_2)
	v_and_b32_e32 v14, 0x7f800000, v3
	v_lshrrev_b32_e32 v2, 24, v3
	v_cmpx_ne_u64_e32 0x7f800000, v[14:15]
	s_xor_b32 s40, exec_lo, s10
	s_cbranch_execz .LBB4_1474
; %bb.1461:                             ;   in Loop: Header=BB4_128 Depth=2
	v_and_b32_e32 v14, 0x7fffffff, v3
	v_mov_b32_e32 v15, v39
	v_and_b32_e32 v2, 0x80, v2
                                        ; implicit-def: $vgpr74
	s_mov_b32 s10, exec_lo
	s_delay_alu instid0(VALU_DEP_2)
	v_cmpx_gt_u64_e32 0x43e00001, v[14:15]
	s_xor_b32 s41, exec_lo, s10
	s_cbranch_execz .LBB4_1471
; %bb.1462:                             ;   in Loop: Header=BB4_128 Depth=2
	v_mov_b32_e32 v74, 0
	s_mov_b32 s42, exec_lo
	v_cmpx_ne_u32_e32 0, v3
	s_cbranch_execz .LBB4_1470
; %bb.1463:                             ;   in Loop: Header=BB4_128 Depth=2
	v_bfe_u32 v113, v3, 23, 8
	v_and_b32_e32 v3, 0x7fffff, v3
	s_mov_b32 s43, exec_lo
	s_delay_alu instid0(VALU_DEP_2) | instskip(SKIP_1) | instid1(VALU_DEP_3)
	v_dual_mov_b32 v17, v39 :: v_dual_sub_nc_u32 v14, 0x79, v113
	v_cmp_gt_u32_e32 vcc_lo, 0x7a, v113
	v_or_b32_e32 v16, 0x800000, v3
	s_delay_alu instid0(VALU_DEP_3) | instskip(SKIP_1) | instid1(VALU_DEP_3)
	v_cndmask_b32_e32 v14, 0, v14, vcc_lo
	v_cmp_eq_u32_e32 vcc_lo, 0, v113
	v_cndmask_b32_e32 v16, v16, v3, vcc_lo
	s_delay_alu instid0(VALU_DEP_3) | instskip(NEXT) | instid1(VALU_DEP_1)
	v_cndmask_b32_e64 v74, v14, 0x78, vcc_lo
	v_dual_add_nc_u32 v14, 20, v74 :: v_dual_add_nc_u32 v20, 19, v74
	s_delay_alu instid0(VALU_DEP_1) | instskip(NEXT) | instid1(VALU_DEP_2)
	v_lshlrev_b64_e64 v[14:15], v14, -1
	v_lshlrev_b64_e64 v[20:21], v20, 1
	s_delay_alu instid0(VALU_DEP_2) | instskip(NEXT) | instid1(VALU_DEP_3)
	v_bfi_b32 v79, v15, 0, 0
	v_bfi_b32 v78, v14, 0, v16
	v_lshrrev_b64 v[14:15], v74, v[16:17]
	s_delay_alu instid0(VALU_DEP_1) | instskip(NEXT) | instid1(VALU_DEP_3)
	v_mov_b64_e32 v[16:17], v[14:15]
	v_cmpx_eq_u64_e64 v[78:79], v[20:21]
; %bb.1464:                             ;   in Loop: Header=BB4_128 Depth=2
	v_bfe_u32 v16, v14, 20, 1
	v_mov_b32_e32 v17, v39
	s_delay_alu instid0(VALU_DEP_1) | instskip(NEXT) | instid1(VALU_DEP_1)
	v_add_nc_u64_e32 v[16:17], v[14:15], v[16:17]
	v_add_nc_u64_e32 v[16:17], -1, v[16:17]
; %bb.1465:                             ;   in Loop: Header=BB4_128 Depth=2
	s_or_b32 exec_lo, exec_lo, s43
	v_add_nc_u32_e32 v3, 0xffffff81, v113
	v_lshrrev_b32_e32 v15, 23, v14
	s_mov_b32 s10, exec_lo
	s_delay_alu instid0(VALU_DEP_2) | instskip(NEXT) | instid1(VALU_DEP_1)
	v_cndmask_b32_e64 v3, v3, 0xffffff82, vcc_lo
	v_add3_u32 v17, v74, v3, v15
	v_and_b32_e32 v3, 0xfffff, v16
	s_delay_alu instid0(VALU_DEP_2) | instskip(NEXT) | instid1(VALU_DEP_2)
	v_dual_mov_b32 v15, v39 :: v_dual_add_nc_u32 v16, 6, v17
	v_add_nc_u32_e32 v14, v3, v14
                                        ; implicit-def: $vgpr3
	s_delay_alu instid0(VALU_DEP_2)
	v_cmpx_ne_u32_e32 0, v16
	s_xor_b32 s10, exec_lo, s10
; %bb.1466:                             ;   in Loop: Header=BB4_128 Depth=2
	s_delay_alu instid0(VALU_DEP_2) | instskip(SKIP_1) | instid1(VALU_DEP_1)
	v_cmp_lt_u64_e32 vcc_lo, 0xffffff, v[14:15]
	v_add_nc_u32_e32 v3, 7, v17
	v_cndmask_b32_e32 v3, v16, v3, vcc_lo
	v_cndmask_b32_e64 v16, 0, 1, vcc_lo
	s_delay_alu instid0(VALU_DEP_1)
	v_lshrrev_b64 v[14:15], v16, v[14:15]
; %bb.1467:                             ;   in Loop: Header=BB4_128 Depth=2
	s_and_not1_saveexec_b32 s10, s10
; %bb.1468:                             ;   in Loop: Header=BB4_128 Depth=2
	s_delay_alu instid0(VALU_DEP_1)
	v_bfe_u32 v3, v14, 23, 1
; %bb.1469:                             ;   in Loop: Header=BB4_128 Depth=2
	s_or_b32 exec_lo, exec_lo, s10
	s_delay_alu instid0(VALU_DEP_2) | instskip(NEXT) | instid1(VALU_DEP_2)
	v_lshrrev_b64 v[14:15], 20, v[14:15]
	v_cmp_gt_i32_e32 vcc_lo, 16, v3
	v_min_i32_e32 v16, 15, v3
	v_cmp_eq_u32_e64 s10, 0, v3
	s_delay_alu instid0(VALU_DEP_2) | instskip(SKIP_1) | instid1(VALU_DEP_2)
	v_dual_cndmask_b32 v14, 7, v14, vcc_lo :: v_dual_lshlrev_b32 v16, 3, v16
	v_cndmask_b32_e32 v15, 0, v15, vcc_lo
	v_and_b32_e32 v16, 0xf8, v16
	s_delay_alu instid0(VALU_DEP_2) | instskip(NEXT) | instid1(VALU_DEP_2)
	v_cmp_eq_u64_e32 vcc_lo, 0, v[14:15]
	v_and_or_b32 v3, v14, 7, v16
	s_and_b32 s10, s10, vcc_lo
	s_delay_alu instid0(VALU_DEP_1) | instid1(SALU_CYCLE_1)
	v_cndmask_b32_e64 v3, v3, 0, s10
	s_delay_alu instid0(VALU_DEP_1)
	v_or_b32_e32 v74, v3, v2
.LBB4_1470:                             ;   in Loop: Header=BB4_128 Depth=2
	s_or_b32 exec_lo, exec_lo, s42
                                        ; implicit-def: $vgpr2
.LBB4_1471:                             ;   in Loop: Header=BB4_128 Depth=2
	s_and_not1_saveexec_b32 s10, s41
; %bb.1472:                             ;   in Loop: Header=BB4_128 Depth=2
	v_or_b32_e32 v74, 0x7e, v2
; %bb.1473:                             ;   in Loop: Header=BB4_128 Depth=2
	s_or_b32 exec_lo, exec_lo, s10
                                        ; implicit-def: $vgpr2
.LBB4_1474:                             ;   in Loop: Header=BB4_128 Depth=2
	s_and_not1_saveexec_b32 s10, s40
; %bb.1475:                             ;   in Loop: Header=BB4_128 Depth=2
	v_or_b32_e32 v74, 0x7f, v2
; %bb.1476:                             ;   in Loop: Header=BB4_128 Depth=2
	s_or_b32 exec_lo, exec_lo, s10
	v_dual_mov_b32 v2, 0 :: v_dual_mov_b32 v3, 0
	s_mov_b32 s10, exec_lo
	v_cmpx_lt_u32_e32 0xffffff, v38
	s_cbranch_execz .LBB4_1484
; %bb.1477:                             ;   in Loop: Header=BB4_128 Depth=2
	v_lshrrev_b32_e32 v14, 24, v38
	v_bfrev_b32_e32 v3, 1
	s_mov_b32 s40, exec_lo
	s_delay_alu instid0(VALU_DEP_2)
	v_cmpx_ne_u32_e32 0x80, v14
	s_cbranch_execz .LBB4_1483
; %bb.1478:                             ;   in Loop: Header=BB4_128 Depth=2
	v_bfe_u32 v15, v38, 24, 7
	v_mov_b32_e32 v3, 0x7f800001
	s_mov_b32 s41, exec_lo
	s_delay_alu instid0(VALU_DEP_2)
	v_cmpx_ne_u32_e32 0x7f, v15
	s_cbranch_execz .LBB4_1482
; %bb.1479:                             ;   in Loop: Header=BB4_128 Depth=2
	v_dual_lshrrev_b32 v3, 3, v15 :: v_dual_bitop2_b32 v38, 7, v14 bitop3:0x40
	s_mov_b32 s42, exec_lo
	v_cmpx_gt_u32_e32 8, v15
; %bb.1480:                             ;   in Loop: Header=BB4_128 Depth=2
	s_delay_alu instid0(VALU_DEP_2) | instskip(NEXT) | instid1(VALU_DEP_1)
	v_clz_i32_u32_e32 v3, v38
	v_min_u32_e32 v3, 32, v3
	s_delay_alu instid0(VALU_DEP_1) | instskip(NEXT) | instid1(VALU_DEP_1)
	v_subrev_nc_u32_e32 v15, 28, v3
	v_lshlrev_b64_e32 v[16:17], v15, v[38:39]
	s_delay_alu instid0(VALU_DEP_1)
	v_dual_sub_nc_u32 v3, 29, v3 :: v_dual_bitop2_b32 v38, 7, v16 bitop3:0x40
; %bb.1481:                             ;   in Loop: Header=BB4_128 Depth=2
	s_or_b32 exec_lo, exec_lo, s42
	v_lshlrev_b32_e32 v14, 24, v14
	s_delay_alu instid0(VALU_DEP_2) | instskip(NEXT) | instid1(VALU_DEP_3)
	v_lshlrev_b32_e32 v15, 20, v38
	v_lshl_add_u32 v3, v3, 23, 0x3c000000
	s_delay_alu instid0(VALU_DEP_3) | instskip(NEXT) | instid1(VALU_DEP_1)
	v_and_b32_e32 v14, 0x80000000, v14
	v_or3_b32 v3, v15, v14, v3
.LBB4_1482:                             ;   in Loop: Header=BB4_128 Depth=2
	s_or_b32 exec_lo, exec_lo, s41
.LBB4_1483:                             ;   in Loop: Header=BB4_128 Depth=2
	s_delay_alu instid0(SALU_CYCLE_1)
	s_or_b32 exec_lo, exec_lo, s40
.LBB4_1484:                             ;   in Loop: Header=BB4_128 Depth=2
	s_delay_alu instid0(SALU_CYCLE_1) | instskip(NEXT) | instid1(SALU_CYCLE_1)
	s_or_b32 exec_lo, exec_lo, s10
	s_mov_b32 s10, exec_lo
	v_cmpx_lt_u32_e32 0xffffff, v10
	s_cbranch_execz .LBB4_1492
; %bb.1485:                             ;   in Loop: Header=BB4_128 Depth=2
	v_lshrrev_b32_e32 v14, 24, v10
	v_bfrev_b32_e32 v2, 1
	s_mov_b32 s40, exec_lo
	s_delay_alu instid0(VALU_DEP_2)
	v_cmpx_ne_u32_e32 0x80, v14
	s_cbranch_execz .LBB4_1491
; %bb.1486:                             ;   in Loop: Header=BB4_128 Depth=2
	v_bfe_u32 v15, v10, 24, 7
	v_mov_b32_e32 v2, 0x7f800001
	s_mov_b32 s41, exec_lo
	s_delay_alu instid0(VALU_DEP_2)
	v_cmpx_ne_u32_e32 0x7f, v15
	s_cbranch_execz .LBB4_1490
; %bb.1487:                             ;   in Loop: Header=BB4_128 Depth=2
	v_dual_lshrrev_b32 v2, 3, v15 :: v_dual_bitop2_b32 v38, 7, v14 bitop3:0x40
	s_mov_b32 s42, exec_lo
	v_cmpx_gt_u32_e32 8, v15
; %bb.1488:                             ;   in Loop: Header=BB4_128 Depth=2
	s_delay_alu instid0(VALU_DEP_2) | instskip(NEXT) | instid1(VALU_DEP_1)
	v_clz_i32_u32_e32 v2, v38
	v_min_u32_e32 v2, 32, v2
	s_delay_alu instid0(VALU_DEP_1) | instskip(NEXT) | instid1(VALU_DEP_1)
	v_subrev_nc_u32_e32 v15, 28, v2
	v_lshlrev_b64_e32 v[16:17], v15, v[38:39]
	s_delay_alu instid0(VALU_DEP_1)
	v_dual_sub_nc_u32 v2, 29, v2 :: v_dual_bitop2_b32 v38, 7, v16 bitop3:0x40
; %bb.1489:                             ;   in Loop: Header=BB4_128 Depth=2
	s_or_b32 exec_lo, exec_lo, s42
	v_lshlrev_b32_e32 v14, 24, v14
	s_delay_alu instid0(VALU_DEP_2) | instskip(NEXT) | instid1(VALU_DEP_3)
	v_lshlrev_b32_e32 v15, 20, v38
	v_lshl_add_u32 v2, v2, 23, 0x3c000000
	s_delay_alu instid0(VALU_DEP_3) | instskip(NEXT) | instid1(VALU_DEP_1)
	v_and_b32_e32 v14, 0x80000000, v14
	v_or3_b32 v2, v15, v14, v2
.LBB4_1490:                             ;   in Loop: Header=BB4_128 Depth=2
	s_or_b32 exec_lo, exec_lo, s41
.LBB4_1491:                             ;   in Loop: Header=BB4_128 Depth=2
	s_delay_alu instid0(SALU_CYCLE_1)
	s_or_b32 exec_lo, exec_lo, s40
.LBB4_1492:                             ;   in Loop: Header=BB4_128 Depth=2
	s_delay_alu instid0(SALU_CYCLE_1) | instskip(NEXT) | instid1(VALU_DEP_1)
	s_or_b32 exec_lo, exec_lo, s10
	v_add_f32_e32 v3, v3, v2
                                        ; implicit-def: $vgpr78
	s_mov_b32 s10, exec_lo
	s_delay_alu instid0(VALU_DEP_1) | instskip(SKIP_1) | instid1(VALU_DEP_2)
	v_and_b32_e32 v38, 0x7f800000, v3
	v_lshrrev_b32_e32 v2, 24, v3
	v_cmpx_ne_u64_e32 0x7f800000, v[38:39]
	s_xor_b32 s40, exec_lo, s10
	s_cbranch_execz .LBB4_1506
; %bb.1493:                             ;   in Loop: Header=BB4_128 Depth=2
	v_and_b32_e32 v38, 0x7fffffff, v3
	v_and_b32_e32 v2, 0x80, v2
                                        ; implicit-def: $vgpr78
	s_mov_b32 s10, exec_lo
	s_delay_alu instid0(VALU_DEP_2)
	v_cmpx_gt_u64_e32 0x43e00001, v[38:39]
	s_xor_b32 s41, exec_lo, s10
	s_cbranch_execz .LBB4_1503
; %bb.1494:                             ;   in Loop: Header=BB4_128 Depth=2
	v_mov_b32_e32 v78, 0
	s_mov_b32 s42, exec_lo
	v_cmpx_ne_u32_e32 0, v3
	s_cbranch_execz .LBB4_1502
; %bb.1495:                             ;   in Loop: Header=BB4_128 Depth=2
	v_bfe_u32 v113, v3, 23, 8
	v_and_b32_e32 v3, 0x7fffff, v3
	s_delay_alu instid0(VALU_DEP_2) | instskip(SKIP_1) | instid1(VALU_DEP_3)
	v_sub_nc_u32_e32 v14, 0x79, v113
	v_cmp_gt_u32_e32 vcc_lo, 0x7a, v113
	v_or_b32_e32 v16, 0x800000, v3
	s_delay_alu instid0(VALU_DEP_3) | instskip(SKIP_1) | instid1(VALU_DEP_3)
	v_cndmask_b32_e32 v14, 0, v14, vcc_lo
	v_cmp_eq_u32_e32 vcc_lo, 0, v113
	v_cndmask_b32_e32 v38, v16, v3, vcc_lo
	s_delay_alu instid0(VALU_DEP_3) | instskip(NEXT) | instid1(VALU_DEP_1)
	v_cndmask_b32_e64 v78, v14, 0x78, vcc_lo
	v_dual_add_nc_u32 v14, 20, v78 :: v_dual_add_nc_u32 v17, 19, v78
	s_delay_alu instid0(VALU_DEP_1) | instskip(NEXT) | instid1(VALU_DEP_2)
	v_lshlrev_b64_e64 v[14:15], v14, -1
	v_lshlrev_b64_e64 v[16:17], v17, 1
	s_delay_alu instid0(VALU_DEP_2) | instskip(NEXT) | instid1(VALU_DEP_3)
	v_bfi_b32 v21, v15, 0, 0
	v_bfi_b32 v20, v14, 0, v38
	v_lshrrev_b64 v[14:15], v78, v[38:39]
	s_delay_alu instid0(VALU_DEP_2) | instskip(NEXT) | instid1(VALU_DEP_2)
	v_cmp_eq_u64_e64 s10, v[20:21], v[16:17]
	v_mov_b64_e32 v[16:17], v[14:15]
	s_and_saveexec_b32 s43, s10
; %bb.1496:                             ;   in Loop: Header=BB4_128 Depth=2
	v_bfe_u32 v38, v14, 20, 1
	s_delay_alu instid0(VALU_DEP_1) | instskip(NEXT) | instid1(VALU_DEP_1)
	v_add_nc_u64_e32 v[16:17], v[14:15], v[38:39]
	v_add_nc_u64_e32 v[16:17], -1, v[16:17]
; %bb.1497:                             ;   in Loop: Header=BB4_128 Depth=2
	s_or_b32 exec_lo, exec_lo, s43
	v_add_nc_u32_e32 v3, 0xffffff81, v113
	v_lshrrev_b32_e32 v15, 23, v14
	s_mov_b32 s10, exec_lo
	s_delay_alu instid0(VALU_DEP_2) | instskip(NEXT) | instid1(VALU_DEP_1)
	v_cndmask_b32_e64 v3, v3, 0xffffff82, vcc_lo
	v_add3_u32 v17, v78, v3, v15
	v_and_b32_e32 v3, 0xfffff, v16
	s_delay_alu instid0(VALU_DEP_1) | instskip(NEXT) | instid1(VALU_DEP_1)
	v_dual_add_nc_u32 v16, 6, v17 :: v_dual_add_nc_u32 v38, v3, v14
                                        ; implicit-def: $vgpr14_vgpr15
                                        ; implicit-def: $vgpr3
	v_cmpx_ne_u32_e32 0, v16
	s_xor_b32 s10, exec_lo, s10
; %bb.1498:                             ;   in Loop: Header=BB4_128 Depth=2
	s_delay_alu instid0(VALU_DEP_2) | instskip(SKIP_2) | instid1(VALU_DEP_2)
	v_cmp_lt_u64_e32 vcc_lo, 0xffffff, v[38:39]
	v_add_nc_u32_e32 v3, 7, v17
	v_cndmask_b32_e64 v14, 0, 1, vcc_lo
	v_cndmask_b32_e32 v3, v16, v3, vcc_lo
	s_delay_alu instid0(VALU_DEP_2)
	v_lshrrev_b64 v[14:15], v14, v[38:39]
; %bb.1499:                             ;   in Loop: Header=BB4_128 Depth=2
	s_and_not1_saveexec_b32 s10, s10
; %bb.1500:                             ;   in Loop: Header=BB4_128 Depth=2
	v_mov_b64_e32 v[14:15], v[38:39]
	v_bfe_u32 v3, v38, 23, 1
; %bb.1501:                             ;   in Loop: Header=BB4_128 Depth=2
	s_or_b32 exec_lo, exec_lo, s10
	s_delay_alu instid0(VALU_DEP_2) | instskip(NEXT) | instid1(VALU_DEP_2)
	v_lshrrev_b64 v[14:15], 20, v[14:15]
	v_cmp_gt_i32_e32 vcc_lo, 16, v3
	v_min_i32_e32 v16, 15, v3
	v_cmp_eq_u32_e64 s10, 0, v3
	s_delay_alu instid0(VALU_DEP_2) | instskip(SKIP_1) | instid1(VALU_DEP_2)
	v_dual_cndmask_b32 v14, 7, v14, vcc_lo :: v_dual_lshlrev_b32 v16, 3, v16
	v_cndmask_b32_e32 v15, 0, v15, vcc_lo
	v_and_b32_e32 v16, 0xf8, v16
	s_delay_alu instid0(VALU_DEP_2) | instskip(NEXT) | instid1(VALU_DEP_2)
	v_cmp_eq_u64_e32 vcc_lo, 0, v[14:15]
	v_and_or_b32 v3, v14, 7, v16
	s_and_b32 s10, s10, vcc_lo
	s_delay_alu instid0(VALU_DEP_1) | instid1(SALU_CYCLE_1)
	v_cndmask_b32_e64 v3, v3, 0, s10
	s_delay_alu instid0(VALU_DEP_1)
	v_or_b32_e32 v78, v3, v2
.LBB4_1502:                             ;   in Loop: Header=BB4_128 Depth=2
	s_or_b32 exec_lo, exec_lo, s42
                                        ; implicit-def: $vgpr2
.LBB4_1503:                             ;   in Loop: Header=BB4_128 Depth=2
	s_and_not1_saveexec_b32 s10, s41
; %bb.1504:                             ;   in Loop: Header=BB4_128 Depth=2
	v_or_b32_e32 v78, 0x7e, v2
; %bb.1505:                             ;   in Loop: Header=BB4_128 Depth=2
	s_or_b32 exec_lo, exec_lo, s10
                                        ; implicit-def: $vgpr2
.LBB4_1506:                             ;   in Loop: Header=BB4_128 Depth=2
	s_and_not1_saveexec_b32 s10, s40
; %bb.1507:                             ;   in Loop: Header=BB4_128 Depth=2
	v_or_b32_e32 v78, 0x7f, v2
; %bb.1508:                             ;   in Loop: Header=BB4_128 Depth=2
	s_or_b32 exec_lo, exec_lo, s10
	v_lshl_or_b32 v2, v59, 8, v45
	v_dual_mov_b32 v14, 0 :: v_dual_lshlrev_b32 v3, 16, v61
	v_lshlrev_b32_e32 v15, 24, v73
	s_mov_b32 s10, exec_lo
	s_delay_alu instid0(VALU_DEP_1)
	v_or3_b32 v38, v3, v15, v2
	v_mov_b32_e32 v3, 0
	v_cmpx_ne_u32_e32 0, v45
	s_cbranch_execz .LBB4_1514
; %bb.1509:                             ;   in Loop: Header=BB4_128 Depth=2
	v_bfrev_b32_e32 v3, 1
	s_mov_b32 s40, exec_lo
	v_cmpx_ne_u32_e32 0x80, v45
	s_cbranch_execz .LBB4_1513
; %bb.1510:                             ;   in Loop: Header=BB4_128 Depth=2
	v_and_b32_e32 v15, 0x7f, v45
	v_mov_b32_e32 v3, 0x7f800001
	s_mov_b32 s41, exec_lo
	s_delay_alu instid0(VALU_DEP_2)
	v_cmpx_ne_u32_e32 0x7f, v15
	s_cbranch_execz .LBB4_1512
; %bb.1511:                             ;   in Loop: Header=BB4_128 Depth=2
	v_dual_lshrrev_b32 v16, 3, v15 :: v_dual_bitop2_b32 v3, 7, v45 bitop3:0x40
	v_cmp_gt_u32_e32 vcc_lo, 8, v15
	s_delay_alu instid0(VALU_DEP_2) | instskip(NEXT) | instid1(VALU_DEP_1)
	v_clz_i32_u32_e32 v3, v3
	v_min_u32_e32 v3, 32, v3
	s_delay_alu instid0(VALU_DEP_1) | instskip(NEXT) | instid1(VALU_DEP_1)
	v_subrev_nc_u32_e32 v17, 28, v3
	v_dual_sub_nc_u32 v3, 29, v3 :: v_dual_cndmask_b32 v15, 0, v17, vcc_lo
	s_delay_alu instid0(VALU_DEP_1) | instskip(NEXT) | instid1(VALU_DEP_2)
	v_cndmask_b32_e32 v3, v16, v3, vcc_lo
	v_lshlrev_b64_e32 v[16:17], v15, v[38:39]
	v_lshlrev_b32_e32 v15, 24, v38
	s_delay_alu instid0(VALU_DEP_3) | instskip(NEXT) | instid1(VALU_DEP_2)
	v_lshl_add_u32 v3, v3, 23, 0x3c000000
	v_and_b32_e32 v15, 0x80000000, v15
	s_delay_alu instid0(VALU_DEP_4) | instskip(NEXT) | instid1(VALU_DEP_1)
	v_lshlrev_b32_e32 v16, 20, v16
	v_and_b32_e32 v16, 0x700000, v16
	s_delay_alu instid0(VALU_DEP_1)
	v_or3_b32 v3, v16, v15, v3
.LBB4_1512:                             ;   in Loop: Header=BB4_128 Depth=2
	s_or_b32 exec_lo, exec_lo, s41
.LBB4_1513:                             ;   in Loop: Header=BB4_128 Depth=2
	s_delay_alu instid0(SALU_CYCLE_1)
	s_or_b32 exec_lo, exec_lo, s40
.LBB4_1514:                             ;   in Loop: Header=BB4_128 Depth=2
	s_delay_alu instid0(SALU_CYCLE_1) | instskip(SKIP_2) | instid1(VALU_DEP_1)
	s_or_b32 exec_lo, exec_lo, s10
	v_and_b32_e32 v15, 0xff, v11
	s_mov_b32 s10, exec_lo
	v_cmpx_ne_u16_e32 0, v15
	s_cbranch_execz .LBB4_1520
; %bb.1515:                             ;   in Loop: Header=BB4_128 Depth=2
	v_bfrev_b32_e32 v14, 1
	s_mov_b32 s40, exec_lo
	v_cmpx_ne_u16_e32 0x80, v15
	s_cbranch_execz .LBB4_1519
; %bb.1516:                             ;   in Loop: Header=BB4_128 Depth=2
	v_and_b32_e32 v15, 0x7f, v11
	v_mov_b32_e32 v14, 0x7f800001
	s_mov_b32 s41, exec_lo
	s_delay_alu instid0(VALU_DEP_2)
	v_cmpx_ne_u32_e32 0x7f, v15
	s_cbranch_execz .LBB4_1518
; %bb.1517:                             ;   in Loop: Header=BB4_128 Depth=2
	v_and_b32_e32 v14, 7, v11
	v_lshrrev_b32_e32 v16, 3, v15
	v_cmp_gt_u32_e32 vcc_lo, 8, v15
	v_mov_b32_e32 v15, v39
	s_delay_alu instid0(VALU_DEP_4) | instskip(NEXT) | instid1(VALU_DEP_1)
	v_clz_i32_u32_e32 v14, v14
	v_min_u32_e32 v14, 32, v14
	s_delay_alu instid0(VALU_DEP_1) | instskip(SKIP_1) | instid1(VALU_DEP_2)
	v_sub_nc_u32_e32 v17, 29, v14
	v_subrev_nc_u32_e32 v20, 28, v14
	v_dual_mov_b32 v14, v11 :: v_dual_cndmask_b32 v21, v16, v17
	s_delay_alu instid0(VALU_DEP_2) | instskip(NEXT) | instid1(VALU_DEP_1)
	v_cndmask_b32_e32 v16, 0, v20, vcc_lo
	v_lshlrev_b64_e32 v[16:17], v16, v[14:15]
	v_lshlrev_b32_e32 v14, 24, v14
	s_delay_alu instid0(VALU_DEP_1) | instskip(NEXT) | instid1(VALU_DEP_3)
	v_and_b32_e32 v14, 0x80000000, v14
	v_lshlrev_b32_e32 v15, 20, v16
	v_lshl_add_u32 v16, v21, 23, 0x3c000000
	s_delay_alu instid0(VALU_DEP_2) | instskip(NEXT) | instid1(VALU_DEP_1)
	v_and_b32_e32 v15, 0x700000, v15
	v_or3_b32 v14, v15, v14, v16
.LBB4_1518:                             ;   in Loop: Header=BB4_128 Depth=2
	s_or_b32 exec_lo, exec_lo, s41
.LBB4_1519:                             ;   in Loop: Header=BB4_128 Depth=2
	s_delay_alu instid0(SALU_CYCLE_1)
	s_or_b32 exec_lo, exec_lo, s40
.LBB4_1520:                             ;   in Loop: Header=BB4_128 Depth=2
	s_delay_alu instid0(SALU_CYCLE_1) | instskip(NEXT) | instid1(VALU_DEP_1)
	s_or_b32 exec_lo, exec_lo, s10
	v_add_f32_e32 v14, v3, v14
	v_mov_b32_e32 v17, v39
                                        ; implicit-def: $vgpr45
	s_mov_b32 s10, exec_lo
	s_delay_alu instid0(VALU_DEP_2) | instskip(SKIP_1) | instid1(VALU_DEP_2)
	v_and_b32_e32 v16, 0x7f800000, v14
	v_lshrrev_b32_e32 v3, 24, v14
	v_cmpx_ne_u64_e32 0x7f800000, v[16:17]
	s_xor_b32 s40, exec_lo, s10
	s_cbranch_execz .LBB4_1534
; %bb.1521:                             ;   in Loop: Header=BB4_128 Depth=2
	v_and_b32_e32 v16, 0x7fffffff, v14
	v_mov_b32_e32 v17, v39
	v_and_b32_e32 v3, 0x80, v3
                                        ; implicit-def: $vgpr45
	s_mov_b32 s10, exec_lo
	s_delay_alu instid0(VALU_DEP_2)
	v_cmpx_gt_u64_e32 0x43e00001, v[16:17]
	s_xor_b32 s41, exec_lo, s10
	s_cbranch_execz .LBB4_1531
; %bb.1522:                             ;   in Loop: Header=BB4_128 Depth=2
	v_mov_b32_e32 v45, 0
	s_mov_b32 s42, exec_lo
	v_cmpx_ne_u32_e32 0, v14
	s_cbranch_execz .LBB4_1530
; %bb.1523:                             ;   in Loop: Header=BB4_128 Depth=2
	v_bfe_u32 v113, v14, 23, 8
	v_and_b32_e32 v16, 0x7fffff, v14
	s_mov_b32 s43, exec_lo
	s_delay_alu instid0(VALU_DEP_2) | instskip(NEXT) | instid1(VALU_DEP_2)
	v_cmp_gt_u32_e32 vcc_lo, 0x7a, v113
	v_or_b32_e32 v17, 0x800000, v16
	v_sub_nc_u32_e32 v15, 0x79, v113
	s_delay_alu instid0(VALU_DEP_1) | instskip(SKIP_1) | instid1(VALU_DEP_2)
	v_cndmask_b32_e32 v15, 0, v15, vcc_lo
	v_cmp_eq_u32_e32 vcc_lo, 0, v113
	v_cndmask_b32_e64 v45, v15, 0x78, vcc_lo
	v_dual_cndmask_b32 v16, v17, v16 :: v_dual_mov_b32 v17, v39
	s_delay_alu instid0(VALU_DEP_2) | instskip(NEXT) | instid1(VALU_DEP_1)
	v_dual_add_nc_u32 v20, 19, v45 :: v_dual_add_nc_u32 v14, 20, v45
	v_lshlrev_b64_e64 v[20:21], v20, 1
	s_delay_alu instid0(VALU_DEP_2) | instskip(NEXT) | instid1(VALU_DEP_1)
	v_lshlrev_b64_e64 v[14:15], v14, -1
	v_bfi_b32 v93, v15, 0, 0
	s_delay_alu instid0(VALU_DEP_2) | instskip(SKIP_1) | instid1(VALU_DEP_1)
	v_bfi_b32 v92, v14, 0, v16
	v_lshrrev_b64 v[14:15], v45, v[16:17]
	v_mov_b64_e32 v[16:17], v[14:15]
	s_delay_alu instid0(VALU_DEP_3)
	v_cmpx_eq_u64_e64 v[92:93], v[20:21]
; %bb.1524:                             ;   in Loop: Header=BB4_128 Depth=2
	v_bfe_u32 v16, v14, 20, 1
	v_mov_b32_e32 v17, v39
	s_delay_alu instid0(VALU_DEP_1) | instskip(NEXT) | instid1(VALU_DEP_1)
	v_add_nc_u64_e32 v[16:17], v[14:15], v[16:17]
	v_add_nc_u64_e32 v[16:17], -1, v[16:17]
; %bb.1525:                             ;   in Loop: Header=BB4_128 Depth=2
	s_or_b32 exec_lo, exec_lo, s43
	v_add_nc_u32_e32 v15, 0xffffff81, v113
	v_lshrrev_b32_e32 v17, 23, v14
	s_mov_b32 s10, exec_lo
	s_delay_alu instid0(VALU_DEP_2) | instskip(NEXT) | instid1(VALU_DEP_1)
	v_cndmask_b32_e64 v15, v15, 0xffffff82, vcc_lo
	v_add3_u32 v17, v45, v15, v17
	v_and_b32_e32 v15, 0xfffff, v16
                                        ; implicit-def: $vgpr16
	s_delay_alu instid0(VALU_DEP_1) | instskip(SKIP_1) | instid1(VALU_DEP_2)
	v_dual_add_nc_u32 v113, 6, v17 :: v_dual_add_nc_u32 v14, v15, v14
	v_mov_b32_e32 v15, v39
	v_cmpx_ne_u32_e32 0, v113
	s_xor_b32 s10, exec_lo, s10
; %bb.1526:                             ;   in Loop: Header=BB4_128 Depth=2
	s_delay_alu instid0(VALU_DEP_2) | instskip(SKIP_2) | instid1(VALU_DEP_2)
	v_cmp_lt_u64_e32 vcc_lo, 0xffffff, v[14:15]
	v_add_nc_u32_e32 v16, 7, v17
	v_cndmask_b32_e64 v17, 0, 1, vcc_lo
	v_cndmask_b32_e32 v16, v113, v16, vcc_lo
	s_delay_alu instid0(VALU_DEP_2)
	v_lshrrev_b64 v[14:15], v17, v[14:15]
; %bb.1527:                             ;   in Loop: Header=BB4_128 Depth=2
	s_and_not1_saveexec_b32 s10, s10
; %bb.1528:                             ;   in Loop: Header=BB4_128 Depth=2
	s_delay_alu instid0(VALU_DEP_1)
	v_bfe_u32 v16, v14, 23, 1
; %bb.1529:                             ;   in Loop: Header=BB4_128 Depth=2
	s_or_b32 exec_lo, exec_lo, s10
	s_delay_alu instid0(VALU_DEP_2) | instskip(NEXT) | instid1(VALU_DEP_2)
	v_lshrrev_b64 v[14:15], 20, v[14:15]
	v_cmp_gt_i32_e32 vcc_lo, 16, v16
	v_min_i32_e32 v17, 15, v16
	v_cmp_eq_u32_e64 s10, 0, v16
	s_delay_alu instid0(VALU_DEP_2) | instskip(SKIP_1) | instid1(VALU_DEP_2)
	v_dual_cndmask_b32 v15, 0, v15, vcc_lo :: v_dual_lshlrev_b32 v17, 3, v17
	v_cndmask_b32_e32 v14, 7, v14, vcc_lo
	v_and_b32_e32 v17, 0xf8, v17
	s_delay_alu instid0(VALU_DEP_2) | instskip(NEXT) | instid1(VALU_DEP_2)
	v_cmp_eq_u64_e32 vcc_lo, 0, v[14:15]
	v_and_or_b32 v14, v14, 7, v17
	s_and_b32 s10, s10, vcc_lo
	s_delay_alu instid0(VALU_DEP_1) | instid1(SALU_CYCLE_1)
	v_cndmask_b32_e64 v14, v14, 0, s10
	s_delay_alu instid0(VALU_DEP_1)
	v_or_b32_e32 v45, v14, v3
.LBB4_1530:                             ;   in Loop: Header=BB4_128 Depth=2
	s_or_b32 exec_lo, exec_lo, s42
                                        ; implicit-def: $vgpr3
.LBB4_1531:                             ;   in Loop: Header=BB4_128 Depth=2
	s_and_not1_saveexec_b32 s10, s41
; %bb.1532:                             ;   in Loop: Header=BB4_128 Depth=2
	v_or_b32_e32 v45, 0x7e, v3
; %bb.1533:                             ;   in Loop: Header=BB4_128 Depth=2
	s_or_b32 exec_lo, exec_lo, s10
                                        ; implicit-def: $vgpr3
.LBB4_1534:                             ;   in Loop: Header=BB4_128 Depth=2
	s_and_not1_saveexec_b32 s10, s40
; %bb.1535:                             ;   in Loop: Header=BB4_128 Depth=2
	v_or_b32_e32 v45, 0x7f, v3
; %bb.1536:                             ;   in Loop: Header=BB4_128 Depth=2
	s_or_b32 exec_lo, exec_lo, s10
	v_lshrrev_b16 v14, 8, v2
	v_dual_mov_b32 v3, 0 :: v_dual_mov_b32 v16, 0
	s_mov_b32 s10, exec_lo
	s_delay_alu instid0(VALU_DEP_2)
	v_cmpx_ne_u16_e32 0, v14
	s_cbranch_execz .LBB4_1544
; %bb.1537:                             ;   in Loop: Header=BB4_128 Depth=2
	v_bfrev_b32_e32 v16, 1
	s_mov_b32 s40, exec_lo
	v_cmpx_ne_u16_e32 0x80, v14
	s_cbranch_execz .LBB4_1543
; %bb.1538:                             ;   in Loop: Header=BB4_128 Depth=2
	v_and_b32_e32 v14, 0xffff, v14
	v_mov_b32_e32 v16, 0x7f800001
	s_mov_b32 s41, exec_lo
	s_delay_alu instid0(VALU_DEP_2) | instskip(NEXT) | instid1(VALU_DEP_1)
	v_and_b32_e32 v17, 0x7f, v14
	v_cmpx_ne_u32_e32 0x7f, v17
	s_cbranch_execz .LBB4_1542
; %bb.1539:                             ;   in Loop: Header=BB4_128 Depth=2
	v_dual_mov_b32 v15, v39 :: v_dual_bitop2_b32 v14, 7, v14 bitop3:0x40
	v_lshrrev_b32_e32 v16, 3, v17
	s_mov_b32 s42, exec_lo
	v_cmpx_gt_u32_e32 8, v17
; %bb.1540:                             ;   in Loop: Header=BB4_128 Depth=2
	s_delay_alu instid0(VALU_DEP_3) | instskip(NEXT) | instid1(VALU_DEP_1)
	v_clz_i32_u32_e32 v16, v14
	v_min_u32_e32 v16, 32, v16
	s_delay_alu instid0(VALU_DEP_1) | instskip(NEXT) | instid1(VALU_DEP_1)
	v_subrev_nc_u32_e32 v17, 28, v16
	v_lshlrev_b64_e32 v[14:15], v17, v[14:15]
	s_delay_alu instid0(VALU_DEP_1)
	v_dual_sub_nc_u32 v16, 29, v16 :: v_dual_bitop2_b32 v14, 7, v14 bitop3:0x40
; %bb.1541:                             ;   in Loop: Header=BB4_128 Depth=2
	s_or_b32 exec_lo, exec_lo, s42
	v_lshlrev_b32_e32 v2, 16, v2
	s_delay_alu instid0(VALU_DEP_2) | instskip(NEXT) | instid1(VALU_DEP_3)
	v_lshlrev_b32_e32 v14, 20, v14
	v_lshl_add_u32 v15, v16, 23, 0x3c000000
	s_delay_alu instid0(VALU_DEP_3) | instskip(NEXT) | instid1(VALU_DEP_1)
	v_and_b32_e32 v2, 0x80000000, v2
	v_or3_b32 v16, v14, v2, v15
.LBB4_1542:                             ;   in Loop: Header=BB4_128 Depth=2
	s_or_b32 exec_lo, exec_lo, s41
.LBB4_1543:                             ;   in Loop: Header=BB4_128 Depth=2
	s_delay_alu instid0(SALU_CYCLE_1)
	s_or_b32 exec_lo, exec_lo, s40
.LBB4_1544:                             ;   in Loop: Header=BB4_128 Depth=2
	s_delay_alu instid0(SALU_CYCLE_1) | instskip(SKIP_2) | instid1(VALU_DEP_1)
	s_or_b32 exec_lo, exec_lo, s10
	v_lshrrev_b16 v2, 8, v11
	s_mov_b32 s10, exec_lo
	v_cmpx_ne_u16_e32 0, v2
	s_cbranch_execz .LBB4_1552
; %bb.1545:                             ;   in Loop: Header=BB4_128 Depth=2
	v_bfrev_b32_e32 v3, 1
	s_mov_b32 s40, exec_lo
	v_cmpx_ne_u16_e32 0x80, v2
	s_cbranch_execz .LBB4_1551
; %bb.1546:                             ;   in Loop: Header=BB4_128 Depth=2
	v_and_b32_e32 v2, 0xffff, v2
	v_mov_b32_e32 v3, 0x7f800001
	s_mov_b32 s41, exec_lo
	s_delay_alu instid0(VALU_DEP_2) | instskip(NEXT) | instid1(VALU_DEP_1)
	v_and_b32_e32 v17, 0x7f, v2
	v_cmpx_ne_u32_e32 0x7f, v17
	s_cbranch_execz .LBB4_1550
; %bb.1547:                             ;   in Loop: Header=BB4_128 Depth=2
	v_dual_mov_b32 v15, v39 :: v_dual_bitop2_b32 v14, 7, v2 bitop3:0x40
	v_lshrrev_b32_e32 v2, 3, v17
	s_mov_b32 s42, exec_lo
	v_cmpx_gt_u32_e32 8, v17
; %bb.1548:                             ;   in Loop: Header=BB4_128 Depth=2
	s_delay_alu instid0(VALU_DEP_3) | instskip(NEXT) | instid1(VALU_DEP_1)
	v_clz_i32_u32_e32 v2, v14
	v_min_u32_e32 v2, 32, v2
	s_delay_alu instid0(VALU_DEP_1) | instskip(SKIP_1) | instid1(VALU_DEP_2)
	v_subrev_nc_u32_e32 v3, 28, v2
	v_sub_nc_u32_e32 v2, 29, v2
	v_lshlrev_b64_e32 v[14:15], v3, v[14:15]
	s_delay_alu instid0(VALU_DEP_1)
	v_and_b32_e32 v14, 7, v14
; %bb.1549:                             ;   in Loop: Header=BB4_128 Depth=2
	s_or_b32 exec_lo, exec_lo, s42
	s_delay_alu instid0(VALU_DEP_1) | instskip(SKIP_1) | instid1(VALU_DEP_2)
	v_dual_lshlrev_b32 v3, 16, v11 :: v_dual_lshlrev_b32 v14, 20, v14
	v_lshl_add_u32 v2, v2, 23, 0x3c000000
	v_and_b32_e32 v3, 0x80000000, v3
	s_delay_alu instid0(VALU_DEP_1)
	v_or3_b32 v3, v14, v3, v2
.LBB4_1550:                             ;   in Loop: Header=BB4_128 Depth=2
	s_or_b32 exec_lo, exec_lo, s41
.LBB4_1551:                             ;   in Loop: Header=BB4_128 Depth=2
	s_delay_alu instid0(SALU_CYCLE_1)
	s_or_b32 exec_lo, exec_lo, s40
.LBB4_1552:                             ;   in Loop: Header=BB4_128 Depth=2
	s_delay_alu instid0(SALU_CYCLE_1) | instskip(NEXT) | instid1(VALU_DEP_1)
	s_or_b32 exec_lo, exec_lo, s10
	v_dual_add_f32 v3, v16, v3 :: v_dual_mov_b32 v15, v39
                                        ; implicit-def: $vgpr59
	s_mov_b32 s10, exec_lo
	s_delay_alu instid0(VALU_DEP_1) | instskip(SKIP_1) | instid1(VALU_DEP_2)
	v_and_b32_e32 v14, 0x7f800000, v3
	v_lshrrev_b32_e32 v2, 24, v3
	v_cmpx_ne_u64_e32 0x7f800000, v[14:15]
	s_xor_b32 s40, exec_lo, s10
	s_cbranch_execz .LBB4_1566
; %bb.1553:                             ;   in Loop: Header=BB4_128 Depth=2
	v_and_b32_e32 v14, 0x7fffffff, v3
	v_mov_b32_e32 v15, v39
	v_and_b32_e32 v2, 0x80, v2
                                        ; implicit-def: $vgpr59
	s_mov_b32 s10, exec_lo
	s_delay_alu instid0(VALU_DEP_2)
	v_cmpx_gt_u64_e32 0x43e00001, v[14:15]
	s_xor_b32 s41, exec_lo, s10
	s_cbranch_execz .LBB4_1563
; %bb.1554:                             ;   in Loop: Header=BB4_128 Depth=2
	v_mov_b32_e32 v59, 0
	s_mov_b32 s42, exec_lo
	v_cmpx_ne_u32_e32 0, v3
	s_cbranch_execz .LBB4_1562
; %bb.1555:                             ;   in Loop: Header=BB4_128 Depth=2
	v_bfe_u32 v113, v3, 23, 8
	v_and_b32_e32 v3, 0x7fffff, v3
	s_mov_b32 s43, exec_lo
	s_delay_alu instid0(VALU_DEP_2) | instskip(SKIP_1) | instid1(VALU_DEP_3)
	v_dual_mov_b32 v17, v39 :: v_dual_sub_nc_u32 v14, 0x79, v113
	v_cmp_gt_u32_e32 vcc_lo, 0x7a, v113
	v_or_b32_e32 v16, 0x800000, v3
	s_delay_alu instid0(VALU_DEP_3) | instskip(SKIP_1) | instid1(VALU_DEP_2)
	v_cndmask_b32_e32 v14, 0, v14, vcc_lo
	v_cmp_eq_u32_e32 vcc_lo, 0, v113
	v_cndmask_b32_e64 v59, v14, 0x78, vcc_lo
	s_delay_alu instid0(VALU_DEP_4) | instskip(NEXT) | instid1(VALU_DEP_2)
	v_cndmask_b32_e32 v16, v16, v3, vcc_lo
	v_dual_add_nc_u32 v14, 20, v59 :: v_dual_add_nc_u32 v20, 19, v59
	s_delay_alu instid0(VALU_DEP_1) | instskip(NEXT) | instid1(VALU_DEP_2)
	v_lshlrev_b64_e64 v[14:15], v14, -1
	v_lshlrev_b64_e64 v[20:21], v20, 1
	s_delay_alu instid0(VALU_DEP_2) | instskip(NEXT) | instid1(VALU_DEP_3)
	v_bfi_b32 v93, v15, 0, 0
	v_bfi_b32 v92, v14, 0, v16
	v_lshrrev_b64 v[14:15], v59, v[16:17]
	s_delay_alu instid0(VALU_DEP_1) | instskip(NEXT) | instid1(VALU_DEP_3)
	v_mov_b64_e32 v[16:17], v[14:15]
	v_cmpx_eq_u64_e64 v[92:93], v[20:21]
; %bb.1556:                             ;   in Loop: Header=BB4_128 Depth=2
	v_bfe_u32 v16, v14, 20, 1
	v_mov_b32_e32 v17, v39
	s_delay_alu instid0(VALU_DEP_1) | instskip(NEXT) | instid1(VALU_DEP_1)
	v_add_nc_u64_e32 v[16:17], v[14:15], v[16:17]
	v_add_nc_u64_e32 v[16:17], -1, v[16:17]
; %bb.1557:                             ;   in Loop: Header=BB4_128 Depth=2
	s_or_b32 exec_lo, exec_lo, s43
	v_add_nc_u32_e32 v3, 0xffffff81, v113
	v_lshrrev_b32_e32 v15, 23, v14
	s_mov_b32 s10, exec_lo
	s_delay_alu instid0(VALU_DEP_2) | instskip(NEXT) | instid1(VALU_DEP_1)
	v_cndmask_b32_e64 v3, v3, 0xffffff82, vcc_lo
	v_add3_u32 v17, v59, v3, v15
	v_and_b32_e32 v3, 0xfffff, v16
	s_delay_alu instid0(VALU_DEP_2) | instskip(NEXT) | instid1(VALU_DEP_2)
	v_dual_mov_b32 v15, v39 :: v_dual_add_nc_u32 v16, 6, v17
	v_add_nc_u32_e32 v14, v3, v14
                                        ; implicit-def: $vgpr3
	s_delay_alu instid0(VALU_DEP_2)
	v_cmpx_ne_u32_e32 0, v16
	s_xor_b32 s10, exec_lo, s10
; %bb.1558:                             ;   in Loop: Header=BB4_128 Depth=2
	s_delay_alu instid0(VALU_DEP_2) | instskip(SKIP_1) | instid1(VALU_DEP_1)
	v_cmp_lt_u64_e32 vcc_lo, 0xffffff, v[14:15]
	v_add_nc_u32_e32 v3, 7, v17
	v_cndmask_b32_e32 v3, v16, v3, vcc_lo
	v_cndmask_b32_e64 v16, 0, 1, vcc_lo
	s_delay_alu instid0(VALU_DEP_1)
	v_lshrrev_b64 v[14:15], v16, v[14:15]
; %bb.1559:                             ;   in Loop: Header=BB4_128 Depth=2
	s_and_not1_saveexec_b32 s10, s10
; %bb.1560:                             ;   in Loop: Header=BB4_128 Depth=2
	s_delay_alu instid0(VALU_DEP_1)
	v_bfe_u32 v3, v14, 23, 1
; %bb.1561:                             ;   in Loop: Header=BB4_128 Depth=2
	s_or_b32 exec_lo, exec_lo, s10
	s_delay_alu instid0(VALU_DEP_2) | instskip(NEXT) | instid1(VALU_DEP_2)
	v_lshrrev_b64 v[14:15], 20, v[14:15]
	v_cmp_gt_i32_e32 vcc_lo, 16, v3
	v_min_i32_e32 v16, 15, v3
	v_cmp_eq_u32_e64 s10, 0, v3
	s_delay_alu instid0(VALU_DEP_2) | instskip(SKIP_1) | instid1(VALU_DEP_2)
	v_dual_cndmask_b32 v14, 7, v14, vcc_lo :: v_dual_lshlrev_b32 v16, 3, v16
	v_cndmask_b32_e32 v15, 0, v15, vcc_lo
	v_and_b32_e32 v16, 0xf8, v16
	s_delay_alu instid0(VALU_DEP_2) | instskip(NEXT) | instid1(VALU_DEP_2)
	v_cmp_eq_u64_e32 vcc_lo, 0, v[14:15]
	v_and_or_b32 v3, v14, 7, v16
	s_and_b32 s10, s10, vcc_lo
	s_delay_alu instid0(VALU_DEP_1) | instid1(SALU_CYCLE_1)
	v_cndmask_b32_e64 v3, v3, 0, s10
	s_delay_alu instid0(VALU_DEP_1)
	v_or_b32_e32 v59, v3, v2
.LBB4_1562:                             ;   in Loop: Header=BB4_128 Depth=2
	s_or_b32 exec_lo, exec_lo, s42
                                        ; implicit-def: $vgpr2
.LBB4_1563:                             ;   in Loop: Header=BB4_128 Depth=2
	s_and_not1_saveexec_b32 s10, s41
; %bb.1564:                             ;   in Loop: Header=BB4_128 Depth=2
	v_or_b32_e32 v59, 0x7e, v2
; %bb.1565:                             ;   in Loop: Header=BB4_128 Depth=2
	s_or_b32 exec_lo, exec_lo, s10
                                        ; implicit-def: $vgpr2
.LBB4_1566:                             ;   in Loop: Header=BB4_128 Depth=2
	s_and_not1_saveexec_b32 s10, s40
; %bb.1567:                             ;   in Loop: Header=BB4_128 Depth=2
	v_or_b32_e32 v59, 0x7f, v2
; %bb.1568:                             ;   in Loop: Header=BB4_128 Depth=2
	s_or_b32 exec_lo, exec_lo, s10
	v_dual_lshrrev_b32 v16, 16, v38 :: v_dual_mov_b32 v2, 0
	v_mov_b32_e32 v3, 0
	s_mov_b32 s10, exec_lo
	s_delay_alu instid0(VALU_DEP_2) | instskip(NEXT) | instid1(VALU_DEP_1)
	v_and_b32_e32 v14, 0xff, v16
	v_cmpx_ne_u16_e32 0, v14
	s_cbranch_execz .LBB4_1576
; %bb.1569:                             ;   in Loop: Header=BB4_128 Depth=2
	v_bfrev_b32_e32 v3, 1
	s_mov_b32 s40, exec_lo
	v_cmpx_ne_u16_e32 0x80, v14
	s_cbranch_execz .LBB4_1575
; %bb.1570:                             ;   in Loop: Header=BB4_128 Depth=2
	v_bfe_u32 v17, v38, 16, 7
	v_mov_b32_e32 v3, 0x7f800001
	s_mov_b32 s41, exec_lo
	s_delay_alu instid0(VALU_DEP_2)
	v_cmpx_ne_u32_e32 0x7f, v17
	s_cbranch_execz .LBB4_1574
; %bb.1571:                             ;   in Loop: Header=BB4_128 Depth=2
	v_dual_mov_b32 v15, v39 :: v_dual_bitop2_b32 v14, 7, v16 bitop3:0x40
	v_lshrrev_b32_e32 v3, 3, v17
	s_mov_b32 s42, exec_lo
	v_cmpx_gt_u32_e32 8, v17
; %bb.1572:                             ;   in Loop: Header=BB4_128 Depth=2
	s_delay_alu instid0(VALU_DEP_3) | instskip(NEXT) | instid1(VALU_DEP_1)
	v_clz_i32_u32_e32 v3, v14
	v_min_u32_e32 v3, 32, v3
	s_delay_alu instid0(VALU_DEP_1) | instskip(NEXT) | instid1(VALU_DEP_1)
	v_subrev_nc_u32_e32 v17, 28, v3
	v_lshlrev_b64_e32 v[14:15], v17, v[14:15]
	s_delay_alu instid0(VALU_DEP_1)
	v_dual_sub_nc_u32 v3, 29, v3 :: v_dual_bitop2_b32 v14, 7, v14 bitop3:0x40
; %bb.1573:                             ;   in Loop: Header=BB4_128 Depth=2
	s_or_b32 exec_lo, exec_lo, s42
	s_delay_alu instid0(VALU_DEP_1) | instskip(NEXT) | instid1(VALU_DEP_2)
	v_dual_lshlrev_b32 v15, 24, v16 :: v_dual_lshlrev_b32 v14, 20, v14
	v_lshl_add_u32 v3, v3, 23, 0x3c000000
	s_delay_alu instid0(VALU_DEP_2) | instskip(NEXT) | instid1(VALU_DEP_1)
	v_and_b32_e32 v15, 0x80000000, v15
	v_or3_b32 v3, v14, v15, v3
.LBB4_1574:                             ;   in Loop: Header=BB4_128 Depth=2
	s_or_b32 exec_lo, exec_lo, s41
.LBB4_1575:                             ;   in Loop: Header=BB4_128 Depth=2
	s_delay_alu instid0(SALU_CYCLE_1)
	s_or_b32 exec_lo, exec_lo, s40
.LBB4_1576:                             ;   in Loop: Header=BB4_128 Depth=2
	s_delay_alu instid0(SALU_CYCLE_1) | instskip(SKIP_2) | instid1(VALU_DEP_1)
	s_or_b32 exec_lo, exec_lo, s10
	v_lshrrev_b32_e32 v14, 16, v11
	s_mov_b32 s10, exec_lo
	v_and_b32_e32 v15, 0xff, v14
	s_delay_alu instid0(VALU_DEP_1)
	v_cmpx_ne_u16_e32 0, v15
	s_cbranch_execz .LBB4_1584
; %bb.1577:                             ;   in Loop: Header=BB4_128 Depth=2
	v_bfrev_b32_e32 v2, 1
	s_mov_b32 s40, exec_lo
	v_cmpx_ne_u16_e32 0x80, v15
	s_cbranch_execz .LBB4_1583
; %bb.1578:                             ;   in Loop: Header=BB4_128 Depth=2
	v_bfe_u32 v16, v11, 16, 7
	v_mov_b32_e32 v2, 0x7f800001
	s_mov_b32 s41, exec_lo
	s_delay_alu instid0(VALU_DEP_2)
	v_cmpx_ne_u32_e32 0x7f, v16
	s_cbranch_execz .LBB4_1582
; %bb.1579:                             ;   in Loop: Header=BB4_128 Depth=2
	v_dual_mov_b32 v15, v39 :: v_dual_bitop2_b32 v14, 7, v14 bitop3:0x40
	v_lshrrev_b32_e32 v2, 3, v16
	s_mov_b32 s42, exec_lo
	v_cmpx_gt_u32_e32 8, v16
; %bb.1580:                             ;   in Loop: Header=BB4_128 Depth=2
	s_delay_alu instid0(VALU_DEP_3) | instskip(NEXT) | instid1(VALU_DEP_1)
	v_clz_i32_u32_e32 v2, v14
	v_min_u32_e32 v2, 32, v2
	s_delay_alu instid0(VALU_DEP_1) | instskip(SKIP_1) | instid1(VALU_DEP_2)
	v_subrev_nc_u32_e32 v16, 28, v2
	v_sub_nc_u32_e32 v2, 29, v2
	v_lshlrev_b64_e32 v[14:15], v16, v[14:15]
	s_delay_alu instid0(VALU_DEP_1)
	v_and_b32_e32 v14, 7, v14
; %bb.1581:                             ;   in Loop: Header=BB4_128 Depth=2
	s_or_b32 exec_lo, exec_lo, s42
	s_delay_alu instid0(VALU_DEP_1) | instskip(SKIP_1) | instid1(VALU_DEP_2)
	v_dual_lshlrev_b32 v15, 8, v11 :: v_dual_lshlrev_b32 v14, 20, v14
	v_lshl_add_u32 v2, v2, 23, 0x3c000000
	v_and_b32_e32 v15, 0x80000000, v15
	s_delay_alu instid0(VALU_DEP_1)
	v_or3_b32 v2, v14, v15, v2
.LBB4_1582:                             ;   in Loop: Header=BB4_128 Depth=2
	s_or_b32 exec_lo, exec_lo, s41
.LBB4_1583:                             ;   in Loop: Header=BB4_128 Depth=2
	s_delay_alu instid0(SALU_CYCLE_1)
	s_or_b32 exec_lo, exec_lo, s40
.LBB4_1584:                             ;   in Loop: Header=BB4_128 Depth=2
	s_delay_alu instid0(SALU_CYCLE_1) | instskip(NEXT) | instid1(VALU_DEP_1)
	s_or_b32 exec_lo, exec_lo, s10
	v_add_f32_e32 v3, v3, v2
	v_mov_b32_e32 v15, v39
                                        ; implicit-def: $vgpr16
	s_mov_b32 s10, exec_lo
	s_delay_alu instid0(VALU_DEP_2) | instskip(SKIP_1) | instid1(VALU_DEP_2)
	v_and_b32_e32 v14, 0x7f800000, v3
	v_lshrrev_b32_e32 v2, 24, v3
	v_cmpx_ne_u64_e32 0x7f800000, v[14:15]
	s_xor_b32 s40, exec_lo, s10
	s_cbranch_execz .LBB4_1598
; %bb.1585:                             ;   in Loop: Header=BB4_128 Depth=2
	v_and_b32_e32 v14, 0x7fffffff, v3
	v_mov_b32_e32 v15, v39
	v_and_b32_e32 v2, 0x80, v2
                                        ; implicit-def: $vgpr16
	s_mov_b32 s10, exec_lo
	s_delay_alu instid0(VALU_DEP_2)
	v_cmpx_gt_u64_e32 0x43e00001, v[14:15]
	s_xor_b32 s41, exec_lo, s10
	s_cbranch_execz .LBB4_1595
; %bb.1586:                             ;   in Loop: Header=BB4_128 Depth=2
	v_mov_b32_e32 v16, 0
	s_mov_b32 s42, exec_lo
	v_cmpx_ne_u32_e32 0, v3
	s_cbranch_execz .LBB4_1594
; %bb.1587:                             ;   in Loop: Header=BB4_128 Depth=2
	v_bfe_u32 v113, v3, 23, 8
	v_and_b32_e32 v3, 0x7fffff, v3
	s_mov_b32 s43, exec_lo
	s_delay_alu instid0(VALU_DEP_2) | instskip(SKIP_1) | instid1(VALU_DEP_3)
	v_dual_mov_b32 v17, v39 :: v_dual_sub_nc_u32 v14, 0x79, v113
	v_cmp_gt_u32_e32 vcc_lo, 0x7a, v113
	v_or_b32_e32 v16, 0x800000, v3
	s_delay_alu instid0(VALU_DEP_3) | instskip(SKIP_1) | instid1(VALU_DEP_2)
	v_cndmask_b32_e32 v14, 0, v14, vcc_lo
	v_cmp_eq_u32_e32 vcc_lo, 0, v113
	v_cndmask_b32_e64 v61, v14, 0x78, vcc_lo
	s_delay_alu instid0(VALU_DEP_1) | instskip(SKIP_1) | instid1(VALU_DEP_2)
	v_dual_cndmask_b32 v16, v16, v3, vcc_lo :: v_dual_add_nc_u32 v14, 20, v61
	v_add_nc_u32_e32 v20, 19, v61
	v_lshlrev_b64_e64 v[14:15], v14, -1
	s_delay_alu instid0(VALU_DEP_2) | instskip(NEXT) | instid1(VALU_DEP_2)
	v_lshlrev_b64_e64 v[20:21], v20, 1
	v_bfi_b32 v93, v15, 0, 0
	s_delay_alu instid0(VALU_DEP_3) | instskip(SKIP_1) | instid1(VALU_DEP_1)
	v_bfi_b32 v92, v14, 0, v16
	v_lshrrev_b64 v[14:15], v61, v[16:17]
	v_mov_b64_e32 v[16:17], v[14:15]
	s_delay_alu instid0(VALU_DEP_3)
	v_cmpx_eq_u64_e64 v[92:93], v[20:21]
; %bb.1588:                             ;   in Loop: Header=BB4_128 Depth=2
	v_bfe_u32 v16, v14, 20, 1
	v_mov_b32_e32 v17, v39
	s_delay_alu instid0(VALU_DEP_1) | instskip(NEXT) | instid1(VALU_DEP_1)
	v_add_nc_u64_e32 v[16:17], v[14:15], v[16:17]
	v_add_nc_u64_e32 v[16:17], -1, v[16:17]
; %bb.1589:                             ;   in Loop: Header=BB4_128 Depth=2
	s_or_b32 exec_lo, exec_lo, s43
	v_add_nc_u32_e32 v3, 0xffffff81, v113
	v_lshrrev_b32_e32 v15, 23, v14
	s_mov_b32 s10, exec_lo
	s_delay_alu instid0(VALU_DEP_2) | instskip(NEXT) | instid1(VALU_DEP_1)
	v_cndmask_b32_e64 v3, v3, 0xffffff82, vcc_lo
	v_add3_u32 v17, v61, v3, v15
	v_and_b32_e32 v3, 0xfffff, v16
	s_delay_alu instid0(VALU_DEP_2) | instskip(NEXT) | instid1(VALU_DEP_2)
	v_dual_mov_b32 v15, v39 :: v_dual_add_nc_u32 v16, 6, v17
	v_add_nc_u32_e32 v14, v3, v14
                                        ; implicit-def: $vgpr3
	s_delay_alu instid0(VALU_DEP_2)
	v_cmpx_ne_u32_e32 0, v16
	s_xor_b32 s10, exec_lo, s10
; %bb.1590:                             ;   in Loop: Header=BB4_128 Depth=2
	s_delay_alu instid0(VALU_DEP_2) | instskip(SKIP_1) | instid1(VALU_DEP_1)
	v_cmp_lt_u64_e32 vcc_lo, 0xffffff, v[14:15]
	v_add_nc_u32_e32 v3, 7, v17
	v_cndmask_b32_e32 v3, v16, v3, vcc_lo
	v_cndmask_b32_e64 v16, 0, 1, vcc_lo
	s_delay_alu instid0(VALU_DEP_1)
	v_lshrrev_b64 v[14:15], v16, v[14:15]
; %bb.1591:                             ;   in Loop: Header=BB4_128 Depth=2
	s_and_not1_saveexec_b32 s10, s10
; %bb.1592:                             ;   in Loop: Header=BB4_128 Depth=2
	s_delay_alu instid0(VALU_DEP_1)
	v_bfe_u32 v3, v14, 23, 1
; %bb.1593:                             ;   in Loop: Header=BB4_128 Depth=2
	s_or_b32 exec_lo, exec_lo, s10
	s_delay_alu instid0(VALU_DEP_2) | instskip(NEXT) | instid1(VALU_DEP_2)
	v_lshrrev_b64 v[14:15], 20, v[14:15]
	v_cmp_gt_i32_e32 vcc_lo, 16, v3
	v_min_i32_e32 v16, 15, v3
	v_cmp_eq_u32_e64 s10, 0, v3
	s_delay_alu instid0(VALU_DEP_2) | instskip(SKIP_1) | instid1(VALU_DEP_2)
	v_dual_cndmask_b32 v14, 7, v14, vcc_lo :: v_dual_lshlrev_b32 v16, 3, v16
	v_cndmask_b32_e32 v15, 0, v15, vcc_lo
	v_and_b32_e32 v16, 0xf8, v16
	s_delay_alu instid0(VALU_DEP_2) | instskip(NEXT) | instid1(VALU_DEP_2)
	v_cmp_eq_u64_e32 vcc_lo, 0, v[14:15]
	v_and_or_b32 v3, v14, 7, v16
	s_and_b32 s10, s10, vcc_lo
	s_delay_alu instid0(VALU_DEP_1) | instid1(SALU_CYCLE_1)
	v_cndmask_b32_e64 v3, v3, 0, s10
	s_delay_alu instid0(VALU_DEP_1)
	v_or_b32_e32 v16, v3, v2
.LBB4_1594:                             ;   in Loop: Header=BB4_128 Depth=2
	s_or_b32 exec_lo, exec_lo, s42
                                        ; implicit-def: $vgpr2
.LBB4_1595:                             ;   in Loop: Header=BB4_128 Depth=2
	s_and_not1_saveexec_b32 s10, s41
; %bb.1596:                             ;   in Loop: Header=BB4_128 Depth=2
	v_or_b32_e32 v16, 0x7e, v2
; %bb.1597:                             ;   in Loop: Header=BB4_128 Depth=2
	s_or_b32 exec_lo, exec_lo, s10
                                        ; implicit-def: $vgpr2
.LBB4_1598:                             ;   in Loop: Header=BB4_128 Depth=2
	s_and_not1_saveexec_b32 s10, s40
; %bb.1599:                             ;   in Loop: Header=BB4_128 Depth=2
	v_or_b32_e32 v16, 0x7f, v2
; %bb.1600:                             ;   in Loop: Header=BB4_128 Depth=2
	s_or_b32 exec_lo, exec_lo, s10
	v_dual_mov_b32 v2, 0 :: v_dual_mov_b32 v3, 0
	s_mov_b32 s10, exec_lo
	v_cmpx_lt_u32_e32 0xffffff, v38
	s_cbranch_execz .LBB4_1608
; %bb.1601:                             ;   in Loop: Header=BB4_128 Depth=2
	v_lshrrev_b32_e32 v14, 24, v38
	v_bfrev_b32_e32 v3, 1
	s_mov_b32 s40, exec_lo
	s_delay_alu instid0(VALU_DEP_2)
	v_cmpx_ne_u32_e32 0x80, v14
	s_cbranch_execz .LBB4_1607
; %bb.1602:                             ;   in Loop: Header=BB4_128 Depth=2
	v_bfe_u32 v15, v38, 24, 7
	v_mov_b32_e32 v3, 0x7f800001
	s_mov_b32 s41, exec_lo
	s_delay_alu instid0(VALU_DEP_2)
	v_cmpx_ne_u32_e32 0x7f, v15
	s_cbranch_execz .LBB4_1606
; %bb.1603:                             ;   in Loop: Header=BB4_128 Depth=2
	v_dual_lshrrev_b32 v3, 3, v15 :: v_dual_bitop2_b32 v38, 7, v14 bitop3:0x40
	s_mov_b32 s42, exec_lo
	v_cmpx_gt_u32_e32 8, v15
; %bb.1604:                             ;   in Loop: Header=BB4_128 Depth=2
	s_delay_alu instid0(VALU_DEP_2) | instskip(NEXT) | instid1(VALU_DEP_1)
	v_clz_i32_u32_e32 v3, v38
	v_min_u32_e32 v3, 32, v3
	s_delay_alu instid0(VALU_DEP_1) | instskip(NEXT) | instid1(VALU_DEP_1)
	v_subrev_nc_u32_e32 v15, 28, v3
	v_lshlrev_b64_e32 v[20:21], v15, v[38:39]
	s_delay_alu instid0(VALU_DEP_1)
	v_dual_sub_nc_u32 v3, 29, v3 :: v_dual_bitop2_b32 v38, 7, v20 bitop3:0x40
; %bb.1605:                             ;   in Loop: Header=BB4_128 Depth=2
	s_or_b32 exec_lo, exec_lo, s42
	v_lshlrev_b32_e32 v14, 24, v14
	s_delay_alu instid0(VALU_DEP_2) | instskip(NEXT) | instid1(VALU_DEP_3)
	v_lshlrev_b32_e32 v15, 20, v38
	v_lshl_add_u32 v3, v3, 23, 0x3c000000
	s_delay_alu instid0(VALU_DEP_3) | instskip(NEXT) | instid1(VALU_DEP_1)
	v_and_b32_e32 v14, 0x80000000, v14
	v_or3_b32 v3, v15, v14, v3
.LBB4_1606:                             ;   in Loop: Header=BB4_128 Depth=2
	s_or_b32 exec_lo, exec_lo, s41
.LBB4_1607:                             ;   in Loop: Header=BB4_128 Depth=2
	s_delay_alu instid0(SALU_CYCLE_1)
	s_or_b32 exec_lo, exec_lo, s40
.LBB4_1608:                             ;   in Loop: Header=BB4_128 Depth=2
	s_delay_alu instid0(SALU_CYCLE_1) | instskip(NEXT) | instid1(SALU_CYCLE_1)
	s_or_b32 exec_lo, exec_lo, s10
	s_mov_b32 s10, exec_lo
	v_cmpx_lt_u64_e64 s[14:15], v[10:11]
	s_cbranch_execz .LBB4_1616
; %bb.1609:                             ;   in Loop: Header=BB4_128 Depth=2
	v_lshrrev_b32_e32 v10, 24, v11
	v_bfrev_b32_e32 v2, 1
	s_mov_b32 s40, exec_lo
	s_delay_alu instid0(VALU_DEP_2)
	v_cmpx_ne_u32_e32 0x80, v10
	s_cbranch_execz .LBB4_1615
; %bb.1610:                             ;   in Loop: Header=BB4_128 Depth=2
	v_bfe_u32 v11, v11, 24, 7
	v_mov_b32_e32 v2, 0x7f800001
	s_mov_b32 s41, exec_lo
	s_delay_alu instid0(VALU_DEP_2)
	v_cmpx_ne_u32_e32 0x7f, v11
	s_cbranch_execz .LBB4_1614
; %bb.1611:                             ;   in Loop: Header=BB4_128 Depth=2
	v_dual_lshrrev_b32 v2, 3, v11 :: v_dual_bitop2_b32 v38, 7, v10 bitop3:0x40
	s_mov_b32 s42, exec_lo
	v_cmpx_gt_u32_e32 8, v11
; %bb.1612:                             ;   in Loop: Header=BB4_128 Depth=2
	s_delay_alu instid0(VALU_DEP_2) | instskip(NEXT) | instid1(VALU_DEP_1)
	v_clz_i32_u32_e32 v2, v38
	v_min_u32_e32 v2, 32, v2
	s_delay_alu instid0(VALU_DEP_1) | instskip(SKIP_1) | instid1(VALU_DEP_2)
	v_subrev_nc_u32_e32 v11, 28, v2
	v_sub_nc_u32_e32 v2, 29, v2
	v_lshlrev_b64_e32 v[14:15], v11, v[38:39]
	s_delay_alu instid0(VALU_DEP_1)
	v_and_b32_e32 v38, 7, v14
; %bb.1613:                             ;   in Loop: Header=BB4_128 Depth=2
	s_or_b32 exec_lo, exec_lo, s42
	v_lshlrev_b32_e32 v10, 24, v10
	s_delay_alu instid0(VALU_DEP_2) | instskip(SKIP_1) | instid1(VALU_DEP_3)
	v_lshlrev_b32_e32 v11, 20, v38
	v_lshl_add_u32 v2, v2, 23, 0x3c000000
	v_and_b32_e32 v10, 0x80000000, v10
	s_delay_alu instid0(VALU_DEP_1)
	v_or3_b32 v2, v11, v10, v2
.LBB4_1614:                             ;   in Loop: Header=BB4_128 Depth=2
	s_or_b32 exec_lo, exec_lo, s41
.LBB4_1615:                             ;   in Loop: Header=BB4_128 Depth=2
	s_delay_alu instid0(SALU_CYCLE_1)
	s_or_b32 exec_lo, exec_lo, s40
.LBB4_1616:                             ;   in Loop: Header=BB4_128 Depth=2
	s_delay_alu instid0(SALU_CYCLE_1) | instskip(NEXT) | instid1(VALU_DEP_1)
	s_or_b32 exec_lo, exec_lo, s10
	v_add_f32_e32 v3, v3, v2
                                        ; implicit-def: $vgpr17
	s_mov_b32 s10, exec_lo
	s_delay_alu instid0(VALU_DEP_1) | instskip(SKIP_1) | instid1(VALU_DEP_2)
	v_and_b32_e32 v38, 0x7f800000, v3
	v_lshrrev_b32_e32 v2, 24, v3
	v_cmpx_ne_u64_e32 0x7f800000, v[38:39]
	s_xor_b32 s40, exec_lo, s10
	s_cbranch_execz .LBB4_1630
; %bb.1617:                             ;   in Loop: Header=BB4_128 Depth=2
	v_and_b32_e32 v38, 0x7fffffff, v3
	v_and_b32_e32 v2, 0x80, v2
                                        ; implicit-def: $vgpr17
	s_mov_b32 s10, exec_lo
	s_delay_alu instid0(VALU_DEP_2)
	v_cmpx_gt_u64_e32 0x43e00001, v[38:39]
	s_xor_b32 s41, exec_lo, s10
	s_cbranch_execz .LBB4_1627
; %bb.1618:                             ;   in Loop: Header=BB4_128 Depth=2
	v_mov_b32_e32 v17, 0
	s_mov_b32 s42, exec_lo
	v_cmpx_ne_u32_e32 0, v3
	s_cbranch_execz .LBB4_1626
; %bb.1619:                             ;   in Loop: Header=BB4_128 Depth=2
	v_bfe_u32 v17, v3, 23, 8
	v_and_b32_e32 v3, 0x7fffff, v3
	s_delay_alu instid0(VALU_DEP_2) | instskip(SKIP_1) | instid1(VALU_DEP_3)
	v_sub_nc_u32_e32 v10, 0x79, v17
	v_cmp_gt_u32_e32 vcc_lo, 0x7a, v17
	v_or_b32_e32 v14, 0x800000, v3
	s_delay_alu instid0(VALU_DEP_3) | instskip(SKIP_1) | instid1(VALU_DEP_2)
	v_cndmask_b32_e32 v10, 0, v10, vcc_lo
	v_cmp_eq_u32_e32 vcc_lo, 0, v17
	v_cndmask_b32_e64 v113, v10, 0x78, vcc_lo
	s_delay_alu instid0(VALU_DEP_1) | instskip(SKIP_1) | instid1(VALU_DEP_2)
	v_dual_cndmask_b32 v38, v14, v3, vcc_lo :: v_dual_add_nc_u32 v10, 20, v113
	v_add_nc_u32_e32 v15, 19, v113
	v_lshlrev_b64_e64 v[10:11], v10, -1
	s_delay_alu instid0(VALU_DEP_2) | instskip(NEXT) | instid1(VALU_DEP_2)
	v_lshlrev_b64_e64 v[14:15], v15, 1
	v_bfi_b32 v21, v11, 0, 0
	s_delay_alu instid0(VALU_DEP_3) | instskip(SKIP_1) | instid1(VALU_DEP_2)
	v_bfi_b32 v20, v10, 0, v38
	v_lshrrev_b64 v[10:11], v113, v[38:39]
	v_cmp_eq_u64_e64 s10, v[20:21], v[14:15]
	s_delay_alu instid0(VALU_DEP_2)
	v_mov_b64_e32 v[14:15], v[10:11]
	s_and_saveexec_b32 s43, s10
; %bb.1620:                             ;   in Loop: Header=BB4_128 Depth=2
	v_bfe_u32 v38, v10, 20, 1
	s_delay_alu instid0(VALU_DEP_1) | instskip(NEXT) | instid1(VALU_DEP_1)
	v_add_nc_u64_e32 v[14:15], v[10:11], v[38:39]
	v_add_nc_u64_e32 v[14:15], -1, v[14:15]
; %bb.1621:                             ;   in Loop: Header=BB4_128 Depth=2
	s_or_b32 exec_lo, exec_lo, s43
	v_add_nc_u32_e32 v3, 0xffffff81, v17
	v_lshrrev_b32_e32 v11, 23, v10
	s_mov_b32 s10, exec_lo
	s_delay_alu instid0(VALU_DEP_2) | instskip(NEXT) | instid1(VALU_DEP_1)
	v_cndmask_b32_e64 v3, v3, 0xffffff82, vcc_lo
	v_add3_u32 v15, v113, v3, v11
	v_and_b32_e32 v3, 0xfffff, v14
	s_delay_alu instid0(VALU_DEP_1) | instskip(NEXT) | instid1(VALU_DEP_1)
	v_dual_add_nc_u32 v14, 6, v15 :: v_dual_add_nc_u32 v38, v3, v10
                                        ; implicit-def: $vgpr10_vgpr11
                                        ; implicit-def: $vgpr3
	v_cmpx_ne_u32_e32 0, v14
	s_xor_b32 s10, exec_lo, s10
; %bb.1622:                             ;   in Loop: Header=BB4_128 Depth=2
	s_delay_alu instid0(VALU_DEP_2) | instskip(SKIP_2) | instid1(VALU_DEP_2)
	v_cmp_lt_u64_e32 vcc_lo, 0xffffff, v[38:39]
	v_add_nc_u32_e32 v3, 7, v15
	v_cndmask_b32_e64 v10, 0, 1, vcc_lo
	v_cndmask_b32_e32 v3, v14, v3, vcc_lo
	s_delay_alu instid0(VALU_DEP_2)
	v_lshrrev_b64 v[10:11], v10, v[38:39]
; %bb.1623:                             ;   in Loop: Header=BB4_128 Depth=2
	s_and_not1_saveexec_b32 s10, s10
; %bb.1624:                             ;   in Loop: Header=BB4_128 Depth=2
	v_mov_b64_e32 v[10:11], v[38:39]
	v_bfe_u32 v3, v38, 23, 1
; %bb.1625:                             ;   in Loop: Header=BB4_128 Depth=2
	s_or_b32 exec_lo, exec_lo, s10
	s_delay_alu instid0(VALU_DEP_2) | instskip(NEXT) | instid1(VALU_DEP_2)
	v_lshrrev_b64 v[10:11], 20, v[10:11]
	v_cmp_gt_i32_e32 vcc_lo, 16, v3
	v_min_i32_e32 v14, 15, v3
	v_cmp_eq_u32_e64 s10, 0, v3
	s_delay_alu instid0(VALU_DEP_4) | instskip(NEXT) | instid1(VALU_DEP_3)
	v_cndmask_b32_e32 v10, 7, v10, vcc_lo
	v_dual_cndmask_b32 v11, 0, v11 :: v_dual_lshlrev_b32 v14, 3, v14
	s_delay_alu instid0(VALU_DEP_1) | instskip(NEXT) | instid1(VALU_DEP_2)
	v_and_b32_e32 v14, 0xf8, v14
	v_cmp_eq_u64_e32 vcc_lo, 0, v[10:11]
	s_delay_alu instid0(VALU_DEP_2)
	v_and_or_b32 v3, v10, 7, v14
	s_and_b32 s10, s10, vcc_lo
	s_delay_alu instid0(VALU_DEP_1) | instid1(SALU_CYCLE_1)
	v_cndmask_b32_e64 v3, v3, 0, s10
	s_delay_alu instid0(VALU_DEP_1)
	v_or_b32_e32 v17, v3, v2
.LBB4_1626:                             ;   in Loop: Header=BB4_128 Depth=2
	s_or_b32 exec_lo, exec_lo, s42
                                        ; implicit-def: $vgpr2
.LBB4_1627:                             ;   in Loop: Header=BB4_128 Depth=2
	s_and_not1_saveexec_b32 s10, s41
; %bb.1628:                             ;   in Loop: Header=BB4_128 Depth=2
	v_or_b32_e32 v17, 0x7e, v2
; %bb.1629:                             ;   in Loop: Header=BB4_128 Depth=2
	s_or_b32 exec_lo, exec_lo, s10
                                        ; implicit-def: $vgpr2
.LBB4_1630:                             ;   in Loop: Header=BB4_128 Depth=2
	s_and_not1_saveexec_b32 s10, s40
; %bb.1631:                             ;   in Loop: Header=BB4_128 Depth=2
	v_or_b32_e32 v17, 0x7f, v2
; %bb.1632:                             ;   in Loop: Header=BB4_128 Depth=2
	s_or_b32 exec_lo, exec_lo, s10
	v_lshl_or_b32 v2, v46, 8, v41
	v_dual_lshlrev_b32 v10, 16, v57 :: v_dual_lshlrev_b32 v11, 24, v60
	v_mov_b32_e32 v3, 0
	s_mov_b32 s10, exec_lo
	s_delay_alu instid0(VALU_DEP_2)
	v_or3_b32 v38, v10, v11, v2
	v_mov_b32_e32 v10, 0
	v_cmpx_ne_u32_e32 0, v41
	s_cbranch_execz .LBB4_1638
; %bb.1633:                             ;   in Loop: Header=BB4_128 Depth=2
	v_bfrev_b32_e32 v10, 1
	s_mov_b32 s40, exec_lo
	v_cmpx_ne_u32_e32 0x80, v41
	s_cbranch_execz .LBB4_1637
; %bb.1634:                             ;   in Loop: Header=BB4_128 Depth=2
	v_and_b32_e32 v11, 0x7f, v41
	v_mov_b32_e32 v10, 0x7f800001
	s_mov_b32 s41, exec_lo
	s_delay_alu instid0(VALU_DEP_2)
	v_cmpx_ne_u32_e32 0x7f, v11
	s_cbranch_execz .LBB4_1636
; %bb.1635:                             ;   in Loop: Header=BB4_128 Depth=2
	v_dual_lshrrev_b32 v14, 3, v11 :: v_dual_bitop2_b32 v10, 7, v41 bitop3:0x40
	v_cmp_gt_u32_e32 vcc_lo, 8, v11
	s_delay_alu instid0(VALU_DEP_2) | instskip(NEXT) | instid1(VALU_DEP_1)
	v_clz_i32_u32_e32 v10, v10
	v_min_u32_e32 v10, 32, v10
	s_delay_alu instid0(VALU_DEP_1) | instskip(SKIP_1) | instid1(VALU_DEP_1)
	v_subrev_nc_u32_e32 v15, 28, v10
	v_sub_nc_u32_e32 v10, 29, v10
	v_dual_cndmask_b32 v14, v14, v10, vcc_lo :: v_dual_cndmask_b32 v10, 0, v15, vcc_lo
	s_delay_alu instid0(VALU_DEP_1) | instskip(NEXT) | instid1(VALU_DEP_2)
	v_lshl_add_u32 v14, v14, 23, 0x3c000000
	v_lshlrev_b64_e32 v[10:11], v10, v[38:39]
	v_lshlrev_b32_e32 v11, 24, v38
	s_delay_alu instid0(VALU_DEP_1) | instskip(NEXT) | instid1(VALU_DEP_3)
	v_and_b32_e32 v11, 0x80000000, v11
	v_lshlrev_b32_e32 v10, 20, v10
	s_delay_alu instid0(VALU_DEP_1) | instskip(NEXT) | instid1(VALU_DEP_1)
	v_and_b32_e32 v10, 0x700000, v10
	v_or3_b32 v10, v10, v11, v14
.LBB4_1636:                             ;   in Loop: Header=BB4_128 Depth=2
	s_or_b32 exec_lo, exec_lo, s41
.LBB4_1637:                             ;   in Loop: Header=BB4_128 Depth=2
	s_delay_alu instid0(SALU_CYCLE_1)
	s_or_b32 exec_lo, exec_lo, s40
.LBB4_1638:                             ;   in Loop: Header=BB4_128 Depth=2
	s_delay_alu instid0(SALU_CYCLE_1) | instskip(SKIP_2) | instid1(VALU_DEP_1)
	s_or_b32 exec_lo, exec_lo, s10
	v_and_b32_e32 v11, 0xff, v12
	s_mov_b32 s10, exec_lo
	v_cmpx_ne_u16_e32 0, v11
	s_cbranch_execz .LBB4_1644
; %bb.1639:                             ;   in Loop: Header=BB4_128 Depth=2
	v_bfrev_b32_e32 v3, 1
	s_mov_b32 s40, exec_lo
	v_cmpx_ne_u16_e32 0x80, v11
	s_cbranch_execz .LBB4_1643
; %bb.1640:                             ;   in Loop: Header=BB4_128 Depth=2
	v_and_b32_e32 v11, 0x7f, v12
	v_mov_b32_e32 v3, 0x7f800001
	s_mov_b32 s41, exec_lo
	s_delay_alu instid0(VALU_DEP_2)
	v_cmpx_ne_u32_e32 0x7f, v11
	s_cbranch_execz .LBB4_1642
; %bb.1641:                             ;   in Loop: Header=BB4_128 Depth=2
	v_dual_lshrrev_b32 v14, 3, v11 :: v_dual_bitop2_b32 v3, 7, v12 bitop3:0x40
	v_cmp_gt_u32_e32 vcc_lo, 8, v11
	s_delay_alu instid0(VALU_DEP_2) | instskip(NEXT) | instid1(VALU_DEP_1)
	v_clz_i32_u32_e32 v3, v3
	v_min_u32_e32 v3, 32, v3
	s_delay_alu instid0(VALU_DEP_1) | instskip(SKIP_1) | instid1(VALU_DEP_2)
	v_subrev_nc_u32_e32 v15, 28, v3
	v_sub_nc_u32_e32 v3, 29, v3
	v_cndmask_b32_e32 v11, 0, v15, vcc_lo
	s_delay_alu instid0(VALU_DEP_2) | instskip(NEXT) | instid1(VALU_DEP_2)
	v_cndmask_b32_e32 v3, v14, v3, vcc_lo
	v_lshlrev_b64_e32 v[14:15], v11, v[12:13]
	v_lshlrev_b32_e32 v11, 24, v12
	s_delay_alu instid0(VALU_DEP_1) | instskip(NEXT) | instid1(VALU_DEP_3)
	v_and_b32_e32 v11, 0x80000000, v11
	v_lshlrev_b32_e32 v14, 20, v14
	v_lshl_add_u32 v3, v3, 23, 0x3c000000
	s_delay_alu instid0(VALU_DEP_2) | instskip(NEXT) | instid1(VALU_DEP_1)
	v_and_b32_e32 v14, 0x700000, v14
	v_or3_b32 v3, v14, v11, v3
.LBB4_1642:                             ;   in Loop: Header=BB4_128 Depth=2
	s_or_b32 exec_lo, exec_lo, s41
.LBB4_1643:                             ;   in Loop: Header=BB4_128 Depth=2
	s_delay_alu instid0(SALU_CYCLE_1)
	s_or_b32 exec_lo, exec_lo, s40
.LBB4_1644:                             ;   in Loop: Header=BB4_128 Depth=2
	s_delay_alu instid0(SALU_CYCLE_1) | instskip(NEXT) | instid1(VALU_DEP_1)
	s_or_b32 exec_lo, exec_lo, s10
	v_dual_add_f32 v10, v10, v3 :: v_dual_mov_b32 v15, v39
                                        ; implicit-def: $vgpr41
	s_mov_b32 s10, exec_lo
	s_delay_alu instid0(VALU_DEP_1) | instskip(SKIP_1) | instid1(VALU_DEP_2)
	v_and_b32_e32 v14, 0x7f800000, v10
	v_lshrrev_b32_e32 v3, 24, v10
	v_cmpx_ne_u64_e32 0x7f800000, v[14:15]
	s_xor_b32 s40, exec_lo, s10
	s_cbranch_execz .LBB4_1658
; %bb.1645:                             ;   in Loop: Header=BB4_128 Depth=2
	v_and_b32_e32 v14, 0x7fffffff, v10
	v_mov_b32_e32 v15, v39
	v_and_b32_e32 v3, 0x80, v3
                                        ; implicit-def: $vgpr41
	s_mov_b32 s10, exec_lo
	s_delay_alu instid0(VALU_DEP_2)
	v_cmpx_gt_u64_e32 0x43e00001, v[14:15]
	s_xor_b32 s41, exec_lo, s10
	s_cbranch_execz .LBB4_1655
; %bb.1646:                             ;   in Loop: Header=BB4_128 Depth=2
	v_mov_b32_e32 v41, 0
	s_mov_b32 s42, exec_lo
	v_cmpx_ne_u32_e32 0, v10
	s_cbranch_execz .LBB4_1654
; %bb.1647:                             ;   in Loop: Header=BB4_128 Depth=2
	v_bfe_u32 v113, v10, 23, 8
	v_and_b32_e32 v14, 0x7fffff, v10
	s_mov_b32 s43, exec_lo
	s_delay_alu instid0(VALU_DEP_2) | instskip(NEXT) | instid1(VALU_DEP_2)
	v_cmp_gt_u32_e32 vcc_lo, 0x7a, v113
	v_or_b32_e32 v15, 0x800000, v14
	v_sub_nc_u32_e32 v11, 0x79, v113
	s_delay_alu instid0(VALU_DEP_1) | instskip(SKIP_1) | instid1(VALU_DEP_2)
	v_cndmask_b32_e32 v11, 0, v11, vcc_lo
	v_cmp_eq_u32_e32 vcc_lo, 0, v113
	v_cndmask_b32_e64 v41, v11, 0x78, vcc_lo
	v_cndmask_b32_e32 v14, v15, v14, vcc_lo
	s_delay_alu instid0(VALU_DEP_2) | instskip(SKIP_1) | instid1(VALU_DEP_2)
	v_dual_mov_b32 v15, v39 :: v_dual_add_nc_u32 v20, 19, v41
	v_add_nc_u32_e32 v10, 20, v41
	v_lshlrev_b64_e64 v[20:21], v20, 1
	s_delay_alu instid0(VALU_DEP_2) | instskip(NEXT) | instid1(VALU_DEP_1)
	v_lshlrev_b64_e64 v[10:11], v10, -1
	v_bfi_b32 v61, v11, 0, 0
	s_delay_alu instid0(VALU_DEP_2) | instskip(SKIP_1) | instid1(VALU_DEP_1)
	v_bfi_b32 v60, v10, 0, v14
	v_lshrrev_b64 v[10:11], v41, v[14:15]
	v_mov_b64_e32 v[14:15], v[10:11]
	s_delay_alu instid0(VALU_DEP_3)
	v_cmpx_eq_u64_e64 v[60:61], v[20:21]
; %bb.1648:                             ;   in Loop: Header=BB4_128 Depth=2
	v_bfe_u32 v14, v10, 20, 1
	v_mov_b32_e32 v15, v39
	s_delay_alu instid0(VALU_DEP_1) | instskip(NEXT) | instid1(VALU_DEP_1)
	v_add_nc_u64_e32 v[14:15], v[10:11], v[14:15]
	v_add_nc_u64_e32 v[14:15], -1, v[14:15]
; %bb.1649:                             ;   in Loop: Header=BB4_128 Depth=2
	s_or_b32 exec_lo, exec_lo, s43
	v_add_nc_u32_e32 v11, 0xffffff81, v113
	v_lshrrev_b32_e32 v15, 23, v10
	s_mov_b32 s10, exec_lo
	s_delay_alu instid0(VALU_DEP_2) | instskip(NEXT) | instid1(VALU_DEP_1)
	v_cndmask_b32_e64 v11, v11, 0xffffff82, vcc_lo
	v_add3_u32 v15, v41, v11, v15
	v_and_b32_e32 v11, 0xfffff, v14
                                        ; implicit-def: $vgpr14
	s_delay_alu instid0(VALU_DEP_1) | instskip(SKIP_1) | instid1(VALU_DEP_2)
	v_dual_add_nc_u32 v113, 6, v15 :: v_dual_add_nc_u32 v10, v11, v10
	v_mov_b32_e32 v11, v39
	v_cmpx_ne_u32_e32 0, v113
	s_xor_b32 s10, exec_lo, s10
; %bb.1650:                             ;   in Loop: Header=BB4_128 Depth=2
	s_delay_alu instid0(VALU_DEP_2) | instskip(SKIP_2) | instid1(VALU_DEP_2)
	v_cmp_lt_u64_e32 vcc_lo, 0xffffff, v[10:11]
	v_add_nc_u32_e32 v14, 7, v15
	v_cndmask_b32_e64 v15, 0, 1, vcc_lo
	v_cndmask_b32_e32 v14, v113, v14, vcc_lo
	s_delay_alu instid0(VALU_DEP_2)
	v_lshrrev_b64 v[10:11], v15, v[10:11]
; %bb.1651:                             ;   in Loop: Header=BB4_128 Depth=2
	s_and_not1_saveexec_b32 s10, s10
; %bb.1652:                             ;   in Loop: Header=BB4_128 Depth=2
	s_delay_alu instid0(VALU_DEP_1)
	v_bfe_u32 v14, v10, 23, 1
; %bb.1653:                             ;   in Loop: Header=BB4_128 Depth=2
	s_or_b32 exec_lo, exec_lo, s10
	s_delay_alu instid0(VALU_DEP_2) | instskip(NEXT) | instid1(VALU_DEP_2)
	v_lshrrev_b64 v[10:11], 20, v[10:11]
	v_cmp_gt_i32_e32 vcc_lo, 16, v14
	v_min_i32_e32 v15, 15, v14
	v_cmp_eq_u32_e64 s10, 0, v14
	s_delay_alu instid0(VALU_DEP_4) | instskip(NEXT) | instid1(VALU_DEP_3)
	v_cndmask_b32_e32 v11, 0, v11, vcc_lo
	v_dual_cndmask_b32 v10, 7, v10 :: v_dual_lshlrev_b32 v15, 3, v15
	s_delay_alu instid0(VALU_DEP_1) | instskip(NEXT) | instid1(VALU_DEP_2)
	v_and_b32_e32 v15, 0xf8, v15
	v_cmp_eq_u64_e32 vcc_lo, 0, v[10:11]
	s_delay_alu instid0(VALU_DEP_2)
	v_and_or_b32 v10, v10, 7, v15
	s_and_b32 s10, s10, vcc_lo
	s_delay_alu instid0(VALU_DEP_1) | instid1(SALU_CYCLE_1)
	v_cndmask_b32_e64 v10, v10, 0, s10
	s_delay_alu instid0(VALU_DEP_1)
	v_or_b32_e32 v41, v10, v3
.LBB4_1654:                             ;   in Loop: Header=BB4_128 Depth=2
	s_or_b32 exec_lo, exec_lo, s42
                                        ; implicit-def: $vgpr3
.LBB4_1655:                             ;   in Loop: Header=BB4_128 Depth=2
	s_and_not1_saveexec_b32 s10, s41
; %bb.1656:                             ;   in Loop: Header=BB4_128 Depth=2
	v_or_b32_e32 v41, 0x7e, v3
; %bb.1657:                             ;   in Loop: Header=BB4_128 Depth=2
	s_or_b32 exec_lo, exec_lo, s10
                                        ; implicit-def: $vgpr3
.LBB4_1658:                             ;   in Loop: Header=BB4_128 Depth=2
	s_and_not1_saveexec_b32 s10, s40
; %bb.1659:                             ;   in Loop: Header=BB4_128 Depth=2
	v_or_b32_e32 v41, 0x7f, v3
; %bb.1660:                             ;   in Loop: Header=BB4_128 Depth=2
	s_or_b32 exec_lo, exec_lo, s10
	v_lshrrev_b16 v10, 8, v2
	v_dual_mov_b32 v3, 0 :: v_dual_mov_b32 v14, 0
	s_mov_b32 s10, exec_lo
	s_delay_alu instid0(VALU_DEP_2)
	v_cmpx_ne_u16_e32 0, v10
	s_cbranch_execz .LBB4_1668
; %bb.1661:                             ;   in Loop: Header=BB4_128 Depth=2
	v_bfrev_b32_e32 v14, 1
	s_mov_b32 s40, exec_lo
	v_cmpx_ne_u16_e32 0x80, v10
	s_cbranch_execz .LBB4_1667
; %bb.1662:                             ;   in Loop: Header=BB4_128 Depth=2
	v_and_b32_e32 v10, 0xffff, v10
	v_mov_b32_e32 v14, 0x7f800001
	s_mov_b32 s41, exec_lo
	s_delay_alu instid0(VALU_DEP_2) | instskip(NEXT) | instid1(VALU_DEP_1)
	v_and_b32_e32 v15, 0x7f, v10
	v_cmpx_ne_u32_e32 0x7f, v15
	s_cbranch_execz .LBB4_1666
; %bb.1663:                             ;   in Loop: Header=BB4_128 Depth=2
	v_dual_mov_b32 v11, v39 :: v_dual_bitop2_b32 v10, 7, v10 bitop3:0x40
	v_lshrrev_b32_e32 v14, 3, v15
	s_mov_b32 s42, exec_lo
	v_cmpx_gt_u32_e32 8, v15
; %bb.1664:                             ;   in Loop: Header=BB4_128 Depth=2
	s_delay_alu instid0(VALU_DEP_3) | instskip(NEXT) | instid1(VALU_DEP_1)
	v_clz_i32_u32_e32 v14, v10
	v_min_u32_e32 v14, 32, v14
	s_delay_alu instid0(VALU_DEP_1) | instskip(SKIP_1) | instid1(VALU_DEP_2)
	v_subrev_nc_u32_e32 v15, 28, v14
	v_sub_nc_u32_e32 v14, 29, v14
	v_lshlrev_b64_e32 v[10:11], v15, v[10:11]
	s_delay_alu instid0(VALU_DEP_1)
	v_and_b32_e32 v10, 7, v10
; %bb.1665:                             ;   in Loop: Header=BB4_128 Depth=2
	s_or_b32 exec_lo, exec_lo, s42
	v_lshlrev_b32_e32 v2, 16, v2
	s_delay_alu instid0(VALU_DEP_2) | instskip(SKIP_1) | instid1(VALU_DEP_3)
	v_lshlrev_b32_e32 v10, 20, v10
	v_lshl_add_u32 v11, v14, 23, 0x3c000000
	v_and_b32_e32 v2, 0x80000000, v2
	s_delay_alu instid0(VALU_DEP_1)
	v_or3_b32 v14, v10, v2, v11
.LBB4_1666:                             ;   in Loop: Header=BB4_128 Depth=2
	s_or_b32 exec_lo, exec_lo, s41
.LBB4_1667:                             ;   in Loop: Header=BB4_128 Depth=2
	s_delay_alu instid0(SALU_CYCLE_1)
	s_or_b32 exec_lo, exec_lo, s40
.LBB4_1668:                             ;   in Loop: Header=BB4_128 Depth=2
	s_delay_alu instid0(SALU_CYCLE_1) | instskip(SKIP_2) | instid1(VALU_DEP_1)
	s_or_b32 exec_lo, exec_lo, s10
	v_lshrrev_b16 v2, 8, v12
	s_mov_b32 s10, exec_lo
	v_cmpx_ne_u16_e32 0, v2
	s_cbranch_execz .LBB4_1676
; %bb.1669:                             ;   in Loop: Header=BB4_128 Depth=2
	v_bfrev_b32_e32 v3, 1
	s_mov_b32 s40, exec_lo
	v_cmpx_ne_u16_e32 0x80, v2
	s_cbranch_execz .LBB4_1675
; %bb.1670:                             ;   in Loop: Header=BB4_128 Depth=2
	v_and_b32_e32 v2, 0xffff, v2
	v_mov_b32_e32 v3, 0x7f800001
	s_mov_b32 s41, exec_lo
	s_delay_alu instid0(VALU_DEP_2) | instskip(NEXT) | instid1(VALU_DEP_1)
	v_and_b32_e32 v15, 0x7f, v2
	v_cmpx_ne_u32_e32 0x7f, v15
	s_cbranch_execz .LBB4_1674
; %bb.1671:                             ;   in Loop: Header=BB4_128 Depth=2
	v_dual_mov_b32 v11, v39 :: v_dual_bitop2_b32 v10, 7, v2 bitop3:0x40
	v_lshrrev_b32_e32 v2, 3, v15
	s_mov_b32 s42, exec_lo
	v_cmpx_gt_u32_e32 8, v15
; %bb.1672:                             ;   in Loop: Header=BB4_128 Depth=2
	s_delay_alu instid0(VALU_DEP_3) | instskip(NEXT) | instid1(VALU_DEP_1)
	v_clz_i32_u32_e32 v2, v10
	v_min_u32_e32 v2, 32, v2
	s_delay_alu instid0(VALU_DEP_1) | instskip(SKIP_1) | instid1(VALU_DEP_2)
	v_subrev_nc_u32_e32 v3, 28, v2
	v_sub_nc_u32_e32 v2, 29, v2
	v_lshlrev_b64_e32 v[10:11], v3, v[10:11]
	s_delay_alu instid0(VALU_DEP_1)
	v_and_b32_e32 v10, 7, v10
; %bb.1673:                             ;   in Loop: Header=BB4_128 Depth=2
	s_or_b32 exec_lo, exec_lo, s42
	s_delay_alu instid0(VALU_DEP_1) | instskip(SKIP_1) | instid1(VALU_DEP_2)
	v_dual_lshlrev_b32 v3, 16, v12 :: v_dual_lshlrev_b32 v10, 20, v10
	v_lshl_add_u32 v2, v2, 23, 0x3c000000
	v_and_b32_e32 v3, 0x80000000, v3
	s_delay_alu instid0(VALU_DEP_1)
	v_or3_b32 v3, v10, v3, v2
.LBB4_1674:                             ;   in Loop: Header=BB4_128 Depth=2
	s_or_b32 exec_lo, exec_lo, s41
.LBB4_1675:                             ;   in Loop: Header=BB4_128 Depth=2
	s_delay_alu instid0(SALU_CYCLE_1)
	s_or_b32 exec_lo, exec_lo, s40
.LBB4_1676:                             ;   in Loop: Header=BB4_128 Depth=2
	s_delay_alu instid0(SALU_CYCLE_1) | instskip(NEXT) | instid1(VALU_DEP_1)
	s_or_b32 exec_lo, exec_lo, s10
	v_dual_add_f32 v3, v14, v3 :: v_dual_mov_b32 v11, v39
                                        ; implicit-def: $vgpr46
	s_mov_b32 s10, exec_lo
	s_delay_alu instid0(VALU_DEP_1) | instskip(SKIP_1) | instid1(VALU_DEP_2)
	v_and_b32_e32 v10, 0x7f800000, v3
	v_lshrrev_b32_e32 v2, 24, v3
	v_cmpx_ne_u64_e32 0x7f800000, v[10:11]
	s_xor_b32 s40, exec_lo, s10
	s_cbranch_execz .LBB4_1690
; %bb.1677:                             ;   in Loop: Header=BB4_128 Depth=2
	v_and_b32_e32 v10, 0x7fffffff, v3
	v_mov_b32_e32 v11, v39
	v_and_b32_e32 v2, 0x80, v2
                                        ; implicit-def: $vgpr46
	s_mov_b32 s10, exec_lo
	s_delay_alu instid0(VALU_DEP_2)
	v_cmpx_gt_u64_e32 0x43e00001, v[10:11]
	s_xor_b32 s41, exec_lo, s10
	s_cbranch_execz .LBB4_1687
; %bb.1678:                             ;   in Loop: Header=BB4_128 Depth=2
	v_mov_b32_e32 v46, 0
	s_mov_b32 s42, exec_lo
	v_cmpx_ne_u32_e32 0, v3
	s_cbranch_execz .LBB4_1686
; %bb.1679:                             ;   in Loop: Header=BB4_128 Depth=2
	v_bfe_u32 v113, v3, 23, 8
	v_and_b32_e32 v3, 0x7fffff, v3
	s_mov_b32 s43, exec_lo
	s_delay_alu instid0(VALU_DEP_2) | instskip(SKIP_1) | instid1(VALU_DEP_3)
	v_dual_mov_b32 v15, v39 :: v_dual_sub_nc_u32 v10, 0x79, v113
	v_cmp_gt_u32_e32 vcc_lo, 0x7a, v113
	v_or_b32_e32 v14, 0x800000, v3
	s_delay_alu instid0(VALU_DEP_3) | instskip(SKIP_1) | instid1(VALU_DEP_3)
	v_cndmask_b32_e32 v10, 0, v10, vcc_lo
	v_cmp_eq_u32_e32 vcc_lo, 0, v113
	v_cndmask_b32_e32 v14, v14, v3, vcc_lo
	s_delay_alu instid0(VALU_DEP_3) | instskip(NEXT) | instid1(VALU_DEP_1)
	v_cndmask_b32_e64 v46, v10, 0x78, vcc_lo
	v_dual_add_nc_u32 v10, 20, v46 :: v_dual_add_nc_u32 v20, 19, v46
	s_delay_alu instid0(VALU_DEP_1) | instskip(NEXT) | instid1(VALU_DEP_2)
	v_lshlrev_b64_e64 v[10:11], v10, -1
	v_lshlrev_b64_e64 v[20:21], v20, 1
	s_delay_alu instid0(VALU_DEP_2) | instskip(NEXT) | instid1(VALU_DEP_3)
	v_bfi_b32 v61, v11, 0, 0
	v_bfi_b32 v60, v10, 0, v14
	v_lshrrev_b64 v[10:11], v46, v[14:15]
	s_delay_alu instid0(VALU_DEP_1) | instskip(NEXT) | instid1(VALU_DEP_3)
	v_mov_b64_e32 v[14:15], v[10:11]
	v_cmpx_eq_u64_e64 v[60:61], v[20:21]
; %bb.1680:                             ;   in Loop: Header=BB4_128 Depth=2
	v_bfe_u32 v14, v10, 20, 1
	v_mov_b32_e32 v15, v39
	s_delay_alu instid0(VALU_DEP_1) | instskip(NEXT) | instid1(VALU_DEP_1)
	v_add_nc_u64_e32 v[14:15], v[10:11], v[14:15]
	v_add_nc_u64_e32 v[14:15], -1, v[14:15]
; %bb.1681:                             ;   in Loop: Header=BB4_128 Depth=2
	s_or_b32 exec_lo, exec_lo, s43
	v_add_nc_u32_e32 v3, 0xffffff81, v113
	v_lshrrev_b32_e32 v11, 23, v10
	s_mov_b32 s10, exec_lo
	s_delay_alu instid0(VALU_DEP_2) | instskip(NEXT) | instid1(VALU_DEP_1)
	v_cndmask_b32_e64 v3, v3, 0xffffff82, vcc_lo
	v_add3_u32 v15, v46, v3, v11
	v_and_b32_e32 v3, 0xfffff, v14
	s_delay_alu instid0(VALU_DEP_2) | instskip(NEXT) | instid1(VALU_DEP_2)
	v_dual_mov_b32 v11, v39 :: v_dual_add_nc_u32 v14, 6, v15
	v_add_nc_u32_e32 v10, v3, v10
                                        ; implicit-def: $vgpr3
	s_delay_alu instid0(VALU_DEP_2)
	v_cmpx_ne_u32_e32 0, v14
	s_xor_b32 s10, exec_lo, s10
; %bb.1682:                             ;   in Loop: Header=BB4_128 Depth=2
	s_delay_alu instid0(VALU_DEP_2) | instskip(SKIP_1) | instid1(VALU_DEP_1)
	v_cmp_lt_u64_e32 vcc_lo, 0xffffff, v[10:11]
	v_add_nc_u32_e32 v3, 7, v15
	v_cndmask_b32_e32 v3, v14, v3, vcc_lo
	v_cndmask_b32_e64 v14, 0, 1, vcc_lo
	s_delay_alu instid0(VALU_DEP_1)
	v_lshrrev_b64 v[10:11], v14, v[10:11]
; %bb.1683:                             ;   in Loop: Header=BB4_128 Depth=2
	s_and_not1_saveexec_b32 s10, s10
; %bb.1684:                             ;   in Loop: Header=BB4_128 Depth=2
	s_delay_alu instid0(VALU_DEP_1)
	v_bfe_u32 v3, v10, 23, 1
; %bb.1685:                             ;   in Loop: Header=BB4_128 Depth=2
	s_or_b32 exec_lo, exec_lo, s10
	s_delay_alu instid0(VALU_DEP_2) | instskip(NEXT) | instid1(VALU_DEP_2)
	v_lshrrev_b64 v[10:11], 20, v[10:11]
	v_cmp_gt_i32_e32 vcc_lo, 16, v3
	v_min_i32_e32 v14, 15, v3
	v_cmp_eq_u32_e64 s10, 0, v3
	s_delay_alu instid0(VALU_DEP_4) | instskip(NEXT) | instid1(VALU_DEP_3)
	v_cndmask_b32_e32 v10, 7, v10, vcc_lo
	v_dual_cndmask_b32 v11, 0, v11 :: v_dual_lshlrev_b32 v14, 3, v14
	s_delay_alu instid0(VALU_DEP_1) | instskip(NEXT) | instid1(VALU_DEP_2)
	v_and_b32_e32 v14, 0xf8, v14
	v_cmp_eq_u64_e32 vcc_lo, 0, v[10:11]
	s_delay_alu instid0(VALU_DEP_2)
	v_and_or_b32 v3, v10, 7, v14
	s_and_b32 s10, s10, vcc_lo
	s_delay_alu instid0(VALU_DEP_1) | instid1(SALU_CYCLE_1)
	v_cndmask_b32_e64 v3, v3, 0, s10
	s_delay_alu instid0(VALU_DEP_1)
	v_or_b32_e32 v46, v3, v2
.LBB4_1686:                             ;   in Loop: Header=BB4_128 Depth=2
	s_or_b32 exec_lo, exec_lo, s42
                                        ; implicit-def: $vgpr2
.LBB4_1687:                             ;   in Loop: Header=BB4_128 Depth=2
	s_and_not1_saveexec_b32 s10, s41
; %bb.1688:                             ;   in Loop: Header=BB4_128 Depth=2
	v_or_b32_e32 v46, 0x7e, v2
; %bb.1689:                             ;   in Loop: Header=BB4_128 Depth=2
	s_or_b32 exec_lo, exec_lo, s10
                                        ; implicit-def: $vgpr2
.LBB4_1690:                             ;   in Loop: Header=BB4_128 Depth=2
	s_and_not1_saveexec_b32 s10, s40
; %bb.1691:                             ;   in Loop: Header=BB4_128 Depth=2
	v_or_b32_e32 v46, 0x7f, v2
; %bb.1692:                             ;   in Loop: Header=BB4_128 Depth=2
	s_or_b32 exec_lo, exec_lo, s10
	v_dual_lshrrev_b32 v14, 16, v38 :: v_dual_mov_b32 v2, 0
	v_mov_b32_e32 v3, 0
	s_mov_b32 s10, exec_lo
	s_delay_alu instid0(VALU_DEP_2) | instskip(NEXT) | instid1(VALU_DEP_1)
	v_and_b32_e32 v10, 0xff, v14
	v_cmpx_ne_u16_e32 0, v10
	s_cbranch_execz .LBB4_1700
; %bb.1693:                             ;   in Loop: Header=BB4_128 Depth=2
	v_bfrev_b32_e32 v3, 1
	s_mov_b32 s40, exec_lo
	v_cmpx_ne_u16_e32 0x80, v10
	s_cbranch_execz .LBB4_1699
; %bb.1694:                             ;   in Loop: Header=BB4_128 Depth=2
	v_bfe_u32 v15, v38, 16, 7
	v_mov_b32_e32 v3, 0x7f800001
	s_mov_b32 s41, exec_lo
	s_delay_alu instid0(VALU_DEP_2)
	v_cmpx_ne_u32_e32 0x7f, v15
	s_cbranch_execz .LBB4_1698
; %bb.1695:                             ;   in Loop: Header=BB4_128 Depth=2
	v_dual_mov_b32 v11, v39 :: v_dual_bitop2_b32 v10, 7, v14 bitop3:0x40
	v_lshrrev_b32_e32 v3, 3, v15
	s_mov_b32 s42, exec_lo
	v_cmpx_gt_u32_e32 8, v15
; %bb.1696:                             ;   in Loop: Header=BB4_128 Depth=2
	s_delay_alu instid0(VALU_DEP_3) | instskip(NEXT) | instid1(VALU_DEP_1)
	v_clz_i32_u32_e32 v3, v10
	v_min_u32_e32 v3, 32, v3
	s_delay_alu instid0(VALU_DEP_1) | instskip(NEXT) | instid1(VALU_DEP_1)
	v_subrev_nc_u32_e32 v15, 28, v3
	v_lshlrev_b64_e32 v[10:11], v15, v[10:11]
	s_delay_alu instid0(VALU_DEP_1)
	v_dual_sub_nc_u32 v3, 29, v3 :: v_dual_bitop2_b32 v10, 7, v10 bitop3:0x40
; %bb.1697:                             ;   in Loop: Header=BB4_128 Depth=2
	s_or_b32 exec_lo, exec_lo, s42
	v_lshlrev_b32_e32 v11, 24, v14
	s_delay_alu instid0(VALU_DEP_2) | instskip(NEXT) | instid1(VALU_DEP_3)
	v_lshlrev_b32_e32 v10, 20, v10
	v_lshl_add_u32 v3, v3, 23, 0x3c000000
	s_delay_alu instid0(VALU_DEP_3) | instskip(NEXT) | instid1(VALU_DEP_1)
	v_and_b32_e32 v11, 0x80000000, v11
	v_or3_b32 v3, v10, v11, v3
.LBB4_1698:                             ;   in Loop: Header=BB4_128 Depth=2
	s_or_b32 exec_lo, exec_lo, s41
.LBB4_1699:                             ;   in Loop: Header=BB4_128 Depth=2
	s_delay_alu instid0(SALU_CYCLE_1)
	s_or_b32 exec_lo, exec_lo, s40
.LBB4_1700:                             ;   in Loop: Header=BB4_128 Depth=2
	s_delay_alu instid0(SALU_CYCLE_1) | instskip(SKIP_2) | instid1(VALU_DEP_1)
	s_or_b32 exec_lo, exec_lo, s10
	v_lshrrev_b32_e32 v10, 16, v12
	s_mov_b32 s10, exec_lo
	v_and_b32_e32 v11, 0xff, v10
	s_delay_alu instid0(VALU_DEP_1)
	v_cmpx_ne_u16_e32 0, v11
	s_cbranch_execz .LBB4_1708
; %bb.1701:                             ;   in Loop: Header=BB4_128 Depth=2
	v_bfrev_b32_e32 v2, 1
	s_mov_b32 s40, exec_lo
	v_cmpx_ne_u16_e32 0x80, v11
	s_cbranch_execz .LBB4_1707
; %bb.1702:                             ;   in Loop: Header=BB4_128 Depth=2
	v_bfe_u32 v14, v12, 16, 7
	v_mov_b32_e32 v2, 0x7f800001
	s_mov_b32 s41, exec_lo
	s_delay_alu instid0(VALU_DEP_2)
	v_cmpx_ne_u32_e32 0x7f, v14
	s_cbranch_execz .LBB4_1706
; %bb.1703:                             ;   in Loop: Header=BB4_128 Depth=2
	v_dual_mov_b32 v11, v39 :: v_dual_bitop2_b32 v10, 7, v10 bitop3:0x40
	v_lshrrev_b32_e32 v2, 3, v14
	s_mov_b32 s42, exec_lo
	v_cmpx_gt_u32_e32 8, v14
; %bb.1704:                             ;   in Loop: Header=BB4_128 Depth=2
	s_delay_alu instid0(VALU_DEP_3) | instskip(NEXT) | instid1(VALU_DEP_1)
	v_clz_i32_u32_e32 v2, v10
	v_min_u32_e32 v2, 32, v2
	s_delay_alu instid0(VALU_DEP_1) | instskip(SKIP_1) | instid1(VALU_DEP_2)
	v_subrev_nc_u32_e32 v14, 28, v2
	v_sub_nc_u32_e32 v2, 29, v2
	v_lshlrev_b64_e32 v[10:11], v14, v[10:11]
	s_delay_alu instid0(VALU_DEP_1)
	v_and_b32_e32 v10, 7, v10
; %bb.1705:                             ;   in Loop: Header=BB4_128 Depth=2
	s_or_b32 exec_lo, exec_lo, s42
	s_delay_alu instid0(VALU_DEP_1) | instskip(SKIP_1) | instid1(VALU_DEP_2)
	v_dual_lshlrev_b32 v11, 8, v12 :: v_dual_lshlrev_b32 v10, 20, v10
	v_lshl_add_u32 v2, v2, 23, 0x3c000000
	v_and_b32_e32 v11, 0x80000000, v11
	s_delay_alu instid0(VALU_DEP_1)
	v_or3_b32 v2, v10, v11, v2
.LBB4_1706:                             ;   in Loop: Header=BB4_128 Depth=2
	s_or_b32 exec_lo, exec_lo, s41
.LBB4_1707:                             ;   in Loop: Header=BB4_128 Depth=2
	s_delay_alu instid0(SALU_CYCLE_1)
	s_or_b32 exec_lo, exec_lo, s40
.LBB4_1708:                             ;   in Loop: Header=BB4_128 Depth=2
	s_delay_alu instid0(SALU_CYCLE_1) | instskip(NEXT) | instid1(VALU_DEP_1)
	s_or_b32 exec_lo, exec_lo, s10
	v_add_f32_e32 v3, v3, v2
	v_mov_b32_e32 v11, v39
                                        ; implicit-def: $vgpr57
	s_mov_b32 s10, exec_lo
	s_delay_alu instid0(VALU_DEP_2) | instskip(SKIP_1) | instid1(VALU_DEP_2)
	v_and_b32_e32 v10, 0x7f800000, v3
	v_lshrrev_b32_e32 v2, 24, v3
	v_cmpx_ne_u64_e32 0x7f800000, v[10:11]
	s_xor_b32 s40, exec_lo, s10
	s_cbranch_execz .LBB4_1722
; %bb.1709:                             ;   in Loop: Header=BB4_128 Depth=2
	v_and_b32_e32 v10, 0x7fffffff, v3
	v_mov_b32_e32 v11, v39
	v_and_b32_e32 v2, 0x80, v2
                                        ; implicit-def: $vgpr57
	s_mov_b32 s10, exec_lo
	s_delay_alu instid0(VALU_DEP_2)
	v_cmpx_gt_u64_e32 0x43e00001, v[10:11]
	s_xor_b32 s41, exec_lo, s10
	s_cbranch_execz .LBB4_1719
; %bb.1710:                             ;   in Loop: Header=BB4_128 Depth=2
	v_mov_b32_e32 v57, 0
	s_mov_b32 s42, exec_lo
	v_cmpx_ne_u32_e32 0, v3
	s_cbranch_execz .LBB4_1718
; %bb.1711:                             ;   in Loop: Header=BB4_128 Depth=2
	v_bfe_u32 v113, v3, 23, 8
	v_and_b32_e32 v3, 0x7fffff, v3
	s_mov_b32 s43, exec_lo
	s_delay_alu instid0(VALU_DEP_2) | instskip(SKIP_1) | instid1(VALU_DEP_3)
	v_dual_mov_b32 v15, v39 :: v_dual_sub_nc_u32 v10, 0x79, v113
	v_cmp_gt_u32_e32 vcc_lo, 0x7a, v113
	v_or_b32_e32 v14, 0x800000, v3
	s_delay_alu instid0(VALU_DEP_3) | instskip(SKIP_1) | instid1(VALU_DEP_2)
	v_cndmask_b32_e32 v10, 0, v10, vcc_lo
	v_cmp_eq_u32_e32 vcc_lo, 0, v113
	v_cndmask_b32_e64 v57, v10, 0x78, vcc_lo
	s_delay_alu instid0(VALU_DEP_1) | instskip(SKIP_1) | instid1(VALU_DEP_2)
	v_dual_cndmask_b32 v14, v14, v3, vcc_lo :: v_dual_add_nc_u32 v10, 20, v57
	v_add_nc_u32_e32 v20, 19, v57
	v_lshlrev_b64_e64 v[10:11], v10, -1
	s_delay_alu instid0(VALU_DEP_2) | instskip(NEXT) | instid1(VALU_DEP_2)
	v_lshlrev_b64_e64 v[20:21], v20, 1
	v_bfi_b32 v61, v11, 0, 0
	s_delay_alu instid0(VALU_DEP_3) | instskip(SKIP_1) | instid1(VALU_DEP_1)
	v_bfi_b32 v60, v10, 0, v14
	v_lshrrev_b64 v[10:11], v57, v[14:15]
	v_mov_b64_e32 v[14:15], v[10:11]
	s_delay_alu instid0(VALU_DEP_3)
	v_cmpx_eq_u64_e64 v[60:61], v[20:21]
; %bb.1712:                             ;   in Loop: Header=BB4_128 Depth=2
	v_bfe_u32 v14, v10, 20, 1
	v_mov_b32_e32 v15, v39
	s_delay_alu instid0(VALU_DEP_1) | instskip(NEXT) | instid1(VALU_DEP_1)
	v_add_nc_u64_e32 v[14:15], v[10:11], v[14:15]
	v_add_nc_u64_e32 v[14:15], -1, v[14:15]
; %bb.1713:                             ;   in Loop: Header=BB4_128 Depth=2
	s_or_b32 exec_lo, exec_lo, s43
	v_add_nc_u32_e32 v3, 0xffffff81, v113
	v_lshrrev_b32_e32 v11, 23, v10
	s_mov_b32 s10, exec_lo
	s_delay_alu instid0(VALU_DEP_2) | instskip(NEXT) | instid1(VALU_DEP_1)
	v_cndmask_b32_e64 v3, v3, 0xffffff82, vcc_lo
	v_add3_u32 v15, v57, v3, v11
	v_and_b32_e32 v3, 0xfffff, v14
	s_delay_alu instid0(VALU_DEP_2) | instskip(NEXT) | instid1(VALU_DEP_2)
	v_dual_mov_b32 v11, v39 :: v_dual_add_nc_u32 v14, 6, v15
	v_add_nc_u32_e32 v10, v3, v10
                                        ; implicit-def: $vgpr3
	s_delay_alu instid0(VALU_DEP_2)
	v_cmpx_ne_u32_e32 0, v14
	s_xor_b32 s10, exec_lo, s10
; %bb.1714:                             ;   in Loop: Header=BB4_128 Depth=2
	s_delay_alu instid0(VALU_DEP_2) | instskip(SKIP_1) | instid1(VALU_DEP_1)
	v_cmp_lt_u64_e32 vcc_lo, 0xffffff, v[10:11]
	v_add_nc_u32_e32 v3, 7, v15
	v_cndmask_b32_e32 v3, v14, v3, vcc_lo
	v_cndmask_b32_e64 v14, 0, 1, vcc_lo
	s_delay_alu instid0(VALU_DEP_1)
	v_lshrrev_b64 v[10:11], v14, v[10:11]
; %bb.1715:                             ;   in Loop: Header=BB4_128 Depth=2
	s_and_not1_saveexec_b32 s10, s10
; %bb.1716:                             ;   in Loop: Header=BB4_128 Depth=2
	s_delay_alu instid0(VALU_DEP_1)
	v_bfe_u32 v3, v10, 23, 1
; %bb.1717:                             ;   in Loop: Header=BB4_128 Depth=2
	s_or_b32 exec_lo, exec_lo, s10
	s_delay_alu instid0(VALU_DEP_2) | instskip(NEXT) | instid1(VALU_DEP_2)
	v_lshrrev_b64 v[10:11], 20, v[10:11]
	v_cmp_gt_i32_e32 vcc_lo, 16, v3
	v_min_i32_e32 v14, 15, v3
	v_cmp_eq_u32_e64 s10, 0, v3
	s_delay_alu instid0(VALU_DEP_4) | instskip(NEXT) | instid1(VALU_DEP_3)
	v_cndmask_b32_e32 v10, 7, v10, vcc_lo
	v_dual_cndmask_b32 v11, 0, v11 :: v_dual_lshlrev_b32 v14, 3, v14
	s_delay_alu instid0(VALU_DEP_1) | instskip(NEXT) | instid1(VALU_DEP_2)
	v_and_b32_e32 v14, 0xf8, v14
	v_cmp_eq_u64_e32 vcc_lo, 0, v[10:11]
	s_delay_alu instid0(VALU_DEP_2)
	v_and_or_b32 v3, v10, 7, v14
	s_and_b32 s10, s10, vcc_lo
	s_delay_alu instid0(VALU_DEP_1) | instid1(SALU_CYCLE_1)
	v_cndmask_b32_e64 v3, v3, 0, s10
	s_delay_alu instid0(VALU_DEP_1)
	v_or_b32_e32 v57, v3, v2
.LBB4_1718:                             ;   in Loop: Header=BB4_128 Depth=2
	s_or_b32 exec_lo, exec_lo, s42
                                        ; implicit-def: $vgpr2
.LBB4_1719:                             ;   in Loop: Header=BB4_128 Depth=2
	s_and_not1_saveexec_b32 s10, s41
; %bb.1720:                             ;   in Loop: Header=BB4_128 Depth=2
	v_or_b32_e32 v57, 0x7e, v2
; %bb.1721:                             ;   in Loop: Header=BB4_128 Depth=2
	s_or_b32 exec_lo, exec_lo, s10
                                        ; implicit-def: $vgpr2
.LBB4_1722:                             ;   in Loop: Header=BB4_128 Depth=2
	s_and_not1_saveexec_b32 s10, s40
; %bb.1723:                             ;   in Loop: Header=BB4_128 Depth=2
	v_or_b32_e32 v57, 0x7f, v2
; %bb.1724:                             ;   in Loop: Header=BB4_128 Depth=2
	s_or_b32 exec_lo, exec_lo, s10
	v_dual_mov_b32 v2, 0 :: v_dual_mov_b32 v3, 0
	s_mov_b32 s10, exec_lo
	v_cmpx_lt_u32_e32 0xffffff, v38
	s_cbranch_execz .LBB4_1732
; %bb.1725:                             ;   in Loop: Header=BB4_128 Depth=2
	v_lshrrev_b32_e32 v10, 24, v38
	v_bfrev_b32_e32 v3, 1
	s_mov_b32 s40, exec_lo
	s_delay_alu instid0(VALU_DEP_2)
	v_cmpx_ne_u32_e32 0x80, v10
	s_cbranch_execz .LBB4_1731
; %bb.1726:                             ;   in Loop: Header=BB4_128 Depth=2
	v_bfe_u32 v11, v38, 24, 7
	v_mov_b32_e32 v3, 0x7f800001
	s_mov_b32 s41, exec_lo
	s_delay_alu instid0(VALU_DEP_2)
	v_cmpx_ne_u32_e32 0x7f, v11
	s_cbranch_execz .LBB4_1730
; %bb.1727:                             ;   in Loop: Header=BB4_128 Depth=2
	v_dual_lshrrev_b32 v3, 3, v11 :: v_dual_bitop2_b32 v38, 7, v10 bitop3:0x40
	s_mov_b32 s42, exec_lo
	v_cmpx_gt_u32_e32 8, v11
; %bb.1728:                             ;   in Loop: Header=BB4_128 Depth=2
	s_delay_alu instid0(VALU_DEP_2) | instskip(NEXT) | instid1(VALU_DEP_1)
	v_clz_i32_u32_e32 v3, v38
	v_min_u32_e32 v3, 32, v3
	s_delay_alu instid0(VALU_DEP_1) | instskip(NEXT) | instid1(VALU_DEP_1)
	v_subrev_nc_u32_e32 v11, 28, v3
	v_lshlrev_b64_e32 v[14:15], v11, v[38:39]
	s_delay_alu instid0(VALU_DEP_1)
	v_dual_sub_nc_u32 v3, 29, v3 :: v_dual_bitop2_b32 v38, 7, v14 bitop3:0x40
; %bb.1729:                             ;   in Loop: Header=BB4_128 Depth=2
	s_or_b32 exec_lo, exec_lo, s42
	v_lshlrev_b32_e32 v10, 24, v10
	s_delay_alu instid0(VALU_DEP_2) | instskip(NEXT) | instid1(VALU_DEP_3)
	v_lshlrev_b32_e32 v11, 20, v38
	v_lshl_add_u32 v3, v3, 23, 0x3c000000
	s_delay_alu instid0(VALU_DEP_3) | instskip(NEXT) | instid1(VALU_DEP_1)
	v_and_b32_e32 v10, 0x80000000, v10
	v_or3_b32 v3, v11, v10, v3
.LBB4_1730:                             ;   in Loop: Header=BB4_128 Depth=2
	s_or_b32 exec_lo, exec_lo, s41
.LBB4_1731:                             ;   in Loop: Header=BB4_128 Depth=2
	s_delay_alu instid0(SALU_CYCLE_1)
	s_or_b32 exec_lo, exec_lo, s40
.LBB4_1732:                             ;   in Loop: Header=BB4_128 Depth=2
	s_delay_alu instid0(SALU_CYCLE_1) | instskip(NEXT) | instid1(SALU_CYCLE_1)
	s_or_b32 exec_lo, exec_lo, s10
	s_mov_b32 s10, exec_lo
	v_cmpx_lt_u32_e32 0xffffff, v12
	s_cbranch_execz .LBB4_1740
; %bb.1733:                             ;   in Loop: Header=BB4_128 Depth=2
	v_lshrrev_b32_e32 v10, 24, v12
	v_bfrev_b32_e32 v2, 1
	s_mov_b32 s40, exec_lo
	s_delay_alu instid0(VALU_DEP_2)
	v_cmpx_ne_u32_e32 0x80, v10
	s_cbranch_execz .LBB4_1739
; %bb.1734:                             ;   in Loop: Header=BB4_128 Depth=2
	v_bfe_u32 v11, v12, 24, 7
	v_mov_b32_e32 v2, 0x7f800001
	s_mov_b32 s41, exec_lo
	s_delay_alu instid0(VALU_DEP_2)
	v_cmpx_ne_u32_e32 0x7f, v11
	s_cbranch_execz .LBB4_1738
; %bb.1735:                             ;   in Loop: Header=BB4_128 Depth=2
	v_dual_lshrrev_b32 v2, 3, v11 :: v_dual_bitop2_b32 v38, 7, v10 bitop3:0x40
	s_mov_b32 s42, exec_lo
	v_cmpx_gt_u32_e32 8, v11
; %bb.1736:                             ;   in Loop: Header=BB4_128 Depth=2
	s_delay_alu instid0(VALU_DEP_2) | instskip(NEXT) | instid1(VALU_DEP_1)
	v_clz_i32_u32_e32 v2, v38
	v_min_u32_e32 v2, 32, v2
	s_delay_alu instid0(VALU_DEP_1) | instskip(SKIP_1) | instid1(VALU_DEP_2)
	v_subrev_nc_u32_e32 v11, 28, v2
	v_sub_nc_u32_e32 v2, 29, v2
	v_lshlrev_b64_e32 v[14:15], v11, v[38:39]
	s_delay_alu instid0(VALU_DEP_1)
	v_and_b32_e32 v38, 7, v14
; %bb.1737:                             ;   in Loop: Header=BB4_128 Depth=2
	s_or_b32 exec_lo, exec_lo, s42
	v_lshlrev_b32_e32 v10, 24, v10
	s_delay_alu instid0(VALU_DEP_2) | instskip(SKIP_1) | instid1(VALU_DEP_3)
	v_lshlrev_b32_e32 v11, 20, v38
	v_lshl_add_u32 v2, v2, 23, 0x3c000000
	v_and_b32_e32 v10, 0x80000000, v10
	s_delay_alu instid0(VALU_DEP_1)
	v_or3_b32 v2, v11, v10, v2
.LBB4_1738:                             ;   in Loop: Header=BB4_128 Depth=2
	s_or_b32 exec_lo, exec_lo, s41
.LBB4_1739:                             ;   in Loop: Header=BB4_128 Depth=2
	s_delay_alu instid0(SALU_CYCLE_1)
	s_or_b32 exec_lo, exec_lo, s40
.LBB4_1740:                             ;   in Loop: Header=BB4_128 Depth=2
	s_delay_alu instid0(SALU_CYCLE_1) | instskip(NEXT) | instid1(VALU_DEP_1)
	s_or_b32 exec_lo, exec_lo, s10
	v_add_f32_e32 v3, v3, v2
                                        ; implicit-def: $vgpr60
	s_mov_b32 s10, exec_lo
	s_delay_alu instid0(VALU_DEP_1) | instskip(SKIP_1) | instid1(VALU_DEP_2)
	v_and_b32_e32 v38, 0x7f800000, v3
	v_lshrrev_b32_e32 v2, 24, v3
	v_cmpx_ne_u64_e32 0x7f800000, v[38:39]
	s_xor_b32 s40, exec_lo, s10
	s_cbranch_execz .LBB4_1754
; %bb.1741:                             ;   in Loop: Header=BB4_128 Depth=2
	v_and_b32_e32 v38, 0x7fffffff, v3
	v_and_b32_e32 v2, 0x80, v2
                                        ; implicit-def: $vgpr60
	s_mov_b32 s10, exec_lo
	s_delay_alu instid0(VALU_DEP_2)
	v_cmpx_gt_u64_e32 0x43e00001, v[38:39]
	s_xor_b32 s41, exec_lo, s10
	s_cbranch_execz .LBB4_1751
; %bb.1742:                             ;   in Loop: Header=BB4_128 Depth=2
	v_mov_b32_e32 v60, 0
	s_mov_b32 s42, exec_lo
	v_cmpx_ne_u32_e32 0, v3
	s_cbranch_execz .LBB4_1750
; %bb.1743:                             ;   in Loop: Header=BB4_128 Depth=2
	v_bfe_u32 v113, v3, 23, 8
	v_and_b32_e32 v3, 0x7fffff, v3
	s_delay_alu instid0(VALU_DEP_2) | instskip(SKIP_1) | instid1(VALU_DEP_3)
	v_sub_nc_u32_e32 v10, 0x79, v113
	v_cmp_gt_u32_e32 vcc_lo, 0x7a, v113
	v_or_b32_e32 v14, 0x800000, v3
	s_delay_alu instid0(VALU_DEP_3) | instskip(SKIP_1) | instid1(VALU_DEP_2)
	v_cndmask_b32_e32 v10, 0, v10, vcc_lo
	v_cmp_eq_u32_e32 vcc_lo, 0, v113
	v_cndmask_b32_e64 v60, v10, 0x78, vcc_lo
	s_delay_alu instid0(VALU_DEP_1) | instskip(SKIP_1) | instid1(VALU_DEP_2)
	v_dual_cndmask_b32 v38, v14, v3, vcc_lo :: v_dual_add_nc_u32 v10, 20, v60
	v_add_nc_u32_e32 v15, 19, v60
	v_lshlrev_b64_e64 v[10:11], v10, -1
	s_delay_alu instid0(VALU_DEP_2) | instskip(NEXT) | instid1(VALU_DEP_2)
	v_lshlrev_b64_e64 v[14:15], v15, 1
	v_bfi_b32 v21, v11, 0, 0
	s_delay_alu instid0(VALU_DEP_3) | instskip(SKIP_1) | instid1(VALU_DEP_2)
	v_bfi_b32 v20, v10, 0, v38
	v_lshrrev_b64 v[10:11], v60, v[38:39]
	v_cmp_eq_u64_e64 s10, v[20:21], v[14:15]
	s_delay_alu instid0(VALU_DEP_2)
	v_mov_b64_e32 v[14:15], v[10:11]
	s_and_saveexec_b32 s43, s10
; %bb.1744:                             ;   in Loop: Header=BB4_128 Depth=2
	v_bfe_u32 v38, v10, 20, 1
	s_delay_alu instid0(VALU_DEP_1) | instskip(NEXT) | instid1(VALU_DEP_1)
	v_add_nc_u64_e32 v[14:15], v[10:11], v[38:39]
	v_add_nc_u64_e32 v[14:15], -1, v[14:15]
; %bb.1745:                             ;   in Loop: Header=BB4_128 Depth=2
	s_or_b32 exec_lo, exec_lo, s43
	v_add_nc_u32_e32 v3, 0xffffff81, v113
	v_lshrrev_b32_e32 v11, 23, v10
	s_mov_b32 s10, exec_lo
	s_delay_alu instid0(VALU_DEP_2) | instskip(NEXT) | instid1(VALU_DEP_1)
	v_cndmask_b32_e64 v3, v3, 0xffffff82, vcc_lo
	v_add3_u32 v15, v60, v3, v11
	v_and_b32_e32 v3, 0xfffff, v14
	s_delay_alu instid0(VALU_DEP_1) | instskip(NEXT) | instid1(VALU_DEP_1)
	v_dual_add_nc_u32 v14, 6, v15 :: v_dual_add_nc_u32 v38, v3, v10
                                        ; implicit-def: $vgpr10_vgpr11
                                        ; implicit-def: $vgpr3
	v_cmpx_ne_u32_e32 0, v14
	s_xor_b32 s10, exec_lo, s10
; %bb.1746:                             ;   in Loop: Header=BB4_128 Depth=2
	s_delay_alu instid0(VALU_DEP_2) | instskip(SKIP_2) | instid1(VALU_DEP_2)
	v_cmp_lt_u64_e32 vcc_lo, 0xffffff, v[38:39]
	v_add_nc_u32_e32 v3, 7, v15
	v_cndmask_b32_e64 v10, 0, 1, vcc_lo
	v_cndmask_b32_e32 v3, v14, v3, vcc_lo
	s_delay_alu instid0(VALU_DEP_2)
	v_lshrrev_b64 v[10:11], v10, v[38:39]
; %bb.1747:                             ;   in Loop: Header=BB4_128 Depth=2
	s_and_not1_saveexec_b32 s10, s10
; %bb.1748:                             ;   in Loop: Header=BB4_128 Depth=2
	v_mov_b64_e32 v[10:11], v[38:39]
	v_bfe_u32 v3, v38, 23, 1
; %bb.1749:                             ;   in Loop: Header=BB4_128 Depth=2
	s_or_b32 exec_lo, exec_lo, s10
	s_delay_alu instid0(VALU_DEP_2) | instskip(NEXT) | instid1(VALU_DEP_2)
	v_lshrrev_b64 v[10:11], 20, v[10:11]
	v_cmp_gt_i32_e32 vcc_lo, 16, v3
	v_min_i32_e32 v14, 15, v3
	v_cmp_eq_u32_e64 s10, 0, v3
	s_delay_alu instid0(VALU_DEP_4) | instskip(NEXT) | instid1(VALU_DEP_3)
	v_cndmask_b32_e32 v10, 7, v10, vcc_lo
	v_dual_cndmask_b32 v11, 0, v11 :: v_dual_lshlrev_b32 v14, 3, v14
	s_delay_alu instid0(VALU_DEP_1) | instskip(NEXT) | instid1(VALU_DEP_2)
	v_and_b32_e32 v14, 0xf8, v14
	v_cmp_eq_u64_e32 vcc_lo, 0, v[10:11]
	s_delay_alu instid0(VALU_DEP_2)
	v_and_or_b32 v3, v10, 7, v14
	s_and_b32 s10, s10, vcc_lo
	s_delay_alu instid0(VALU_DEP_1) | instid1(SALU_CYCLE_1)
	v_cndmask_b32_e64 v3, v3, 0, s10
	s_delay_alu instid0(VALU_DEP_1)
	v_or_b32_e32 v60, v3, v2
.LBB4_1750:                             ;   in Loop: Header=BB4_128 Depth=2
	s_or_b32 exec_lo, exec_lo, s42
                                        ; implicit-def: $vgpr2
.LBB4_1751:                             ;   in Loop: Header=BB4_128 Depth=2
	s_and_not1_saveexec_b32 s10, s41
; %bb.1752:                             ;   in Loop: Header=BB4_128 Depth=2
	v_or_b32_e32 v60, 0x7e, v2
; %bb.1753:                             ;   in Loop: Header=BB4_128 Depth=2
	s_or_b32 exec_lo, exec_lo, s10
                                        ; implicit-def: $vgpr2
.LBB4_1754:                             ;   in Loop: Header=BB4_128 Depth=2
	s_and_not1_saveexec_b32 s10, s40
; %bb.1755:                             ;   in Loop: Header=BB4_128 Depth=2
	v_or_b32_e32 v60, 0x7f, v2
; %bb.1756:                             ;   in Loop: Header=BB4_128 Depth=2
	s_or_b32 exec_lo, exec_lo, s10
	v_dual_lshlrev_b32 v3, 24, v47 :: v_dual_lshlrev_b32 v11, 16, v44
	v_lshl_or_b32 v2, v42, 8, v119
	v_mov_b32_e32 v10, 0
	s_mov_b32 s10, exec_lo
	s_delay_alu instid0(VALU_DEP_2)
	v_or3_b32 v38, v11, v3, v2
	v_mov_b32_e32 v3, 0
	v_cmpx_ne_u32_e32 0, v119
	s_cbranch_execz .LBB4_1762
; %bb.1757:                             ;   in Loop: Header=BB4_128 Depth=2
	v_bfrev_b32_e32 v3, 1
	s_mov_b32 s40, exec_lo
	v_cmpx_ne_u32_e32 0x80, v119
	s_cbranch_execz .LBB4_1761
; %bb.1758:                             ;   in Loop: Header=BB4_128 Depth=2
	v_and_b32_e32 v11, 0x7f, v119
	v_mov_b32_e32 v3, 0x7f800001
	s_mov_b32 s41, exec_lo
	s_delay_alu instid0(VALU_DEP_2)
	v_cmpx_ne_u32_e32 0x7f, v11
	s_cbranch_execz .LBB4_1760
; %bb.1759:                             ;   in Loop: Header=BB4_128 Depth=2
	v_and_b32_e32 v3, 7, v119
	v_cmp_gt_u32_e32 vcc_lo, 8, v11
	v_lshrrev_b32_e32 v14, 3, v11
	s_delay_alu instid0(VALU_DEP_3) | instskip(NEXT) | instid1(VALU_DEP_1)
	v_clz_i32_u32_e32 v3, v3
	v_min_u32_e32 v3, 32, v3
	s_delay_alu instid0(VALU_DEP_1) | instskip(SKIP_1) | instid1(VALU_DEP_2)
	v_subrev_nc_u32_e32 v15, 28, v3
	v_sub_nc_u32_e32 v3, 29, v3
	v_cndmask_b32_e32 v11, 0, v15, vcc_lo
	s_delay_alu instid0(VALU_DEP_2) | instskip(NEXT) | instid1(VALU_DEP_2)
	v_cndmask_b32_e32 v3, v14, v3, vcc_lo
	v_lshlrev_b64_e32 v[14:15], v11, v[38:39]
	v_lshlrev_b32_e32 v11, 24, v38
	s_delay_alu instid0(VALU_DEP_3) | instskip(NEXT) | instid1(VALU_DEP_2)
	v_lshl_add_u32 v3, v3, 23, 0x3c000000
	v_and_b32_e32 v11, 0x80000000, v11
	s_delay_alu instid0(VALU_DEP_4) | instskip(NEXT) | instid1(VALU_DEP_1)
	v_lshlrev_b32_e32 v14, 20, v14
	v_and_b32_e32 v14, 0x700000, v14
	s_delay_alu instid0(VALU_DEP_1)
	v_or3_b32 v3, v14, v11, v3
.LBB4_1760:                             ;   in Loop: Header=BB4_128 Depth=2
	s_or_b32 exec_lo, exec_lo, s41
.LBB4_1761:                             ;   in Loop: Header=BB4_128 Depth=2
	s_delay_alu instid0(SALU_CYCLE_1)
	s_or_b32 exec_lo, exec_lo, s40
.LBB4_1762:                             ;   in Loop: Header=BB4_128 Depth=2
	s_delay_alu instid0(SALU_CYCLE_1) | instskip(SKIP_2) | instid1(VALU_DEP_1)
	s_or_b32 exec_lo, exec_lo, s10
	v_and_b32_e32 v11, 0xff, v13
	s_mov_b32 s10, exec_lo
	v_cmpx_ne_u16_e32 0, v11
	s_cbranch_execz .LBB4_1768
; %bb.1763:                             ;   in Loop: Header=BB4_128 Depth=2
	v_bfrev_b32_e32 v10, 1
	s_mov_b32 s40, exec_lo
	v_cmpx_ne_u16_e32 0x80, v11
	s_cbranch_execz .LBB4_1767
; %bb.1764:                             ;   in Loop: Header=BB4_128 Depth=2
	v_and_b32_e32 v11, 0x7f, v13
	v_mov_b32_e32 v10, 0x7f800001
	s_mov_b32 s41, exec_lo
	s_delay_alu instid0(VALU_DEP_2)
	v_cmpx_ne_u32_e32 0x7f, v11
	s_cbranch_execz .LBB4_1766
; %bb.1765:                             ;   in Loop: Header=BB4_128 Depth=2
	v_dual_lshrrev_b32 v14, 3, v11 :: v_dual_bitop2_b32 v10, 7, v13 bitop3:0x40
	v_cmp_gt_u32_e32 vcc_lo, 8, v11
	s_delay_alu instid0(VALU_DEP_2) | instskip(NEXT) | instid1(VALU_DEP_1)
	v_clz_i32_u32_e32 v10, v10
	v_min_u32_e32 v10, 32, v10
	s_delay_alu instid0(VALU_DEP_1) | instskip(SKIP_2) | instid1(VALU_DEP_2)
	v_sub_nc_u32_e32 v15, 29, v10
	v_subrev_nc_u32_e32 v20, 28, v10
	v_dual_mov_b32 v10, v13 :: v_dual_mov_b32 v11, v39
	v_dual_cndmask_b32 v21, v14, v15 :: v_dual_cndmask_b32 v14, 0, v20
	s_delay_alu instid0(VALU_DEP_1) | instskip(SKIP_1) | instid1(VALU_DEP_1)
	v_lshlrev_b64_e32 v[14:15], v14, v[10:11]
	v_lshlrev_b32_e32 v10, 24, v10
	v_and_b32_e32 v10, 0x80000000, v10
	s_delay_alu instid0(VALU_DEP_3) | instskip(SKIP_1) | instid1(VALU_DEP_2)
	v_lshlrev_b32_e32 v11, 20, v14
	v_lshl_add_u32 v14, v21, 23, 0x3c000000
	v_and_b32_e32 v11, 0x700000, v11
	s_delay_alu instid0(VALU_DEP_1)
	v_or3_b32 v10, v11, v10, v14
.LBB4_1766:                             ;   in Loop: Header=BB4_128 Depth=2
	s_or_b32 exec_lo, exec_lo, s41
.LBB4_1767:                             ;   in Loop: Header=BB4_128 Depth=2
	s_delay_alu instid0(SALU_CYCLE_1)
	s_or_b32 exec_lo, exec_lo, s40
.LBB4_1768:                             ;   in Loop: Header=BB4_128 Depth=2
	s_delay_alu instid0(SALU_CYCLE_1) | instskip(NEXT) | instid1(VALU_DEP_1)
	s_or_b32 exec_lo, exec_lo, s10
	v_add_f32_e32 v10, v3, v10
	v_mov_b32_e32 v15, v39
                                        ; implicit-def: $vgpr119
	s_mov_b32 s10, exec_lo
	s_delay_alu instid0(VALU_DEP_2) | instskip(SKIP_1) | instid1(VALU_DEP_2)
	v_and_b32_e32 v14, 0x7f800000, v10
	v_lshrrev_b32_e32 v3, 24, v10
	v_cmpx_ne_u64_e32 0x7f800000, v[14:15]
	s_xor_b32 s40, exec_lo, s10
	s_cbranch_execz .LBB4_1782
; %bb.1769:                             ;   in Loop: Header=BB4_128 Depth=2
	v_and_b32_e32 v14, 0x7fffffff, v10
	v_mov_b32_e32 v15, v39
	v_and_b32_e32 v3, 0x80, v3
                                        ; implicit-def: $vgpr119
	s_mov_b32 s10, exec_lo
	s_delay_alu instid0(VALU_DEP_2)
	v_cmpx_gt_u64_e32 0x43e00001, v[14:15]
	s_xor_b32 s41, exec_lo, s10
	s_cbranch_execz .LBB4_1779
; %bb.1770:                             ;   in Loop: Header=BB4_128 Depth=2
	v_mov_b32_e32 v119, 0
	s_mov_b32 s42, exec_lo
	v_cmpx_ne_u32_e32 0, v10
	s_cbranch_execz .LBB4_1778
; %bb.1771:                             ;   in Loop: Header=BB4_128 Depth=2
	v_bfe_u32 v113, v10, 23, 8
	v_and_b32_e32 v14, 0x7fffff, v10
	s_mov_b32 s43, exec_lo
	s_delay_alu instid0(VALU_DEP_2) | instskip(NEXT) | instid1(VALU_DEP_2)
	v_cmp_gt_u32_e32 vcc_lo, 0x7a, v113
	v_or_b32_e32 v15, 0x800000, v14
	v_sub_nc_u32_e32 v11, 0x79, v113
	s_delay_alu instid0(VALU_DEP_1) | instskip(SKIP_1) | instid1(VALU_DEP_4)
	v_cndmask_b32_e32 v11, 0, v11, vcc_lo
	v_cmp_eq_u32_e32 vcc_lo, 0, v113
	v_cndmask_b32_e32 v14, v15, v14, vcc_lo
	v_mov_b32_e32 v15, v39
	s_delay_alu instid0(VALU_DEP_4) | instskip(NEXT) | instid1(VALU_DEP_1)
	v_cndmask_b32_e64 v119, v11, 0x78, vcc_lo
	v_dual_add_nc_u32 v10, 20, v119 :: v_dual_add_nc_u32 v20, 19, v119
	s_delay_alu instid0(VALU_DEP_1) | instskip(NEXT) | instid1(VALU_DEP_2)
	v_lshlrev_b64_e64 v[10:11], v10, -1
	v_lshlrev_b64_e64 v[20:21], v20, 1
	s_delay_alu instid0(VALU_DEP_2) | instskip(NEXT) | instid1(VALU_DEP_3)
	v_bfi_b32 v93, v11, 0, 0
	v_bfi_b32 v92, v10, 0, v14
	v_lshrrev_b64 v[10:11], v119, v[14:15]
	s_delay_alu instid0(VALU_DEP_1) | instskip(NEXT) | instid1(VALU_DEP_3)
	v_mov_b64_e32 v[14:15], v[10:11]
	v_cmpx_eq_u64_e64 v[92:93], v[20:21]
; %bb.1772:                             ;   in Loop: Header=BB4_128 Depth=2
	v_bfe_u32 v14, v10, 20, 1
	v_mov_b32_e32 v15, v39
	s_delay_alu instid0(VALU_DEP_1) | instskip(NEXT) | instid1(VALU_DEP_1)
	v_add_nc_u64_e32 v[14:15], v[10:11], v[14:15]
	v_add_nc_u64_e32 v[14:15], -1, v[14:15]
; %bb.1773:                             ;   in Loop: Header=BB4_128 Depth=2
	s_or_b32 exec_lo, exec_lo, s43
	v_add_nc_u32_e32 v11, 0xffffff81, v113
	v_lshrrev_b32_e32 v15, 23, v10
	s_mov_b32 s10, exec_lo
	s_delay_alu instid0(VALU_DEP_2) | instskip(NEXT) | instid1(VALU_DEP_1)
	v_cndmask_b32_e64 v11, v11, 0xffffff82, vcc_lo
	v_add3_u32 v15, v119, v11, v15
	v_and_b32_e32 v11, 0xfffff, v14
                                        ; implicit-def: $vgpr14
	s_delay_alu instid0(VALU_DEP_1) | instskip(SKIP_1) | instid1(VALU_DEP_2)
	v_dual_add_nc_u32 v113, 6, v15 :: v_dual_add_nc_u32 v10, v11, v10
	v_mov_b32_e32 v11, v39
	v_cmpx_ne_u32_e32 0, v113
	s_xor_b32 s10, exec_lo, s10
; %bb.1774:                             ;   in Loop: Header=BB4_128 Depth=2
	s_delay_alu instid0(VALU_DEP_2) | instskip(SKIP_2) | instid1(VALU_DEP_2)
	v_cmp_lt_u64_e32 vcc_lo, 0xffffff, v[10:11]
	v_add_nc_u32_e32 v14, 7, v15
	v_cndmask_b32_e64 v15, 0, 1, vcc_lo
	v_cndmask_b32_e32 v14, v113, v14, vcc_lo
	s_delay_alu instid0(VALU_DEP_2)
	v_lshrrev_b64 v[10:11], v15, v[10:11]
; %bb.1775:                             ;   in Loop: Header=BB4_128 Depth=2
	s_and_not1_saveexec_b32 s10, s10
; %bb.1776:                             ;   in Loop: Header=BB4_128 Depth=2
	s_delay_alu instid0(VALU_DEP_1)
	v_bfe_u32 v14, v10, 23, 1
; %bb.1777:                             ;   in Loop: Header=BB4_128 Depth=2
	s_or_b32 exec_lo, exec_lo, s10
	s_delay_alu instid0(VALU_DEP_2) | instskip(NEXT) | instid1(VALU_DEP_2)
	v_lshrrev_b64 v[10:11], 20, v[10:11]
	v_cmp_gt_i32_e32 vcc_lo, 16, v14
	v_min_i32_e32 v15, 15, v14
	v_cmp_eq_u32_e64 s10, 0, v14
	s_delay_alu instid0(VALU_DEP_4) | instskip(NEXT) | instid1(VALU_DEP_3)
	v_cndmask_b32_e32 v11, 0, v11, vcc_lo
	v_dual_cndmask_b32 v10, 7, v10 :: v_dual_lshlrev_b32 v15, 3, v15
	s_delay_alu instid0(VALU_DEP_1) | instskip(NEXT) | instid1(VALU_DEP_2)
	v_and_b32_e32 v15, 0xf8, v15
	v_cmp_eq_u64_e32 vcc_lo, 0, v[10:11]
	s_delay_alu instid0(VALU_DEP_2)
	v_and_or_b32 v10, v10, 7, v15
	s_and_b32 s10, s10, vcc_lo
	s_delay_alu instid0(VALU_DEP_1) | instid1(SALU_CYCLE_1)
	v_cndmask_b32_e64 v10, v10, 0, s10
	s_delay_alu instid0(VALU_DEP_1)
	v_or_b32_e32 v119, v10, v3
.LBB4_1778:                             ;   in Loop: Header=BB4_128 Depth=2
	s_or_b32 exec_lo, exec_lo, s42
                                        ; implicit-def: $vgpr3
.LBB4_1779:                             ;   in Loop: Header=BB4_128 Depth=2
	s_and_not1_saveexec_b32 s10, s41
; %bb.1780:                             ;   in Loop: Header=BB4_128 Depth=2
	v_or_b32_e32 v119, 0x7e, v3
; %bb.1781:                             ;   in Loop: Header=BB4_128 Depth=2
	s_or_b32 exec_lo, exec_lo, s10
                                        ; implicit-def: $vgpr3
.LBB4_1782:                             ;   in Loop: Header=BB4_128 Depth=2
	s_and_not1_saveexec_b32 s10, s40
; %bb.1783:                             ;   in Loop: Header=BB4_128 Depth=2
	v_or_b32_e32 v119, 0x7f, v3
; %bb.1784:                             ;   in Loop: Header=BB4_128 Depth=2
	s_or_b32 exec_lo, exec_lo, s10
	v_lshrrev_b16 v10, 8, v2
	v_dual_mov_b32 v3, 0 :: v_dual_mov_b32 v14, 0
	s_mov_b32 s10, exec_lo
	s_delay_alu instid0(VALU_DEP_2)
	v_cmpx_ne_u16_e32 0, v10
	s_cbranch_execz .LBB4_1792
; %bb.1785:                             ;   in Loop: Header=BB4_128 Depth=2
	v_bfrev_b32_e32 v14, 1
	s_mov_b32 s40, exec_lo
	v_cmpx_ne_u16_e32 0x80, v10
	s_cbranch_execz .LBB4_1791
; %bb.1786:                             ;   in Loop: Header=BB4_128 Depth=2
	v_and_b32_e32 v10, 0xffff, v10
	v_mov_b32_e32 v14, 0x7f800001
	s_mov_b32 s41, exec_lo
	s_delay_alu instid0(VALU_DEP_2) | instskip(NEXT) | instid1(VALU_DEP_1)
	v_and_b32_e32 v15, 0x7f, v10
	v_cmpx_ne_u32_e32 0x7f, v15
	s_cbranch_execz .LBB4_1790
; %bb.1787:                             ;   in Loop: Header=BB4_128 Depth=2
	v_dual_mov_b32 v11, v39 :: v_dual_bitop2_b32 v10, 7, v10 bitop3:0x40
	v_lshrrev_b32_e32 v14, 3, v15
	s_mov_b32 s42, exec_lo
	v_cmpx_gt_u32_e32 8, v15
; %bb.1788:                             ;   in Loop: Header=BB4_128 Depth=2
	s_delay_alu instid0(VALU_DEP_3) | instskip(NEXT) | instid1(VALU_DEP_1)
	v_clz_i32_u32_e32 v14, v10
	v_min_u32_e32 v14, 32, v14
	s_delay_alu instid0(VALU_DEP_1) | instskip(SKIP_1) | instid1(VALU_DEP_2)
	v_subrev_nc_u32_e32 v15, 28, v14
	v_sub_nc_u32_e32 v14, 29, v14
	v_lshlrev_b64_e32 v[10:11], v15, v[10:11]
	s_delay_alu instid0(VALU_DEP_1)
	v_and_b32_e32 v10, 7, v10
; %bb.1789:                             ;   in Loop: Header=BB4_128 Depth=2
	s_or_b32 exec_lo, exec_lo, s42
	v_lshlrev_b32_e32 v2, 16, v2
	s_delay_alu instid0(VALU_DEP_2) | instskip(SKIP_1) | instid1(VALU_DEP_3)
	v_lshlrev_b32_e32 v10, 20, v10
	v_lshl_add_u32 v11, v14, 23, 0x3c000000
	v_and_b32_e32 v2, 0x80000000, v2
	s_delay_alu instid0(VALU_DEP_1)
	v_or3_b32 v14, v10, v2, v11
.LBB4_1790:                             ;   in Loop: Header=BB4_128 Depth=2
	s_or_b32 exec_lo, exec_lo, s41
.LBB4_1791:                             ;   in Loop: Header=BB4_128 Depth=2
	s_delay_alu instid0(SALU_CYCLE_1)
	s_or_b32 exec_lo, exec_lo, s40
.LBB4_1792:                             ;   in Loop: Header=BB4_128 Depth=2
	s_delay_alu instid0(SALU_CYCLE_1) | instskip(SKIP_2) | instid1(VALU_DEP_1)
	s_or_b32 exec_lo, exec_lo, s10
	v_lshrrev_b16 v2, 8, v13
	s_mov_b32 s10, exec_lo
	v_cmpx_ne_u16_e32 0, v2
	s_cbranch_execz .LBB4_1800
; %bb.1793:                             ;   in Loop: Header=BB4_128 Depth=2
	v_bfrev_b32_e32 v3, 1
	s_mov_b32 s40, exec_lo
	v_cmpx_ne_u16_e32 0x80, v2
	s_cbranch_execz .LBB4_1799
; %bb.1794:                             ;   in Loop: Header=BB4_128 Depth=2
	v_and_b32_e32 v2, 0xffff, v2
	v_mov_b32_e32 v3, 0x7f800001
	s_mov_b32 s41, exec_lo
	s_delay_alu instid0(VALU_DEP_2) | instskip(NEXT) | instid1(VALU_DEP_1)
	v_and_b32_e32 v15, 0x7f, v2
	v_cmpx_ne_u32_e32 0x7f, v15
	s_cbranch_execz .LBB4_1798
; %bb.1795:                             ;   in Loop: Header=BB4_128 Depth=2
	v_dual_mov_b32 v11, v39 :: v_dual_bitop2_b32 v10, 7, v2 bitop3:0x40
	v_lshrrev_b32_e32 v2, 3, v15
	s_mov_b32 s42, exec_lo
	v_cmpx_gt_u32_e32 8, v15
; %bb.1796:                             ;   in Loop: Header=BB4_128 Depth=2
	s_delay_alu instid0(VALU_DEP_3) | instskip(NEXT) | instid1(VALU_DEP_1)
	v_clz_i32_u32_e32 v2, v10
	v_min_u32_e32 v2, 32, v2
	s_delay_alu instid0(VALU_DEP_1) | instskip(SKIP_1) | instid1(VALU_DEP_2)
	v_subrev_nc_u32_e32 v3, 28, v2
	v_sub_nc_u32_e32 v2, 29, v2
	v_lshlrev_b64_e32 v[10:11], v3, v[10:11]
	s_delay_alu instid0(VALU_DEP_1)
	v_and_b32_e32 v10, 7, v10
; %bb.1797:                             ;   in Loop: Header=BB4_128 Depth=2
	s_or_b32 exec_lo, exec_lo, s42
	s_delay_alu instid0(VALU_DEP_1) | instskip(SKIP_1) | instid1(VALU_DEP_2)
	v_dual_lshlrev_b32 v3, 16, v13 :: v_dual_lshlrev_b32 v10, 20, v10
	v_lshl_add_u32 v2, v2, 23, 0x3c000000
	v_and_b32_e32 v3, 0x80000000, v3
	s_delay_alu instid0(VALU_DEP_1)
	v_or3_b32 v3, v10, v3, v2
.LBB4_1798:                             ;   in Loop: Header=BB4_128 Depth=2
	s_or_b32 exec_lo, exec_lo, s41
.LBB4_1799:                             ;   in Loop: Header=BB4_128 Depth=2
	s_delay_alu instid0(SALU_CYCLE_1)
	s_or_b32 exec_lo, exec_lo, s40
.LBB4_1800:                             ;   in Loop: Header=BB4_128 Depth=2
	s_delay_alu instid0(SALU_CYCLE_1) | instskip(NEXT) | instid1(VALU_DEP_1)
	s_or_b32 exec_lo, exec_lo, s10
	v_dual_add_f32 v10, v14, v3 :: v_dual_mov_b32 v3, v39
	s_delay_alu instid0(VALU_DEP_1) | instskip(NEXT) | instid1(VALU_DEP_1)
	v_and_b32_e32 v2, 0x7f800000, v10
	v_cmp_ne_u64_e32 vcc_lo, 0x7f800000, v[2:3]
	v_lshrrev_b32_e32 v3, 24, v10
                                        ; implicit-def: $vgpr2
	s_and_saveexec_b32 s10, vcc_lo
	s_delay_alu instid0(SALU_CYCLE_1)
	s_xor_b32 s40, exec_lo, s10
	s_cbranch_execz .LBB4_1814
; %bb.1801:                             ;   in Loop: Header=BB4_128 Depth=2
	v_and_b32_e32 v14, 0x7fffffff, v10
	v_mov_b32_e32 v15, v39
	v_and_b32_e32 v3, 0x80, v3
                                        ; implicit-def: $vgpr2
	s_mov_b32 s10, exec_lo
	s_delay_alu instid0(VALU_DEP_2)
	v_cmpx_gt_u64_e32 0x43e00001, v[14:15]
	s_xor_b32 s41, exec_lo, s10
	s_cbranch_execz .LBB4_1811
; %bb.1802:                             ;   in Loop: Header=BB4_128 Depth=2
	v_mov_b32_e32 v2, 0
	s_mov_b32 s42, exec_lo
	v_cmpx_ne_u32_e32 0, v10
	s_cbranch_execz .LBB4_1810
; %bb.1803:                             ;   in Loop: Header=BB4_128 Depth=2
	v_bfe_u32 v2, v10, 23, 8
	v_and_b32_e32 v14, 0x7fffff, v10
	s_mov_b32 s43, exec_lo
	s_delay_alu instid0(VALU_DEP_2) | instskip(SKIP_1) | instid1(VALU_DEP_3)
	v_sub_nc_u32_e32 v11, 0x79, v2
	v_cmp_gt_u32_e32 vcc_lo, 0x7a, v2
	v_or_b32_e32 v15, 0x800000, v14
	s_delay_alu instid0(VALU_DEP_3) | instskip(SKIP_1) | instid1(VALU_DEP_2)
	v_cndmask_b32_e32 v11, 0, v11, vcc_lo
	v_cmp_eq_u32_e32 vcc_lo, 0, v2
	v_cndmask_b32_e64 v113, v11, 0x78, vcc_lo
	s_delay_alu instid0(VALU_DEP_4) | instskip(NEXT) | instid1(VALU_DEP_2)
	v_cndmask_b32_e32 v14, v15, v14, vcc_lo
	v_dual_mov_b32 v15, v39 :: v_dual_add_nc_u32 v10, 20, v113
	v_add_nc_u32_e32 v20, 19, v113
	s_delay_alu instid0(VALU_DEP_2) | instskip(NEXT) | instid1(VALU_DEP_2)
	v_lshlrev_b64_e64 v[10:11], v10, -1
	v_lshlrev_b64_e64 v[20:21], v20, 1
	s_delay_alu instid0(VALU_DEP_2) | instskip(NEXT) | instid1(VALU_DEP_3)
	v_bfi_b32 v93, v11, 0, 0
	v_bfi_b32 v92, v10, 0, v14
	v_lshrrev_b64 v[10:11], v113, v[14:15]
	s_delay_alu instid0(VALU_DEP_1) | instskip(NEXT) | instid1(VALU_DEP_3)
	v_mov_b64_e32 v[14:15], v[10:11]
	v_cmpx_eq_u64_e64 v[92:93], v[20:21]
; %bb.1804:                             ;   in Loop: Header=BB4_128 Depth=2
	v_bfe_u32 v14, v10, 20, 1
	v_mov_b32_e32 v15, v39
	s_delay_alu instid0(VALU_DEP_1) | instskip(NEXT) | instid1(VALU_DEP_1)
	v_add_nc_u64_e32 v[14:15], v[10:11], v[14:15]
	v_add_nc_u64_e32 v[14:15], -1, v[14:15]
; %bb.1805:                             ;   in Loop: Header=BB4_128 Depth=2
	s_or_b32 exec_lo, exec_lo, s43
	v_add_nc_u32_e32 v2, 0xffffff81, v2
	v_lshrrev_b32_e32 v11, 23, v10
	s_mov_b32 s10, exec_lo
	s_delay_alu instid0(VALU_DEP_2) | instskip(NEXT) | instid1(VALU_DEP_1)
	v_cndmask_b32_e64 v2, v2, 0xffffff82, vcc_lo
	v_add3_u32 v15, v113, v2, v11
	v_and_b32_e32 v2, 0xfffff, v14
	s_delay_alu instid0(VALU_DEP_2) | instskip(NEXT) | instid1(VALU_DEP_2)
	v_dual_mov_b32 v11, v39 :: v_dual_add_nc_u32 v14, 6, v15
	v_add_nc_u32_e32 v10, v2, v10
                                        ; implicit-def: $vgpr2
	s_delay_alu instid0(VALU_DEP_2)
	v_cmpx_ne_u32_e32 0, v14
	s_xor_b32 s10, exec_lo, s10
; %bb.1806:                             ;   in Loop: Header=BB4_128 Depth=2
	s_delay_alu instid0(VALU_DEP_2) | instskip(SKIP_1) | instid1(VALU_DEP_1)
	v_cmp_lt_u64_e32 vcc_lo, 0xffffff, v[10:11]
	v_add_nc_u32_e32 v2, 7, v15
	v_cndmask_b32_e32 v2, v14, v2, vcc_lo
	v_cndmask_b32_e64 v14, 0, 1, vcc_lo
	s_delay_alu instid0(VALU_DEP_1)
	v_lshrrev_b64 v[10:11], v14, v[10:11]
; %bb.1807:                             ;   in Loop: Header=BB4_128 Depth=2
	s_and_not1_saveexec_b32 s10, s10
; %bb.1808:                             ;   in Loop: Header=BB4_128 Depth=2
	s_delay_alu instid0(VALU_DEP_1)
	v_bfe_u32 v2, v10, 23, 1
; %bb.1809:                             ;   in Loop: Header=BB4_128 Depth=2
	s_or_b32 exec_lo, exec_lo, s10
	s_delay_alu instid0(VALU_DEP_2) | instskip(NEXT) | instid1(VALU_DEP_2)
	v_lshrrev_b64 v[10:11], 20, v[10:11]
	v_cmp_gt_i32_e32 vcc_lo, 16, v2
	v_min_i32_e32 v14, 15, v2
	v_cmp_eq_u32_e64 s10, 0, v2
	s_delay_alu instid0(VALU_DEP_2) | instskip(SKIP_1) | instid1(VALU_DEP_2)
	v_dual_cndmask_b32 v11, 0, v11 :: v_dual_lshlrev_b32 v14, 3, v14
	v_cndmask_b32_e32 v10, 7, v10, vcc_lo
	v_and_b32_e32 v14, 0xf8, v14
	s_delay_alu instid0(VALU_DEP_2) | instskip(NEXT) | instid1(VALU_DEP_2)
	v_cmp_eq_u64_e32 vcc_lo, 0, v[10:11]
	v_and_or_b32 v2, v10, 7, v14
	s_and_b32 s10, s10, vcc_lo
	s_delay_alu instid0(VALU_DEP_1) | instid1(SALU_CYCLE_1)
	v_cndmask_b32_e64 v2, v2, 0, s10
	s_delay_alu instid0(VALU_DEP_1)
	v_or_b32_e32 v2, v2, v3
.LBB4_1810:                             ;   in Loop: Header=BB4_128 Depth=2
	s_or_b32 exec_lo, exec_lo, s42
                                        ; implicit-def: $vgpr3
.LBB4_1811:                             ;   in Loop: Header=BB4_128 Depth=2
	s_and_not1_saveexec_b32 s10, s41
; %bb.1812:                             ;   in Loop: Header=BB4_128 Depth=2
	v_or_b32_e32 v2, 0x7e, v3
; %bb.1813:                             ;   in Loop: Header=BB4_128 Depth=2
	s_or_b32 exec_lo, exec_lo, s10
                                        ; implicit-def: $vgpr3
.LBB4_1814:                             ;   in Loop: Header=BB4_128 Depth=2
	s_and_not1_saveexec_b32 s10, s40
; %bb.1815:                             ;   in Loop: Header=BB4_128 Depth=2
	v_or_b32_e32 v2, 0x7f, v3
; %bb.1816:                             ;   in Loop: Header=BB4_128 Depth=2
	s_or_b32 exec_lo, exec_lo, s10
	v_dual_lshrrev_b32 v15, 16, v38 :: v_dual_mov_b32 v3, 0
	v_mov_b32_e32 v14, 0
	s_mov_b32 s10, exec_lo
	s_delay_alu instid0(VALU_DEP_2) | instskip(NEXT) | instid1(VALU_DEP_1)
	v_and_b32_e32 v10, 0xff, v15
	v_cmpx_ne_u16_e32 0, v10
	s_cbranch_execz .LBB4_1824
; %bb.1817:                             ;   in Loop: Header=BB4_128 Depth=2
	v_bfrev_b32_e32 v14, 1
	s_mov_b32 s40, exec_lo
	v_cmpx_ne_u16_e32 0x80, v10
	s_cbranch_execz .LBB4_1823
; %bb.1818:                             ;   in Loop: Header=BB4_128 Depth=2
	v_bfe_u32 v113, v38, 16, 7
	v_mov_b32_e32 v14, 0x7f800001
	s_mov_b32 s41, exec_lo
	s_delay_alu instid0(VALU_DEP_2)
	v_cmpx_ne_u32_e32 0x7f, v113
	s_cbranch_execz .LBB4_1822
; %bb.1819:                             ;   in Loop: Header=BB4_128 Depth=2
	v_dual_mov_b32 v11, v39 :: v_dual_bitop2_b32 v10, 7, v15 bitop3:0x40
	v_lshrrev_b32_e32 v14, 3, v113
	s_mov_b32 s42, exec_lo
	v_cmpx_gt_u32_e32 8, v113
; %bb.1820:                             ;   in Loop: Header=BB4_128 Depth=2
	s_delay_alu instid0(VALU_DEP_3) | instskip(NEXT) | instid1(VALU_DEP_1)
	v_clz_i32_u32_e32 v14, v10
	v_min_u32_e32 v14, 32, v14
	s_delay_alu instid0(VALU_DEP_1) | instskip(SKIP_1) | instid1(VALU_DEP_2)
	v_subrev_nc_u32_e32 v20, 28, v14
	v_sub_nc_u32_e32 v14, 29, v14
	v_lshlrev_b64_e32 v[10:11], v20, v[10:11]
	s_delay_alu instid0(VALU_DEP_1)
	v_and_b32_e32 v10, 7, v10
; %bb.1821:                             ;   in Loop: Header=BB4_128 Depth=2
	s_or_b32 exec_lo, exec_lo, s42
	s_delay_alu instid0(VALU_DEP_1) | instskip(SKIP_1) | instid1(VALU_DEP_2)
	v_dual_lshlrev_b32 v11, 24, v15 :: v_dual_lshlrev_b32 v10, 20, v10
	v_lshl_add_u32 v14, v14, 23, 0x3c000000
	v_and_b32_e32 v11, 0x80000000, v11
	s_delay_alu instid0(VALU_DEP_1)
	v_or3_b32 v14, v10, v11, v14
.LBB4_1822:                             ;   in Loop: Header=BB4_128 Depth=2
	s_or_b32 exec_lo, exec_lo, s41
.LBB4_1823:                             ;   in Loop: Header=BB4_128 Depth=2
	s_delay_alu instid0(SALU_CYCLE_1)
	s_or_b32 exec_lo, exec_lo, s40
.LBB4_1824:                             ;   in Loop: Header=BB4_128 Depth=2
	s_delay_alu instid0(SALU_CYCLE_1) | instskip(SKIP_2) | instid1(VALU_DEP_1)
	s_or_b32 exec_lo, exec_lo, s10
	v_lshrrev_b32_e32 v10, 16, v13
	s_mov_b32 s10, exec_lo
	v_and_b32_e32 v11, 0xff, v10
	s_delay_alu instid0(VALU_DEP_1)
	v_cmpx_ne_u16_e32 0, v11
	s_cbranch_execz .LBB4_1832
; %bb.1825:                             ;   in Loop: Header=BB4_128 Depth=2
	v_bfrev_b32_e32 v3, 1
	s_mov_b32 s40, exec_lo
	v_cmpx_ne_u16_e32 0x80, v11
	s_cbranch_execz .LBB4_1831
; %bb.1826:                             ;   in Loop: Header=BB4_128 Depth=2
	v_bfe_u32 v15, v13, 16, 7
	v_mov_b32_e32 v3, 0x7f800001
	s_mov_b32 s41, exec_lo
	s_delay_alu instid0(VALU_DEP_2)
	v_cmpx_ne_u32_e32 0x7f, v15
	s_cbranch_execz .LBB4_1830
; %bb.1827:                             ;   in Loop: Header=BB4_128 Depth=2
	v_dual_mov_b32 v11, v39 :: v_dual_bitop2_b32 v10, 7, v10 bitop3:0x40
	v_lshrrev_b32_e32 v3, 3, v15
	s_mov_b32 s42, exec_lo
	v_cmpx_gt_u32_e32 8, v15
; %bb.1828:                             ;   in Loop: Header=BB4_128 Depth=2
	s_delay_alu instid0(VALU_DEP_3) | instskip(NEXT) | instid1(VALU_DEP_1)
	v_clz_i32_u32_e32 v3, v10
	v_min_u32_e32 v3, 32, v3
	s_delay_alu instid0(VALU_DEP_1) | instskip(NEXT) | instid1(VALU_DEP_1)
	v_subrev_nc_u32_e32 v15, 28, v3
	v_lshlrev_b64_e32 v[10:11], v15, v[10:11]
	s_delay_alu instid0(VALU_DEP_1)
	v_dual_sub_nc_u32 v3, 29, v3 :: v_dual_bitop2_b32 v10, 7, v10 bitop3:0x40
; %bb.1829:                             ;   in Loop: Header=BB4_128 Depth=2
	s_or_b32 exec_lo, exec_lo, s42
	s_delay_alu instid0(VALU_DEP_1) | instskip(NEXT) | instid1(VALU_DEP_2)
	v_dual_lshlrev_b32 v11, 8, v13 :: v_dual_lshlrev_b32 v10, 20, v10
	v_lshl_add_u32 v3, v3, 23, 0x3c000000
	s_delay_alu instid0(VALU_DEP_2) | instskip(NEXT) | instid1(VALU_DEP_1)
	v_and_b32_e32 v11, 0x80000000, v11
	v_or3_b32 v3, v10, v11, v3
.LBB4_1830:                             ;   in Loop: Header=BB4_128 Depth=2
	s_or_b32 exec_lo, exec_lo, s41
.LBB4_1831:                             ;   in Loop: Header=BB4_128 Depth=2
	s_delay_alu instid0(SALU_CYCLE_1)
	s_or_b32 exec_lo, exec_lo, s40
.LBB4_1832:                             ;   in Loop: Header=BB4_128 Depth=2
	s_delay_alu instid0(SALU_CYCLE_1) | instskip(NEXT) | instid1(VALU_DEP_1)
	s_or_b32 exec_lo, exec_lo, s10
	v_dual_add_f32 v10, v14, v3 :: v_dual_mov_b32 v15, v39
                                        ; implicit-def: $vgpr3
	s_mov_b32 s10, exec_lo
	s_delay_alu instid0(VALU_DEP_1) | instskip(SKIP_1) | instid1(VALU_DEP_2)
	v_and_b32_e32 v14, 0x7f800000, v10
	v_lshrrev_b32_e32 v11, 24, v10
	v_cmpx_ne_u64_e32 0x7f800000, v[14:15]
	s_xor_b32 s40, exec_lo, s10
	s_cbranch_execz .LBB4_1846
; %bb.1833:                             ;   in Loop: Header=BB4_128 Depth=2
	v_and_b32_e32 v14, 0x7fffffff, v10
	v_mov_b32_e32 v15, v39
	v_and_b32_e32 v113, 0x80, v11
                                        ; implicit-def: $vgpr3
	s_mov_b32 s10, exec_lo
	s_delay_alu instid0(VALU_DEP_2)
	v_cmpx_gt_u64_e32 0x43e00001, v[14:15]
	s_xor_b32 s41, exec_lo, s10
	s_cbranch_execz .LBB4_1843
; %bb.1834:                             ;   in Loop: Header=BB4_128 Depth=2
	v_mov_b32_e32 v3, 0
	s_mov_b32 s42, exec_lo
	v_cmpx_ne_u32_e32 0, v10
	s_cbranch_execz .LBB4_1842
; %bb.1835:                             ;   in Loop: Header=BB4_128 Depth=2
	v_bfe_u32 v3, v10, 23, 8
	v_and_b32_e32 v14, 0x7fffff, v10
	s_mov_b32 s43, exec_lo
	s_delay_alu instid0(VALU_DEP_2) | instskip(NEXT) | instid1(VALU_DEP_2)
	v_cmp_gt_u32_e32 vcc_lo, 0x7a, v3
	v_or_b32_e32 v15, 0x800000, v14
	v_sub_nc_u32_e32 v11, 0x79, v3
	s_delay_alu instid0(VALU_DEP_1) | instskip(SKIP_1) | instid1(VALU_DEP_2)
	v_cndmask_b32_e32 v11, 0, v11, vcc_lo
	v_cmp_eq_u32_e32 vcc_lo, 0, v3
	v_cndmask_b32_e64 v42, v11, 0x78, vcc_lo
	v_cndmask_b32_e32 v14, v15, v14, vcc_lo
	s_delay_alu instid0(VALU_DEP_2) | instskip(SKIP_1) | instid1(VALU_DEP_2)
	v_dual_mov_b32 v15, v39 :: v_dual_add_nc_u32 v20, 19, v42
	v_add_nc_u32_e32 v10, 20, v42
	v_lshlrev_b64_e64 v[20:21], v20, 1
	s_delay_alu instid0(VALU_DEP_2) | instskip(NEXT) | instid1(VALU_DEP_1)
	v_lshlrev_b64_e64 v[10:11], v10, -1
	v_bfi_b32 v93, v11, 0, 0
	s_delay_alu instid0(VALU_DEP_2) | instskip(SKIP_1) | instid1(VALU_DEP_1)
	v_bfi_b32 v92, v10, 0, v14
	v_lshrrev_b64 v[10:11], v42, v[14:15]
	v_mov_b64_e32 v[14:15], v[10:11]
	s_delay_alu instid0(VALU_DEP_3)
	v_cmpx_eq_u64_e64 v[92:93], v[20:21]
; %bb.1836:                             ;   in Loop: Header=BB4_128 Depth=2
	v_bfe_u32 v14, v10, 20, 1
	v_mov_b32_e32 v15, v39
	s_delay_alu instid0(VALU_DEP_1) | instskip(NEXT) | instid1(VALU_DEP_1)
	v_add_nc_u64_e32 v[14:15], v[10:11], v[14:15]
	v_add_nc_u64_e32 v[14:15], -1, v[14:15]
; %bb.1837:                             ;   in Loop: Header=BB4_128 Depth=2
	s_or_b32 exec_lo, exec_lo, s43
	v_add_nc_u32_e32 v3, 0xffffff81, v3
	v_lshrrev_b32_e32 v11, 23, v10
	s_mov_b32 s10, exec_lo
	s_delay_alu instid0(VALU_DEP_2) | instskip(NEXT) | instid1(VALU_DEP_1)
	v_cndmask_b32_e64 v3, v3, 0xffffff82, vcc_lo
	v_add3_u32 v15, v42, v3, v11
	v_and_b32_e32 v3, 0xfffff, v14
	s_delay_alu instid0(VALU_DEP_2) | instskip(NEXT) | instid1(VALU_DEP_2)
	v_dual_mov_b32 v11, v39 :: v_dual_add_nc_u32 v14, 6, v15
	v_add_nc_u32_e32 v10, v3, v10
                                        ; implicit-def: $vgpr3
	s_delay_alu instid0(VALU_DEP_2)
	v_cmpx_ne_u32_e32 0, v14
	s_xor_b32 s10, exec_lo, s10
; %bb.1838:                             ;   in Loop: Header=BB4_128 Depth=2
	s_delay_alu instid0(VALU_DEP_2) | instskip(SKIP_1) | instid1(VALU_DEP_1)
	v_cmp_lt_u64_e32 vcc_lo, 0xffffff, v[10:11]
	v_add_nc_u32_e32 v3, 7, v15
	v_cndmask_b32_e32 v3, v14, v3, vcc_lo
	v_cndmask_b32_e64 v14, 0, 1, vcc_lo
	s_delay_alu instid0(VALU_DEP_1)
	v_lshrrev_b64 v[10:11], v14, v[10:11]
; %bb.1839:                             ;   in Loop: Header=BB4_128 Depth=2
	s_and_not1_saveexec_b32 s10, s10
; %bb.1840:                             ;   in Loop: Header=BB4_128 Depth=2
	s_delay_alu instid0(VALU_DEP_1)
	v_bfe_u32 v3, v10, 23, 1
; %bb.1841:                             ;   in Loop: Header=BB4_128 Depth=2
	s_or_b32 exec_lo, exec_lo, s10
	s_delay_alu instid0(VALU_DEP_2) | instskip(NEXT) | instid1(VALU_DEP_2)
	v_lshrrev_b64 v[10:11], 20, v[10:11]
	v_cmp_gt_i32_e32 vcc_lo, 16, v3
	v_min_i32_e32 v14, 15, v3
	v_cmp_eq_u32_e64 s10, 0, v3
	s_delay_alu instid0(VALU_DEP_4) | instskip(NEXT) | instid1(VALU_DEP_3)
	v_cndmask_b32_e32 v10, 7, v10, vcc_lo
	v_dual_cndmask_b32 v11, 0, v11 :: v_dual_lshlrev_b32 v14, 3, v14
	s_delay_alu instid0(VALU_DEP_1) | instskip(NEXT) | instid1(VALU_DEP_2)
	v_and_b32_e32 v14, 0xf8, v14
	v_cmp_eq_u64_e32 vcc_lo, 0, v[10:11]
	s_delay_alu instid0(VALU_DEP_2)
	v_and_or_b32 v3, v10, 7, v14
	s_and_b32 s10, s10, vcc_lo
	s_delay_alu instid0(VALU_DEP_1) | instid1(SALU_CYCLE_1)
	v_cndmask_b32_e64 v3, v3, 0, s10
	s_delay_alu instid0(VALU_DEP_1)
	v_or_b32_e32 v3, v3, v113
.LBB4_1842:                             ;   in Loop: Header=BB4_128 Depth=2
	s_or_b32 exec_lo, exec_lo, s42
                                        ; implicit-def: $vgpr113
.LBB4_1843:                             ;   in Loop: Header=BB4_128 Depth=2
	s_and_not1_saveexec_b32 s10, s41
; %bb.1844:                             ;   in Loop: Header=BB4_128 Depth=2
	v_or_b32_e32 v3, 0x7e, v113
; %bb.1845:                             ;   in Loop: Header=BB4_128 Depth=2
	s_or_b32 exec_lo, exec_lo, s10
                                        ; implicit-def: $vgpr11
.LBB4_1846:                             ;   in Loop: Header=BB4_128 Depth=2
	s_and_not1_saveexec_b32 s10, s40
; %bb.1847:                             ;   in Loop: Header=BB4_128 Depth=2
	v_or_b32_e32 v3, 0x7f, v11
; %bb.1848:                             ;   in Loop: Header=BB4_128 Depth=2
	s_or_b32 exec_lo, exec_lo, s10
	v_dual_mov_b32 v10, 0 :: v_dual_mov_b32 v11, 0
	s_mov_b32 s10, exec_lo
	v_cmpx_lt_u32_e32 0xffffff, v38
	s_cbranch_execz .LBB4_1856
; %bb.1849:                             ;   in Loop: Header=BB4_128 Depth=2
	v_lshrrev_b32_e32 v14, 24, v38
	v_bfrev_b32_e32 v11, 1
	s_mov_b32 s40, exec_lo
	s_delay_alu instid0(VALU_DEP_2)
	v_cmpx_ne_u32_e32 0x80, v14
	s_cbranch_execz .LBB4_1855
; %bb.1850:                             ;   in Loop: Header=BB4_128 Depth=2
	v_bfe_u32 v15, v38, 24, 7
	v_mov_b32_e32 v11, 0x7f800001
	s_mov_b32 s41, exec_lo
	s_delay_alu instid0(VALU_DEP_2)
	v_cmpx_ne_u32_e32 0x7f, v15
	s_cbranch_execz .LBB4_1854
; %bb.1851:                             ;   in Loop: Header=BB4_128 Depth=2
	v_dual_lshrrev_b32 v11, 3, v15 :: v_dual_bitop2_b32 v38, 7, v14 bitop3:0x40
	s_mov_b32 s42, exec_lo
	v_cmpx_gt_u32_e32 8, v15
; %bb.1852:                             ;   in Loop: Header=BB4_128 Depth=2
	s_delay_alu instid0(VALU_DEP_2) | instskip(NEXT) | instid1(VALU_DEP_1)
	v_clz_i32_u32_e32 v11, v38
	v_min_u32_e32 v11, 32, v11
	s_delay_alu instid0(VALU_DEP_1) | instskip(NEXT) | instid1(VALU_DEP_1)
	v_subrev_nc_u32_e32 v15, 28, v11
	v_lshlrev_b64_e32 v[20:21], v15, v[38:39]
	s_delay_alu instid0(VALU_DEP_1)
	v_dual_sub_nc_u32 v11, 29, v11 :: v_dual_bitop2_b32 v38, 7, v20 bitop3:0x40
; %bb.1853:                             ;   in Loop: Header=BB4_128 Depth=2
	s_or_b32 exec_lo, exec_lo, s42
	v_lshlrev_b32_e32 v14, 24, v14
	s_delay_alu instid0(VALU_DEP_2) | instskip(NEXT) | instid1(VALU_DEP_3)
	v_lshlrev_b32_e32 v15, 20, v38
	v_lshl_add_u32 v11, v11, 23, 0x3c000000
	s_delay_alu instid0(VALU_DEP_3) | instskip(NEXT) | instid1(VALU_DEP_1)
	v_and_b32_e32 v14, 0x80000000, v14
	v_or3_b32 v11, v15, v14, v11
.LBB4_1854:                             ;   in Loop: Header=BB4_128 Depth=2
	s_or_b32 exec_lo, exec_lo, s41
.LBB4_1855:                             ;   in Loop: Header=BB4_128 Depth=2
	s_delay_alu instid0(SALU_CYCLE_1)
	s_or_b32 exec_lo, exec_lo, s40
.LBB4_1856:                             ;   in Loop: Header=BB4_128 Depth=2
	s_delay_alu instid0(SALU_CYCLE_1) | instskip(NEXT) | instid1(SALU_CYCLE_1)
	s_or_b32 exec_lo, exec_lo, s10
	s_mov_b32 s10, exec_lo
	v_cmpx_lt_u64_e64 s[14:15], v[12:13]
	s_cbranch_execz .LBB4_1864
; %bb.1857:                             ;   in Loop: Header=BB4_128 Depth=2
	v_lshrrev_b32_e32 v12, 24, v13
	v_bfrev_b32_e32 v10, 1
	s_mov_b32 s40, exec_lo
	s_delay_alu instid0(VALU_DEP_2)
	v_cmpx_ne_u32_e32 0x80, v12
	s_cbranch_execz .LBB4_1863
; %bb.1858:                             ;   in Loop: Header=BB4_128 Depth=2
	v_bfe_u32 v13, v13, 24, 7
	v_mov_b32_e32 v10, 0x7f800001
	s_mov_b32 s41, exec_lo
	s_delay_alu instid0(VALU_DEP_2)
	v_cmpx_ne_u32_e32 0x7f, v13
	s_cbranch_execz .LBB4_1862
; %bb.1859:                             ;   in Loop: Header=BB4_128 Depth=2
	v_dual_lshrrev_b32 v10, 3, v13 :: v_dual_bitop2_b32 v38, 7, v12 bitop3:0x40
	s_mov_b32 s42, exec_lo
	v_cmpx_gt_u32_e32 8, v13
; %bb.1860:                             ;   in Loop: Header=BB4_128 Depth=2
	s_delay_alu instid0(VALU_DEP_2) | instskip(NEXT) | instid1(VALU_DEP_1)
	v_clz_i32_u32_e32 v10, v38
	v_min_u32_e32 v10, 32, v10
	s_delay_alu instid0(VALU_DEP_1) | instskip(SKIP_1) | instid1(VALU_DEP_2)
	v_subrev_nc_u32_e32 v13, 28, v10
	v_sub_nc_u32_e32 v10, 29, v10
	v_lshlrev_b64_e32 v[14:15], v13, v[38:39]
	s_delay_alu instid0(VALU_DEP_1)
	v_and_b32_e32 v38, 7, v14
; %bb.1861:                             ;   in Loop: Header=BB4_128 Depth=2
	s_or_b32 exec_lo, exec_lo, s42
	s_delay_alu instid0(VALU_DEP_1) | instskip(SKIP_1) | instid1(VALU_DEP_2)
	v_dual_lshlrev_b32 v12, 24, v12 :: v_dual_lshlrev_b32 v13, 20, v38
	v_lshl_add_u32 v10, v10, 23, 0x3c000000
	v_and_b32_e32 v12, 0x80000000, v12
	s_delay_alu instid0(VALU_DEP_1)
	v_or3_b32 v10, v13, v12, v10
.LBB4_1862:                             ;   in Loop: Header=BB4_128 Depth=2
	s_or_b32 exec_lo, exec_lo, s41
.LBB4_1863:                             ;   in Loop: Header=BB4_128 Depth=2
	s_delay_alu instid0(SALU_CYCLE_1)
	s_or_b32 exec_lo, exec_lo, s40
.LBB4_1864:                             ;   in Loop: Header=BB4_128 Depth=2
	s_delay_alu instid0(SALU_CYCLE_1) | instskip(NEXT) | instid1(VALU_DEP_1)
	s_or_b32 exec_lo, exec_lo, s10
	v_add_f32_e32 v11, v11, v10
                                        ; implicit-def: $vgpr10
	s_mov_b32 s10, exec_lo
	s_delay_alu instid0(VALU_DEP_1) | instskip(SKIP_1) | instid1(VALU_DEP_2)
	v_and_b32_e32 v38, 0x7f800000, v11
	v_lshrrev_b32_e32 v12, 24, v11
	v_cmpx_ne_u64_e32 0x7f800000, v[38:39]
	s_xor_b32 s40, exec_lo, s10
	s_cbranch_execz .LBB4_1878
; %bb.1865:                             ;   in Loop: Header=BB4_128 Depth=2
	v_and_b32_e32 v38, 0x7fffffff, v11
	v_and_b32_e32 v14, 0x80, v12
                                        ; implicit-def: $vgpr10
	s_mov_b32 s10, exec_lo
	s_delay_alu instid0(VALU_DEP_2)
	v_cmpx_gt_u64_e32 0x43e00001, v[38:39]
	s_xor_b32 s41, exec_lo, s10
	s_cbranch_execz .LBB4_1875
; %bb.1866:                             ;   in Loop: Header=BB4_128 Depth=2
	v_mov_b32_e32 v10, 0
	s_mov_b32 s42, exec_lo
	v_cmpx_ne_u32_e32 0, v11
	s_cbranch_execz .LBB4_1874
; %bb.1867:                             ;   in Loop: Header=BB4_128 Depth=2
	v_bfe_u32 v15, v11, 23, 8
	v_and_b32_e32 v12, 0x7fffff, v11
	s_delay_alu instid0(VALU_DEP_2) | instskip(SKIP_1) | instid1(VALU_DEP_3)
	v_sub_nc_u32_e32 v10, 0x79, v15
	v_cmp_gt_u32_e32 vcc_lo, 0x7a, v15
	v_or_b32_e32 v13, 0x800000, v12
	s_delay_alu instid0(VALU_DEP_3) | instskip(SKIP_1) | instid1(VALU_DEP_2)
	v_cndmask_b32_e32 v10, 0, v10, vcc_lo
	v_cmp_eq_u32_e32 vcc_lo, 0, v15
	v_cndmask_b32_e64 v113, v10, 0x78, vcc_lo
	s_delay_alu instid0(VALU_DEP_1) | instskip(SKIP_1) | instid1(VALU_DEP_2)
	v_dual_cndmask_b32 v38, v13, v12, vcc_lo :: v_dual_add_nc_u32 v10, 20, v113
	v_add_nc_u32_e32 v20, 19, v113
	v_lshlrev_b64_e64 v[10:11], v10, -1
	s_delay_alu instid0(VALU_DEP_2) | instskip(NEXT) | instid1(VALU_DEP_2)
	v_lshlrev_b64_e64 v[12:13], v20, 1
	v_bfi_b32 v21, v11, 0, 0
	s_delay_alu instid0(VALU_DEP_3) | instskip(SKIP_1) | instid1(VALU_DEP_2)
	v_bfi_b32 v20, v10, 0, v38
	v_lshrrev_b64 v[10:11], v113, v[38:39]
	v_cmp_eq_u64_e64 s10, v[20:21], v[12:13]
	s_delay_alu instid0(VALU_DEP_2)
	v_mov_b64_e32 v[12:13], v[10:11]
	s_and_saveexec_b32 s43, s10
; %bb.1868:                             ;   in Loop: Header=BB4_128 Depth=2
	v_bfe_u32 v38, v10, 20, 1
	s_delay_alu instid0(VALU_DEP_1) | instskip(NEXT) | instid1(VALU_DEP_1)
	v_add_nc_u64_e32 v[12:13], v[10:11], v[38:39]
	v_add_nc_u64_e32 v[12:13], -1, v[12:13]
; %bb.1869:                             ;   in Loop: Header=BB4_128 Depth=2
	s_or_b32 exec_lo, exec_lo, s43
	v_add_nc_u32_e32 v11, 0xffffff81, v15
	v_lshrrev_b32_e32 v13, 23, v10
	s_mov_b32 s10, exec_lo
	s_delay_alu instid0(VALU_DEP_2) | instskip(NEXT) | instid1(VALU_DEP_1)
	v_cndmask_b32_e64 v11, v11, 0xffffff82, vcc_lo
	v_add3_u32 v13, v113, v11, v13
	v_and_b32_e32 v11, 0xfffff, v12
                                        ; implicit-def: $vgpr12
	s_delay_alu instid0(VALU_DEP_1) | instskip(NEXT) | instid1(VALU_DEP_1)
	v_dual_add_nc_u32 v15, 6, v13 :: v_dual_add_nc_u32 v38, v11, v10
                                        ; implicit-def: $vgpr10_vgpr11
	v_cmpx_ne_u32_e32 0, v15
	s_xor_b32 s10, exec_lo, s10
; %bb.1870:                             ;   in Loop: Header=BB4_128 Depth=2
	s_delay_alu instid0(VALU_DEP_2) | instskip(SKIP_1) | instid1(VALU_DEP_1)
	v_cmp_lt_u64_e32 vcc_lo, 0xffffff, v[38:39]
	v_add_nc_u32_e32 v10, 7, v13
	v_cndmask_b32_e32 v12, v15, v10, vcc_lo
	v_cndmask_b32_e64 v10, 0, 1, vcc_lo
	s_delay_alu instid0(VALU_DEP_1)
	v_lshrrev_b64 v[10:11], v10, v[38:39]
; %bb.1871:                             ;   in Loop: Header=BB4_128 Depth=2
	s_and_not1_saveexec_b32 s10, s10
; %bb.1872:                             ;   in Loop: Header=BB4_128 Depth=2
	v_mov_b64_e32 v[10:11], v[38:39]
	v_bfe_u32 v12, v38, 23, 1
; %bb.1873:                             ;   in Loop: Header=BB4_128 Depth=2
	s_or_b32 exec_lo, exec_lo, s10
	s_delay_alu instid0(VALU_DEP_2) | instskip(NEXT) | instid1(VALU_DEP_2)
	v_lshrrev_b64 v[10:11], 20, v[10:11]
	v_cmp_gt_i32_e32 vcc_lo, 16, v12
	v_min_i32_e32 v13, 15, v12
	v_cmp_eq_u32_e64 s10, 0, v12
	s_delay_alu instid0(VALU_DEP_2) | instskip(SKIP_1) | instid1(VALU_DEP_2)
	v_dual_cndmask_b32 v11, 0, v11, vcc_lo :: v_dual_lshlrev_b32 v13, 3, v13
	v_cndmask_b32_e32 v10, 7, v10, vcc_lo
	v_and_b32_e32 v13, 0xf8, v13
	s_delay_alu instid0(VALU_DEP_2) | instskip(NEXT) | instid1(VALU_DEP_2)
	v_cmp_eq_u64_e32 vcc_lo, 0, v[10:11]
	v_and_or_b32 v10, v10, 7, v13
	s_and_b32 s10, s10, vcc_lo
	s_delay_alu instid0(VALU_DEP_1) | instid1(SALU_CYCLE_1)
	v_cndmask_b32_e64 v10, v10, 0, s10
	s_delay_alu instid0(VALU_DEP_1)
	v_or_b32_e32 v10, v10, v14
.LBB4_1874:                             ;   in Loop: Header=BB4_128 Depth=2
	s_or_b32 exec_lo, exec_lo, s42
                                        ; implicit-def: $vgpr14
.LBB4_1875:                             ;   in Loop: Header=BB4_128 Depth=2
	s_and_not1_saveexec_b32 s10, s41
; %bb.1876:                             ;   in Loop: Header=BB4_128 Depth=2
	v_or_b32_e32 v10, 0x7e, v14
; %bb.1877:                             ;   in Loop: Header=BB4_128 Depth=2
	s_or_b32 exec_lo, exec_lo, s10
                                        ; implicit-def: $vgpr12
.LBB4_1878:                             ;   in Loop: Header=BB4_128 Depth=2
	s_and_not1_saveexec_b32 s10, s40
	s_cbranch_execz .LBB4_127
; %bb.1879:                             ;   in Loop: Header=BB4_128 Depth=2
	v_or_b32_e32 v10, 0x7f, v12
	s_branch .LBB4_127
.LBB4_1880:                             ;   in Loop: Header=BB4_49 Depth=1
	s_or_b32 exec_lo, exec_lo, s27
.LBB4_1881:                             ;   in Loop: Header=BB4_49 Depth=1
	s_delay_alu instid0(SALU_CYCLE_1) | instskip(SKIP_4) | instid1(VALU_DEP_2)
	s_or_b32 exec_lo, exec_lo, s11
	v_and_b32_e32 v2, 0x3ffffc00, v71
	v_mov_b32_e32 v81, 0
	s_mov_b32 s10, 0
	s_mov_b32 s27, exec_lo
                                        ; implicit-def: $vgpr86
                                        ; implicit-def: $vgpr87
	v_cmpx_ne_u32_e64 v71, v2
	s_cbranch_execz .LBB4_2767
; %bb.1882:                             ;   in Loop: Header=BB4_49 Depth=1
	v_lshlrev_b32_e32 v3, 5, v30
	v_and_b32_e32 v81, 0x1ff, v71
	v_bfe_u32 v12, v71, 9, 1
	s_mov_b32 s28, exec_lo
	s_delay_alu instid0(VALU_DEP_3) | instskip(NEXT) | instid1(VALU_DEP_3)
	v_sub_nc_u32_e32 v3, v115, v3
	v_cmp_lt_u32_e64 s10, 15, v81
	s_delay_alu instid0(VALU_DEP_2) | instskip(NEXT) | instid1(VALU_DEP_2)
	v_ashrrev_i32_e32 v10, 31, v3
	v_add_co_ci_u32_e64 v12, null, 0, v12, s10
	s_delay_alu instid0(VALU_DEP_2) | instskip(NEXT) | instid1(VALU_DEP_1)
	v_lshrrev_b32_e32 v10, 27, v10
	v_add_nc_u32_e32 v10, v3, v10
	s_delay_alu instid0(VALU_DEP_1) | instskip(NEXT) | instid1(VALU_DEP_1)
	v_and_b32_e32 v11, 0xffffffe0, v10
	v_sub_nc_u32_e32 v102, v3, v11
	v_and_b32_e32 v11, 0x3ff, v71
	v_ashrrev_i32_e32 v10, 5, v10
	s_delay_alu instid0(VALU_DEP_3) | instskip(NEXT) | instid1(VALU_DEP_1)
	v_lshlrev_b32_e32 v3, 4, v102
	v_lshl_add_u32 v3, v10, 9, v3
	s_delay_alu instid0(VALU_DEP_1) | instskip(NEXT) | instid1(VALU_DEP_1)
	v_dual_sub_nc_u32 v119, v11, v3 :: v_dual_sub_nc_u32 v103, v12, v10
	v_cmpx_lt_i32_e32 15, v119
	s_cbranch_execz .LBB4_2766
; %bb.1883:                             ;   in Loop: Header=BB4_49 Depth=1
	s_trap 2
	ds_load_b64 v[10:11], v0
	v_add_nc_u32_e32 v2, v3, v2
	s_delay_alu instid0(VALU_DEP_1) | instskip(NEXT) | instid1(VALU_DEP_1)
	v_ashrrev_i32_e32 v3, 31, v2
	v_add_nc_u64_e32 v[14:15], v[2:3], v[82:83]
	v_add_nc_u64_e32 v[16:17], v[2:3], v[84:85]
	s_wait_dscnt 0x0
	v_readfirstlane_b32 s42, v10
	v_readfirstlane_b32 s43, v11
	v_add_nc_u64_e32 v[86:87], v[10:11], v[2:3]
	s_and_b32 s11, s42, 7
	s_and_b32 s12, s42, 0x7f
	s_clz_i32_u32 s11, s11
	s_bfe_u32 s29, s42, 0x40003
	s_min_u32 s11, s11, 32
	s_delay_alu instid0(SALU_CYCLE_1)
	s_sub_co_i32 s40, s11, 28
	s_sub_co_i32 s11, 29, s11
	s_cmp_lt_u32 s12, 8
	s_cselect_b32 s11, s11, s29
	s_cselect_b32 s29, s40, 0
	s_lshl_b32 s44, s42, 24
	s_lshl_b64 s[40:41], s[42:43], s29
	s_and_b32 s29, s44, 0x80000000
	s_lshl_b32 s40, s40, 20
	s_lshl_b32 s11, s11, 23
	s_and_b32 s40, s40, 0x700000
	s_add_co_i32 s11, s11, 0x3c000000
	s_or_b32 s29, s40, s29
	s_delay_alu instid0(SALU_CYCLE_1)
	s_or_b32 s11, s11, s29
	s_cmp_lg_u32 s12, 0x7f
	s_mov_b32 s29, 0
	s_cselect_b32 s40, s11, 0x7f800001
	s_and_b32 s41, s42, 0xff
	s_branch .LBB4_1885
.LBB4_1884:                             ;   in Loop: Header=BB4_1885 Depth=2
	s_or_b32 exec_lo, exec_lo, s11
	v_lshl_or_b32 v11, v101, 8, v100
	v_dual_lshlrev_b32 v12, 16, v60 :: v_dual_lshlrev_b32 v13, 24, v30
	v_lshl_or_b32 v20, v42, 8, v40
	v_dual_lshlrev_b32 v21, 16, v45 :: v_dual_lshlrev_b32 v30, 24, v56
	;; [unrolled: 2-line block ×3, first 2 shown]
	v_dual_lshlrev_b32 v99, 24, v10 :: v_dual_lshlrev_b32 v3, 16, v3
	v_lshl_or_b32 v2, v2, 8, v98
	v_or3_b32 v11, v11, v12, v13
	v_or3_b32 v10, v20, v21, v30
	;; [unrolled: 1-line block ×3, first 2 shown]
	v_sub_nc_u32_e32 v119, v119, v54
	v_or3_b32 v13, v2, v3, v99
	v_add_nc_u64_e32 v[14:15], v[14:15], v[54:55]
	v_add_nc_u64_e32 v[86:87], v[86:87], v[54:55]
	v_sub_nc_u32_e32 v103, v103, v48
	v_cmp_gt_i32_e32 vcc_lo, 16, v119
	global_store_b128 v[16:17], v[10:13], off th:TH_STORE_NT
	s_wait_xcnt 0x0
	v_add_nc_u64_e32 v[16:17], v[16:17], v[54:55]
	s_or_b32 s29, vcc_lo, s29
	s_delay_alu instid0(SALU_CYCLE_1)
	s_and_not1_b32 exec_lo, exec_lo, s29
	s_cbranch_execz .LBB4_2765
.LBB4_1885:                             ;   Parent Loop BB4_49 Depth=1
                                        ; =>  This Inner Loop Header: Depth=2
	s_cmp_lt_i32 s41, 0x80
	s_cbranch_scc1 .LBB4_1889
; %bb.1886:                             ;   in Loop: Header=BB4_1885 Depth=2
	s_and_b32 s11, 0xffff, s41
	s_delay_alu instid0(SALU_CYCLE_1)
	s_cmp_eq_u32 s11, 0x80
	s_mov_b32 s11, -1
	s_cbranch_scc0 .LBB4_1888
; %bb.1887:                             ;   in Loop: Header=BB4_1885 Depth=2
	s_mov_b32 s11, 0
.LBB4_1888:                             ;   in Loop: Header=BB4_1885 Depth=2
	s_brev_b32 s12, 1
	s_branch .LBB4_1891
.LBB4_1889:                             ;   in Loop: Header=BB4_1885 Depth=2
	s_mov_b32 s11, 0
	s_brev_b32 s12, 1
	s_cbranch_execz .LBB4_1891
; %bb.1890:                             ;   in Loop: Header=BB4_1885 Depth=2
	s_and_b32 s11, 0xffff, s41
	s_mov_b32 s12, 0
	s_cmp_lg_u32 s11, 0
	s_cselect_b32 s11, -1, 0
.LBB4_1891:                             ;   in Loop: Header=BB4_1885 Depth=2
	s_delay_alu instid0(SALU_CYCLE_1)
	s_and_not1_b32 vcc_lo, exec_lo, s11
	s_cbranch_vccnz .LBB4_1893
; %bb.1892:                             ;   in Loop: Header=BB4_1885 Depth=2
	s_mov_b32 s12, s40
.LBB4_1893:                             ;   in Loop: Header=BB4_1885 Depth=2
	global_load_b128 v[10:13], v[14:15], off th:TH_LOAD_NT
	v_mov_b32_e32 v2, 0
	s_mov_b32 s11, exec_lo
	s_wait_loadcnt 0x0
	v_and_b32_e32 v3, 0xff, v10
	s_wait_xcnt 0x0
	s_delay_alu instid0(VALU_DEP_1)
	v_cmpx_ne_u16_e32 0, v3
	s_cbranch_execz .LBB4_1899
; %bb.1894:                             ;   in Loop: Header=BB4_1885 Depth=2
	v_bfrev_b32_e32 v2, 1
	s_mov_b32 s42, exec_lo
	v_cmpx_ne_u16_e32 0x80, v3
	s_cbranch_execz .LBB4_1898
; %bb.1895:                             ;   in Loop: Header=BB4_1885 Depth=2
	v_and_b32_e32 v3, 0x7f, v10
	v_mov_b32_e32 v2, 0x7f800001
	s_mov_b32 s43, exec_lo
	s_delay_alu instid0(VALU_DEP_2)
	v_cmpx_ne_u32_e32 0x7f, v3
	s_cbranch_execz .LBB4_1897
; %bb.1896:                             ;   in Loop: Header=BB4_1885 Depth=2
	v_dual_lshrrev_b32 v20, 3, v3 :: v_dual_bitop2_b32 v2, 7, v10 bitop3:0x40
	v_cmp_gt_u32_e32 vcc_lo, 8, v3
	s_delay_alu instid0(VALU_DEP_2) | instskip(NEXT) | instid1(VALU_DEP_1)
	v_clz_i32_u32_e32 v2, v2
	v_min_u32_e32 v2, 32, v2
	s_delay_alu instid0(VALU_DEP_1) | instskip(SKIP_1) | instid1(VALU_DEP_1)
	v_subrev_nc_u32_e32 v21, 28, v2
	v_sub_nc_u32_e32 v2, 29, v2
	v_dual_cndmask_b32 v20, v20, v2, vcc_lo :: v_dual_cndmask_b32 v2, 0, v21, vcc_lo
	s_delay_alu instid0(VALU_DEP_1) | instskip(NEXT) | instid1(VALU_DEP_2)
	v_lshl_add_u32 v20, v20, 23, 0x3c000000
	v_lshlrev_b64_e32 v[2:3], v2, v[10:11]
	v_lshlrev_b32_e32 v3, 24, v10
	s_delay_alu instid0(VALU_DEP_1) | instskip(NEXT) | instid1(VALU_DEP_3)
	v_and_b32_e32 v3, 0x80000000, v3
	v_lshlrev_b32_e32 v2, 20, v2
	s_delay_alu instid0(VALU_DEP_1) | instskip(NEXT) | instid1(VALU_DEP_1)
	v_and_b32_e32 v2, 0x700000, v2
	v_or3_b32 v2, v2, v3, v20
.LBB4_1897:                             ;   in Loop: Header=BB4_1885 Depth=2
	s_or_b32 exec_lo, exec_lo, s43
.LBB4_1898:                             ;   in Loop: Header=BB4_1885 Depth=2
	s_delay_alu instid0(SALU_CYCLE_1)
	s_or_b32 exec_lo, exec_lo, s42
.LBB4_1899:                             ;   in Loop: Header=BB4_1885 Depth=2
	s_delay_alu instid0(SALU_CYCLE_1) | instskip(NEXT) | instid1(VALU_DEP_1)
	s_or_b32 exec_lo, exec_lo, s11
	v_mul_f32_e32 v3, s12, v2
                                        ; implicit-def: $vgpr30
	s_mov_b32 s11, exec_lo
	s_delay_alu instid0(VALU_DEP_1) | instskip(SKIP_1) | instid1(VALU_DEP_2)
	v_and_b32_e32 v38, 0x7f800000, v3
	v_lshrrev_b32_e32 v2, 24, v3
	v_cmpx_ne_u64_e32 0x7f800000, v[38:39]
	s_xor_b32 s42, exec_lo, s11
	s_cbranch_execz .LBB4_1913
; %bb.1900:                             ;   in Loop: Header=BB4_1885 Depth=2
	v_and_b32_e32 v38, 0x7fffffff, v3
	v_and_b32_e32 v2, 0x80, v2
                                        ; implicit-def: $vgpr30
	s_mov_b32 s11, exec_lo
	s_delay_alu instid0(VALU_DEP_2)
	v_cmpx_gt_u64_e32 0x43e00001, v[38:39]
	s_xor_b32 s43, exec_lo, s11
	s_cbranch_execz .LBB4_1910
; %bb.1901:                             ;   in Loop: Header=BB4_1885 Depth=2
	v_mov_b32_e32 v30, 0
	s_mov_b32 s44, exec_lo
	v_cmpx_ne_u32_e32 0, v3
	s_cbranch_execz .LBB4_1909
; %bb.1902:                             ;   in Loop: Header=BB4_1885 Depth=2
	v_bfe_u32 v30, v3, 23, 8
	v_and_b32_e32 v3, 0x7fffff, v3
	s_delay_alu instid0(VALU_DEP_2) | instskip(SKIP_1) | instid1(VALU_DEP_3)
	v_sub_nc_u32_e32 v20, 0x79, v30
	v_cmp_gt_u32_e32 vcc_lo, 0x7a, v30
	v_or_b32_e32 v38, 0x800000, v3
	s_delay_alu instid0(VALU_DEP_3) | instskip(SKIP_1) | instid1(VALU_DEP_3)
	v_cndmask_b32_e32 v20, 0, v20, vcc_lo
	v_cmp_eq_u32_e32 vcc_lo, 0, v30
	v_cndmask_b32_e32 v38, v38, v3, vcc_lo
	s_delay_alu instid0(VALU_DEP_3) | instskip(NEXT) | instid1(VALU_DEP_1)
	v_cndmask_b32_e64 v100, v20, 0x78, vcc_lo
	v_dual_add_nc_u32 v20, 20, v100 :: v_dual_add_nc_u32 v96, 19, v100
	s_delay_alu instid0(VALU_DEP_1) | instskip(NEXT) | instid1(VALU_DEP_2)
	v_lshlrev_b64_e64 v[20:21], v20, -1
	v_lshlrev_b64_e64 v[98:99], v96, 1
	v_lshrrev_b64 v[96:97], v100, v[38:39]
	s_delay_alu instid0(VALU_DEP_3) | instskip(NEXT) | instid1(VALU_DEP_4)
	v_bfi_b32 v21, v21, 0, 0
	v_bfi_b32 v20, v20, 0, v38
	s_delay_alu instid0(VALU_DEP_1) | instskip(NEXT) | instid1(VALU_DEP_4)
	v_cmp_eq_u64_e64 s11, v[20:21], v[98:99]
	v_mov_b64_e32 v[98:99], v[96:97]
	s_and_saveexec_b32 s45, s11
; %bb.1903:                             ;   in Loop: Header=BB4_1885 Depth=2
	v_bfe_u32 v38, v96, 20, 1
	s_delay_alu instid0(VALU_DEP_1) | instskip(NEXT) | instid1(VALU_DEP_1)
	v_add_nc_u64_e32 v[20:21], v[96:97], v[38:39]
	v_add_nc_u64_e32 v[98:99], -1, v[20:21]
; %bb.1904:                             ;   in Loop: Header=BB4_1885 Depth=2
	s_or_b32 exec_lo, exec_lo, s45
	v_add_nc_u32_e32 v3, 0xffffff81, v30
	v_lshrrev_b32_e32 v20, 23, v96
	s_mov_b32 s11, exec_lo
	s_delay_alu instid0(VALU_DEP_2) | instskip(NEXT) | instid1(VALU_DEP_1)
	v_cndmask_b32_e64 v3, v3, 0xffffff82, vcc_lo
	v_add3_u32 v30, v100, v3, v20
	v_and_b32_e32 v3, 0xfffff, v98
	s_delay_alu instid0(VALU_DEP_1) | instskip(NEXT) | instid1(VALU_DEP_1)
	v_dual_add_nc_u32 v98, 6, v30 :: v_dual_add_nc_u32 v38, v3, v96
                                        ; implicit-def: $vgpr96_vgpr97
                                        ; implicit-def: $vgpr3
	v_cmpx_ne_u32_e32 0, v98
	s_xor_b32 s11, exec_lo, s11
; %bb.1905:                             ;   in Loop: Header=BB4_1885 Depth=2
	s_delay_alu instid0(VALU_DEP_2) | instskip(SKIP_2) | instid1(VALU_DEP_2)
	v_cmp_lt_u64_e32 vcc_lo, 0xffffff, v[38:39]
	v_add_nc_u32_e32 v3, 7, v30
	v_cndmask_b32_e64 v20, 0, 1, vcc_lo
	v_cndmask_b32_e32 v3, v98, v3, vcc_lo
	s_delay_alu instid0(VALU_DEP_2)
	v_lshrrev_b64 v[96:97], v20, v[38:39]
; %bb.1906:                             ;   in Loop: Header=BB4_1885 Depth=2
	s_and_not1_saveexec_b32 s11, s11
; %bb.1907:                             ;   in Loop: Header=BB4_1885 Depth=2
	v_mov_b64_e32 v[96:97], v[38:39]
	v_bfe_u32 v3, v38, 23, 1
; %bb.1908:                             ;   in Loop: Header=BB4_1885 Depth=2
	s_or_b32 exec_lo, exec_lo, s11
	s_delay_alu instid0(VALU_DEP_2) | instskip(NEXT) | instid1(VALU_DEP_2)
	v_lshrrev_b64 v[20:21], 20, v[96:97]
	v_cmp_gt_i32_e32 vcc_lo, 16, v3
	v_min_i32_e32 v30, 15, v3
	v_cmp_eq_u32_e64 s11, 0, v3
	s_delay_alu instid0(VALU_DEP_2) | instskip(SKIP_1) | instid1(VALU_DEP_2)
	v_dual_cndmask_b32 v21, 0, v21 :: v_dual_lshlrev_b32 v30, 3, v30
	v_cndmask_b32_e32 v20, 7, v20, vcc_lo
	v_and_b32_e32 v30, 0xf8, v30
	s_delay_alu instid0(VALU_DEP_2) | instskip(NEXT) | instid1(VALU_DEP_2)
	v_cmp_eq_u64_e32 vcc_lo, 0, v[20:21]
	v_and_or_b32 v3, v20, 7, v30
	s_and_b32 s11, s11, vcc_lo
	s_delay_alu instid0(VALU_DEP_1) | instid1(SALU_CYCLE_1)
	v_cndmask_b32_e64 v3, v3, 0, s11
	s_delay_alu instid0(VALU_DEP_1)
	v_or_b32_e32 v30, v3, v2
.LBB4_1909:                             ;   in Loop: Header=BB4_1885 Depth=2
	s_or_b32 exec_lo, exec_lo, s44
                                        ; implicit-def: $vgpr2
.LBB4_1910:                             ;   in Loop: Header=BB4_1885 Depth=2
	s_and_not1_saveexec_b32 s11, s43
; %bb.1911:                             ;   in Loop: Header=BB4_1885 Depth=2
	v_or_b32_e32 v30, 0x7e, v2
; %bb.1912:                             ;   in Loop: Header=BB4_1885 Depth=2
	s_or_b32 exec_lo, exec_lo, s11
                                        ; implicit-def: $vgpr2
.LBB4_1913:                             ;   in Loop: Header=BB4_1885 Depth=2
	s_and_not1_saveexec_b32 s11, s42
; %bb.1914:                             ;   in Loop: Header=BB4_1885 Depth=2
	v_or_b32_e32 v30, 0x7f, v2
; %bb.1915:                             ;   in Loop: Header=BB4_1885 Depth=2
	s_or_b32 exec_lo, exec_lo, s11
	v_lshrrev_b16 v3, 8, v10
	v_mov_b32_e32 v2, 0
	s_mov_b32 s11, exec_lo
	s_delay_alu instid0(VALU_DEP_2)
	v_cmpx_ne_u16_e32 0, v3
	s_cbranch_execz .LBB4_1923
; %bb.1916:                             ;   in Loop: Header=BB4_1885 Depth=2
	v_bfrev_b32_e32 v2, 1
	s_mov_b32 s42, exec_lo
	v_cmpx_ne_u16_e32 0x80, v3
	s_cbranch_execz .LBB4_1922
; %bb.1917:                             ;   in Loop: Header=BB4_1885 Depth=2
	v_and_b32_e32 v38, 0xffff, v3
	v_mov_b32_e32 v2, 0x7f800001
	s_mov_b32 s43, exec_lo
	s_delay_alu instid0(VALU_DEP_2) | instskip(NEXT) | instid1(VALU_DEP_1)
	v_and_b32_e32 v3, 0x7f, v38
	v_cmpx_ne_u32_e32 0x7f, v3
	s_cbranch_execz .LBB4_1921
; %bb.1918:                             ;   in Loop: Header=BB4_1885 Depth=2
	v_dual_lshrrev_b32 v2, 3, v3 :: v_dual_bitop2_b32 v38, 7, v38 bitop3:0x40
	s_mov_b32 s44, exec_lo
	v_cmpx_gt_u32_e32 8, v3
; %bb.1919:                             ;   in Loop: Header=BB4_1885 Depth=2
	s_delay_alu instid0(VALU_DEP_2) | instskip(NEXT) | instid1(VALU_DEP_1)
	v_clz_i32_u32_e32 v2, v38
	v_min_u32_e32 v2, 32, v2
	s_delay_alu instid0(VALU_DEP_1) | instskip(NEXT) | instid1(VALU_DEP_1)
	v_subrev_nc_u32_e32 v3, 28, v2
	v_lshlrev_b64_e32 v[20:21], v3, v[38:39]
	s_delay_alu instid0(VALU_DEP_1)
	v_dual_sub_nc_u32 v2, 29, v2 :: v_dual_bitop2_b32 v38, 7, v20 bitop3:0x40
; %bb.1920:                             ;   in Loop: Header=BB4_1885 Depth=2
	s_or_b32 exec_lo, exec_lo, s44
	v_lshlrev_b32_e32 v3, 16, v10
	s_delay_alu instid0(VALU_DEP_2) | instskip(NEXT) | instid1(VALU_DEP_3)
	v_lshlrev_b32_e32 v20, 20, v38
	v_lshl_add_u32 v2, v2, 23, 0x3c000000
	s_delay_alu instid0(VALU_DEP_3) | instskip(NEXT) | instid1(VALU_DEP_1)
	v_and_b32_e32 v3, 0x80000000, v3
	v_or3_b32 v2, v20, v3, v2
.LBB4_1921:                             ;   in Loop: Header=BB4_1885 Depth=2
	s_or_b32 exec_lo, exec_lo, s43
.LBB4_1922:                             ;   in Loop: Header=BB4_1885 Depth=2
	s_delay_alu instid0(SALU_CYCLE_1)
	s_or_b32 exec_lo, exec_lo, s42
.LBB4_1923:                             ;   in Loop: Header=BB4_1885 Depth=2
	s_delay_alu instid0(SALU_CYCLE_1) | instskip(NEXT) | instid1(VALU_DEP_1)
	s_or_b32 exec_lo, exec_lo, s11
	v_mul_f32_e32 v3, s12, v2
                                        ; implicit-def: $vgpr40
	s_mov_b32 s11, exec_lo
	s_delay_alu instid0(VALU_DEP_1) | instskip(SKIP_1) | instid1(VALU_DEP_2)
	v_and_b32_e32 v38, 0x7f800000, v3
	v_lshrrev_b32_e32 v2, 24, v3
	v_cmpx_ne_u64_e32 0x7f800000, v[38:39]
	s_xor_b32 s42, exec_lo, s11
	s_cbranch_execz .LBB4_1937
; %bb.1924:                             ;   in Loop: Header=BB4_1885 Depth=2
	v_and_b32_e32 v38, 0x7fffffff, v3
	v_and_b32_e32 v2, 0x80, v2
                                        ; implicit-def: $vgpr40
	s_mov_b32 s11, exec_lo
	s_delay_alu instid0(VALU_DEP_2)
	v_cmpx_gt_u64_e32 0x43e00001, v[38:39]
	s_xor_b32 s43, exec_lo, s11
	s_cbranch_execz .LBB4_1934
; %bb.1925:                             ;   in Loop: Header=BB4_1885 Depth=2
	v_mov_b32_e32 v40, 0
	s_mov_b32 s44, exec_lo
	v_cmpx_ne_u32_e32 0, v3
	s_cbranch_execz .LBB4_1933
; %bb.1926:                             ;   in Loop: Header=BB4_1885 Depth=2
	v_bfe_u32 v100, v3, 23, 8
	v_and_b32_e32 v3, 0x7fffff, v3
	s_delay_alu instid0(VALU_DEP_2) | instskip(SKIP_1) | instid1(VALU_DEP_3)
	v_sub_nc_u32_e32 v20, 0x79, v100
	v_cmp_gt_u32_e32 vcc_lo, 0x7a, v100
	v_or_b32_e32 v38, 0x800000, v3
	s_delay_alu instid0(VALU_DEP_3) | instskip(SKIP_1) | instid1(VALU_DEP_2)
	v_cndmask_b32_e32 v20, 0, v20, vcc_lo
	v_cmp_eq_u32_e32 vcc_lo, 0, v100
	v_cndmask_b32_e64 v101, v20, 0x78, vcc_lo
	s_delay_alu instid0(VALU_DEP_1) | instskip(SKIP_1) | instid1(VALU_DEP_2)
	v_dual_cndmask_b32 v38, v38, v3, vcc_lo :: v_dual_add_nc_u32 v20, 20, v101
	v_add_nc_u32_e32 v96, 19, v101
	v_lshlrev_b64_e64 v[20:21], v20, -1
	s_delay_alu instid0(VALU_DEP_2) | instskip(NEXT) | instid1(VALU_DEP_4)
	v_lshlrev_b64_e64 v[98:99], v96, 1
	v_lshrrev_b64 v[96:97], v101, v[38:39]
	s_delay_alu instid0(VALU_DEP_3) | instskip(NEXT) | instid1(VALU_DEP_4)
	v_bfi_b32 v21, v21, 0, 0
	v_bfi_b32 v20, v20, 0, v38
	s_delay_alu instid0(VALU_DEP_1) | instskip(NEXT) | instid1(VALU_DEP_4)
	v_cmp_eq_u64_e64 s11, v[20:21], v[98:99]
	v_mov_b64_e32 v[98:99], v[96:97]
	s_and_saveexec_b32 s45, s11
; %bb.1927:                             ;   in Loop: Header=BB4_1885 Depth=2
	v_bfe_u32 v38, v96, 20, 1
	s_delay_alu instid0(VALU_DEP_1) | instskip(NEXT) | instid1(VALU_DEP_1)
	v_add_nc_u64_e32 v[20:21], v[96:97], v[38:39]
	v_add_nc_u64_e32 v[98:99], -1, v[20:21]
; %bb.1928:                             ;   in Loop: Header=BB4_1885 Depth=2
	s_or_b32 exec_lo, exec_lo, s45
	v_add_nc_u32_e32 v3, 0xffffff81, v100
	v_lshrrev_b32_e32 v20, 23, v96
	s_mov_b32 s11, exec_lo
	s_delay_alu instid0(VALU_DEP_2) | instskip(NEXT) | instid1(VALU_DEP_1)
	v_cndmask_b32_e64 v3, v3, 0xffffff82, vcc_lo
	v_add3_u32 v99, v101, v3, v20
	v_and_b32_e32 v3, 0xfffff, v98
	s_delay_alu instid0(VALU_DEP_1) | instskip(NEXT) | instid1(VALU_DEP_1)
	v_dual_add_nc_u32 v98, 6, v99 :: v_dual_add_nc_u32 v38, v3, v96
                                        ; implicit-def: $vgpr96_vgpr97
                                        ; implicit-def: $vgpr3
	v_cmpx_ne_u32_e32 0, v98
	s_xor_b32 s11, exec_lo, s11
; %bb.1929:                             ;   in Loop: Header=BB4_1885 Depth=2
	s_delay_alu instid0(VALU_DEP_2) | instskip(SKIP_2) | instid1(VALU_DEP_2)
	v_cmp_lt_u64_e32 vcc_lo, 0xffffff, v[38:39]
	v_add_nc_u32_e32 v3, 7, v99
	v_cndmask_b32_e64 v20, 0, 1, vcc_lo
	v_cndmask_b32_e32 v3, v98, v3, vcc_lo
	s_delay_alu instid0(VALU_DEP_2)
	v_lshrrev_b64 v[96:97], v20, v[38:39]
; %bb.1930:                             ;   in Loop: Header=BB4_1885 Depth=2
	s_and_not1_saveexec_b32 s11, s11
; %bb.1931:                             ;   in Loop: Header=BB4_1885 Depth=2
	v_mov_b64_e32 v[96:97], v[38:39]
	v_bfe_u32 v3, v38, 23, 1
; %bb.1932:                             ;   in Loop: Header=BB4_1885 Depth=2
	s_or_b32 exec_lo, exec_lo, s11
	s_delay_alu instid0(VALU_DEP_2) | instskip(NEXT) | instid1(VALU_DEP_2)
	v_lshrrev_b64 v[20:21], 20, v[96:97]
	v_cmp_gt_i32_e32 vcc_lo, 16, v3
	v_min_i32_e32 v38, 15, v3
	v_cmp_eq_u32_e64 s11, 0, v3
	s_delay_alu instid0(VALU_DEP_2) | instskip(SKIP_1) | instid1(VALU_DEP_2)
	v_dual_cndmask_b32 v21, 0, v21 :: v_dual_lshlrev_b32 v38, 3, v38
	v_cndmask_b32_e32 v20, 7, v20, vcc_lo
	v_and_b32_e32 v38, 0xf8, v38
	s_delay_alu instid0(VALU_DEP_2) | instskip(NEXT) | instid1(VALU_DEP_2)
	v_cmp_eq_u64_e32 vcc_lo, 0, v[20:21]
	v_and_or_b32 v3, v20, 7, v38
	s_and_b32 s11, s11, vcc_lo
	s_delay_alu instid0(VALU_DEP_1) | instid1(SALU_CYCLE_1)
	v_cndmask_b32_e64 v3, v3, 0, s11
	s_delay_alu instid0(VALU_DEP_1)
	v_or_b32_e32 v40, v3, v2
.LBB4_1933:                             ;   in Loop: Header=BB4_1885 Depth=2
	s_or_b32 exec_lo, exec_lo, s44
                                        ; implicit-def: $vgpr2
.LBB4_1934:                             ;   in Loop: Header=BB4_1885 Depth=2
	s_and_not1_saveexec_b32 s11, s43
; %bb.1935:                             ;   in Loop: Header=BB4_1885 Depth=2
	v_or_b32_e32 v40, 0x7e, v2
; %bb.1936:                             ;   in Loop: Header=BB4_1885 Depth=2
	s_or_b32 exec_lo, exec_lo, s11
                                        ; implicit-def: $vgpr2
.LBB4_1937:                             ;   in Loop: Header=BB4_1885 Depth=2
	s_and_not1_saveexec_b32 s11, s42
; %bb.1938:                             ;   in Loop: Header=BB4_1885 Depth=2
	v_or_b32_e32 v40, 0x7f, v2
; %bb.1939:                             ;   in Loop: Header=BB4_1885 Depth=2
	s_or_b32 exec_lo, exec_lo, s11
	v_dual_mov_b32 v3, 0 :: v_dual_lshrrev_b32 v2, 16, v10
	s_mov_b32 s11, exec_lo
	s_delay_alu instid0(VALU_DEP_1) | instskip(NEXT) | instid1(VALU_DEP_1)
	v_and_b32_e32 v38, 0xff, v2
	v_cmpx_ne_u16_e32 0, v38
	s_cbranch_execz .LBB4_1947
; %bb.1940:                             ;   in Loop: Header=BB4_1885 Depth=2
	v_bfrev_b32_e32 v3, 1
	s_mov_b32 s42, exec_lo
	v_cmpx_ne_u16_e32 0x80, v38
	s_cbranch_execz .LBB4_1946
; %bb.1941:                             ;   in Loop: Header=BB4_1885 Depth=2
	v_bfe_u32 v96, v10, 16, 7
	v_mov_b32_e32 v3, 0x7f800001
	s_mov_b32 s43, exec_lo
	s_delay_alu instid0(VALU_DEP_2)
	v_cmpx_ne_u32_e32 0x7f, v96
	s_cbranch_execz .LBB4_1945
; %bb.1942:                             ;   in Loop: Header=BB4_1885 Depth=2
	v_dual_lshrrev_b32 v3, 3, v96 :: v_dual_bitop2_b32 v38, 7, v2 bitop3:0x40
	s_mov_b32 s44, exec_lo
	v_cmpx_gt_u32_e32 8, v96
; %bb.1943:                             ;   in Loop: Header=BB4_1885 Depth=2
	s_delay_alu instid0(VALU_DEP_2) | instskip(NEXT) | instid1(VALU_DEP_1)
	v_clz_i32_u32_e32 v3, v38
	v_min_u32_e32 v3, 32, v3
	s_delay_alu instid0(VALU_DEP_1) | instskip(NEXT) | instid1(VALU_DEP_1)
	v_subrev_nc_u32_e32 v20, 28, v3
	v_lshlrev_b64_e32 v[20:21], v20, v[38:39]
	s_delay_alu instid0(VALU_DEP_1)
	v_dual_sub_nc_u32 v3, 29, v3 :: v_dual_bitop2_b32 v38, 7, v20 bitop3:0x40
; %bb.1944:                             ;   in Loop: Header=BB4_1885 Depth=2
	s_or_b32 exec_lo, exec_lo, s44
	v_lshlrev_b32_e32 v2, 24, v2
	s_delay_alu instid0(VALU_DEP_2) | instskip(NEXT) | instid1(VALU_DEP_3)
	v_lshlrev_b32_e32 v20, 20, v38
	v_lshl_add_u32 v3, v3, 23, 0x3c000000
	s_delay_alu instid0(VALU_DEP_3) | instskip(NEXT) | instid1(VALU_DEP_1)
	v_and_b32_e32 v2, 0x80000000, v2
	v_or3_b32 v3, v20, v2, v3
.LBB4_1945:                             ;   in Loop: Header=BB4_1885 Depth=2
	s_or_b32 exec_lo, exec_lo, s43
.LBB4_1946:                             ;   in Loop: Header=BB4_1885 Depth=2
	s_delay_alu instid0(SALU_CYCLE_1)
	s_or_b32 exec_lo, exec_lo, s42
.LBB4_1947:                             ;   in Loop: Header=BB4_1885 Depth=2
	s_delay_alu instid0(SALU_CYCLE_1) | instskip(NEXT) | instid1(VALU_DEP_1)
	s_or_b32 exec_lo, exec_lo, s11
	v_mul_f32_e32 v3, s12, v3
                                        ; implicit-def: $vgpr42
	s_mov_b32 s11, exec_lo
	s_delay_alu instid0(VALU_DEP_1) | instskip(SKIP_1) | instid1(VALU_DEP_2)
	v_and_b32_e32 v38, 0x7f800000, v3
	v_lshrrev_b32_e32 v2, 24, v3
	v_cmpx_ne_u64_e32 0x7f800000, v[38:39]
	s_xor_b32 s42, exec_lo, s11
	s_cbranch_execz .LBB4_1961
; %bb.1948:                             ;   in Loop: Header=BB4_1885 Depth=2
	v_and_b32_e32 v38, 0x7fffffff, v3
	v_and_b32_e32 v2, 0x80, v2
                                        ; implicit-def: $vgpr42
	s_mov_b32 s11, exec_lo
	s_delay_alu instid0(VALU_DEP_2)
	v_cmpx_gt_u64_e32 0x43e00001, v[38:39]
	s_xor_b32 s43, exec_lo, s11
	s_cbranch_execz .LBB4_1958
; %bb.1949:                             ;   in Loop: Header=BB4_1885 Depth=2
	v_mov_b32_e32 v42, 0
	s_mov_b32 s44, exec_lo
	v_cmpx_ne_u32_e32 0, v3
	s_cbranch_execz .LBB4_1957
; %bb.1950:                             ;   in Loop: Header=BB4_1885 Depth=2
	v_bfe_u32 v100, v3, 23, 8
	v_and_b32_e32 v3, 0x7fffff, v3
	s_delay_alu instid0(VALU_DEP_2) | instskip(SKIP_1) | instid1(VALU_DEP_3)
	v_sub_nc_u32_e32 v20, 0x79, v100
	v_cmp_gt_u32_e32 vcc_lo, 0x7a, v100
	v_or_b32_e32 v38, 0x800000, v3
	s_delay_alu instid0(VALU_DEP_3) | instskip(SKIP_1) | instid1(VALU_DEP_2)
	v_cndmask_b32_e32 v20, 0, v20, vcc_lo
	v_cmp_eq_u32_e32 vcc_lo, 0, v100
	v_cndmask_b32_e64 v101, v20, 0x78, vcc_lo
	s_delay_alu instid0(VALU_DEP_1) | instskip(SKIP_1) | instid1(VALU_DEP_2)
	v_dual_cndmask_b32 v38, v38, v3, vcc_lo :: v_dual_add_nc_u32 v20, 20, v101
	v_add_nc_u32_e32 v96, 19, v101
	v_lshlrev_b64_e64 v[20:21], v20, -1
	s_delay_alu instid0(VALU_DEP_2) | instskip(NEXT) | instid1(VALU_DEP_4)
	v_lshlrev_b64_e64 v[98:99], v96, 1
	v_lshrrev_b64 v[96:97], v101, v[38:39]
	s_delay_alu instid0(VALU_DEP_3) | instskip(NEXT) | instid1(VALU_DEP_4)
	v_bfi_b32 v21, v21, 0, 0
	v_bfi_b32 v20, v20, 0, v38
	s_delay_alu instid0(VALU_DEP_1) | instskip(NEXT) | instid1(VALU_DEP_4)
	v_cmp_eq_u64_e64 s11, v[20:21], v[98:99]
	v_mov_b64_e32 v[98:99], v[96:97]
	s_and_saveexec_b32 s45, s11
; %bb.1951:                             ;   in Loop: Header=BB4_1885 Depth=2
	v_bfe_u32 v38, v96, 20, 1
	s_delay_alu instid0(VALU_DEP_1) | instskip(NEXT) | instid1(VALU_DEP_1)
	v_add_nc_u64_e32 v[20:21], v[96:97], v[38:39]
	v_add_nc_u64_e32 v[98:99], -1, v[20:21]
; %bb.1952:                             ;   in Loop: Header=BB4_1885 Depth=2
	s_or_b32 exec_lo, exec_lo, s45
	v_add_nc_u32_e32 v3, 0xffffff81, v100
	v_lshrrev_b32_e32 v20, 23, v96
	s_mov_b32 s11, exec_lo
	s_delay_alu instid0(VALU_DEP_2) | instskip(NEXT) | instid1(VALU_DEP_1)
	v_cndmask_b32_e64 v3, v3, 0xffffff82, vcc_lo
	v_add3_u32 v99, v101, v3, v20
	v_and_b32_e32 v3, 0xfffff, v98
	s_delay_alu instid0(VALU_DEP_1) | instskip(NEXT) | instid1(VALU_DEP_1)
	v_dual_add_nc_u32 v98, 6, v99 :: v_dual_add_nc_u32 v38, v3, v96
                                        ; implicit-def: $vgpr96_vgpr97
                                        ; implicit-def: $vgpr3
	v_cmpx_ne_u32_e32 0, v98
	s_xor_b32 s11, exec_lo, s11
; %bb.1953:                             ;   in Loop: Header=BB4_1885 Depth=2
	s_delay_alu instid0(VALU_DEP_2) | instskip(SKIP_2) | instid1(VALU_DEP_2)
	v_cmp_lt_u64_e32 vcc_lo, 0xffffff, v[38:39]
	v_add_nc_u32_e32 v3, 7, v99
	v_cndmask_b32_e64 v20, 0, 1, vcc_lo
	v_cndmask_b32_e32 v3, v98, v3, vcc_lo
	s_delay_alu instid0(VALU_DEP_2)
	v_lshrrev_b64 v[96:97], v20, v[38:39]
; %bb.1954:                             ;   in Loop: Header=BB4_1885 Depth=2
	s_and_not1_saveexec_b32 s11, s11
; %bb.1955:                             ;   in Loop: Header=BB4_1885 Depth=2
	v_mov_b64_e32 v[96:97], v[38:39]
	v_bfe_u32 v3, v38, 23, 1
; %bb.1956:                             ;   in Loop: Header=BB4_1885 Depth=2
	s_or_b32 exec_lo, exec_lo, s11
	s_delay_alu instid0(VALU_DEP_2) | instskip(NEXT) | instid1(VALU_DEP_2)
	v_lshrrev_b64 v[20:21], 20, v[96:97]
	v_cmp_gt_i32_e32 vcc_lo, 16, v3
	v_min_i32_e32 v38, 15, v3
	v_cmp_eq_u32_e64 s11, 0, v3
	s_delay_alu instid0(VALU_DEP_2) | instskip(SKIP_1) | instid1(VALU_DEP_2)
	v_dual_cndmask_b32 v21, 0, v21 :: v_dual_lshlrev_b32 v38, 3, v38
	v_cndmask_b32_e32 v20, 7, v20, vcc_lo
	v_and_b32_e32 v38, 0xf8, v38
	s_delay_alu instid0(VALU_DEP_2) | instskip(NEXT) | instid1(VALU_DEP_2)
	v_cmp_eq_u64_e32 vcc_lo, 0, v[20:21]
	v_and_or_b32 v3, v20, 7, v38
	s_and_b32 s11, s11, vcc_lo
	s_delay_alu instid0(VALU_DEP_1) | instid1(SALU_CYCLE_1)
	v_cndmask_b32_e64 v3, v3, 0, s11
	s_delay_alu instid0(VALU_DEP_1)
	v_or_b32_e32 v42, v3, v2
.LBB4_1957:                             ;   in Loop: Header=BB4_1885 Depth=2
	s_or_b32 exec_lo, exec_lo, s44
                                        ; implicit-def: $vgpr2
.LBB4_1958:                             ;   in Loop: Header=BB4_1885 Depth=2
	s_and_not1_saveexec_b32 s11, s43
; %bb.1959:                             ;   in Loop: Header=BB4_1885 Depth=2
	v_or_b32_e32 v42, 0x7e, v2
; %bb.1960:                             ;   in Loop: Header=BB4_1885 Depth=2
	s_or_b32 exec_lo, exec_lo, s11
                                        ; implicit-def: $vgpr2
.LBB4_1961:                             ;   in Loop: Header=BB4_1885 Depth=2
	s_and_not1_saveexec_b32 s11, s42
; %bb.1962:                             ;   in Loop: Header=BB4_1885 Depth=2
	v_or_b32_e32 v42, 0x7f, v2
; %bb.1963:                             ;   in Loop: Header=BB4_1885 Depth=2
	s_or_b32 exec_lo, exec_lo, s11
	v_mov_b32_e32 v3, 0
	s_mov_b32 s11, exec_lo
	v_cmpx_lt_u32_e32 0xffffff, v10
	s_cbranch_execz .LBB4_1971
; %bb.1964:                             ;   in Loop: Header=BB4_1885 Depth=2
	v_lshrrev_b32_e32 v2, 24, v10
	v_bfrev_b32_e32 v3, 1
	s_mov_b32 s42, exec_lo
	s_delay_alu instid0(VALU_DEP_2)
	v_cmpx_ne_u32_e32 0x80, v2
	s_cbranch_execz .LBB4_1970
; %bb.1965:                             ;   in Loop: Header=BB4_1885 Depth=2
	v_bfe_u32 v96, v10, 24, 7
	v_mov_b32_e32 v3, 0x7f800001
	s_mov_b32 s43, exec_lo
	s_delay_alu instid0(VALU_DEP_2)
	v_cmpx_ne_u32_e32 0x7f, v96
	s_cbranch_execz .LBB4_1969
; %bb.1966:                             ;   in Loop: Header=BB4_1885 Depth=2
	v_dual_lshrrev_b32 v3, 3, v96 :: v_dual_bitop2_b32 v38, 7, v2 bitop3:0x40
	s_mov_b32 s44, exec_lo
	v_cmpx_gt_u32_e32 8, v96
; %bb.1967:                             ;   in Loop: Header=BB4_1885 Depth=2
	s_delay_alu instid0(VALU_DEP_2) | instskip(NEXT) | instid1(VALU_DEP_1)
	v_clz_i32_u32_e32 v3, v38
	v_min_u32_e32 v3, 32, v3
	s_delay_alu instid0(VALU_DEP_1) | instskip(NEXT) | instid1(VALU_DEP_1)
	v_subrev_nc_u32_e32 v20, 28, v3
	v_lshlrev_b64_e32 v[20:21], v20, v[38:39]
	s_delay_alu instid0(VALU_DEP_1)
	v_dual_sub_nc_u32 v3, 29, v3 :: v_dual_bitop2_b32 v38, 7, v20 bitop3:0x40
; %bb.1968:                             ;   in Loop: Header=BB4_1885 Depth=2
	s_or_b32 exec_lo, exec_lo, s44
	v_lshlrev_b32_e32 v2, 24, v2
	s_delay_alu instid0(VALU_DEP_2) | instskip(NEXT) | instid1(VALU_DEP_3)
	v_lshlrev_b32_e32 v20, 20, v38
	v_lshl_add_u32 v3, v3, 23, 0x3c000000
	s_delay_alu instid0(VALU_DEP_3) | instskip(NEXT) | instid1(VALU_DEP_1)
	v_and_b32_e32 v2, 0x80000000, v2
	v_or3_b32 v3, v20, v2, v3
.LBB4_1969:                             ;   in Loop: Header=BB4_1885 Depth=2
	s_or_b32 exec_lo, exec_lo, s43
.LBB4_1970:                             ;   in Loop: Header=BB4_1885 Depth=2
	s_delay_alu instid0(SALU_CYCLE_1)
	s_or_b32 exec_lo, exec_lo, s42
.LBB4_1971:                             ;   in Loop: Header=BB4_1885 Depth=2
	s_delay_alu instid0(SALU_CYCLE_1) | instskip(NEXT) | instid1(VALU_DEP_1)
	s_or_b32 exec_lo, exec_lo, s11
	v_mul_f32_e32 v3, s12, v3
                                        ; implicit-def: $vgpr45
	s_mov_b32 s11, exec_lo
	s_delay_alu instid0(VALU_DEP_1) | instskip(SKIP_1) | instid1(VALU_DEP_2)
	v_and_b32_e32 v38, 0x7f800000, v3
	v_lshrrev_b32_e32 v2, 24, v3
	v_cmpx_ne_u64_e32 0x7f800000, v[38:39]
	s_xor_b32 s42, exec_lo, s11
	s_cbranch_execz .LBB4_1985
; %bb.1972:                             ;   in Loop: Header=BB4_1885 Depth=2
	v_and_b32_e32 v38, 0x7fffffff, v3
	v_and_b32_e32 v2, 0x80, v2
                                        ; implicit-def: $vgpr45
	s_mov_b32 s11, exec_lo
	s_delay_alu instid0(VALU_DEP_2)
	v_cmpx_gt_u64_e32 0x43e00001, v[38:39]
	s_xor_b32 s43, exec_lo, s11
	s_cbranch_execz .LBB4_1982
; %bb.1973:                             ;   in Loop: Header=BB4_1885 Depth=2
	v_mov_b32_e32 v45, 0
	s_mov_b32 s44, exec_lo
	v_cmpx_ne_u32_e32 0, v3
	s_cbranch_execz .LBB4_1981
; %bb.1974:                             ;   in Loop: Header=BB4_1885 Depth=2
	v_bfe_u32 v100, v3, 23, 8
	v_and_b32_e32 v3, 0x7fffff, v3
	s_delay_alu instid0(VALU_DEP_2) | instskip(SKIP_1) | instid1(VALU_DEP_3)
	v_sub_nc_u32_e32 v20, 0x79, v100
	v_cmp_gt_u32_e32 vcc_lo, 0x7a, v100
	v_or_b32_e32 v38, 0x800000, v3
	s_delay_alu instid0(VALU_DEP_3) | instskip(SKIP_1) | instid1(VALU_DEP_2)
	v_cndmask_b32_e32 v20, 0, v20, vcc_lo
	v_cmp_eq_u32_e32 vcc_lo, 0, v100
	v_cndmask_b32_e64 v101, v20, 0x78, vcc_lo
	s_delay_alu instid0(VALU_DEP_1) | instskip(SKIP_1) | instid1(VALU_DEP_2)
	v_dual_cndmask_b32 v38, v38, v3, vcc_lo :: v_dual_add_nc_u32 v20, 20, v101
	v_add_nc_u32_e32 v96, 19, v101
	v_lshlrev_b64_e64 v[20:21], v20, -1
	s_delay_alu instid0(VALU_DEP_2) | instskip(NEXT) | instid1(VALU_DEP_4)
	v_lshlrev_b64_e64 v[98:99], v96, 1
	v_lshrrev_b64 v[96:97], v101, v[38:39]
	s_delay_alu instid0(VALU_DEP_3) | instskip(NEXT) | instid1(VALU_DEP_4)
	v_bfi_b32 v21, v21, 0, 0
	v_bfi_b32 v20, v20, 0, v38
	s_delay_alu instid0(VALU_DEP_1) | instskip(NEXT) | instid1(VALU_DEP_4)
	v_cmp_eq_u64_e64 s11, v[20:21], v[98:99]
	v_mov_b64_e32 v[98:99], v[96:97]
	s_and_saveexec_b32 s45, s11
; %bb.1975:                             ;   in Loop: Header=BB4_1885 Depth=2
	v_bfe_u32 v38, v96, 20, 1
	s_delay_alu instid0(VALU_DEP_1) | instskip(NEXT) | instid1(VALU_DEP_1)
	v_add_nc_u64_e32 v[20:21], v[96:97], v[38:39]
	v_add_nc_u64_e32 v[98:99], -1, v[20:21]
; %bb.1976:                             ;   in Loop: Header=BB4_1885 Depth=2
	s_or_b32 exec_lo, exec_lo, s45
	v_add_nc_u32_e32 v3, 0xffffff81, v100
	v_lshrrev_b32_e32 v20, 23, v96
	s_mov_b32 s11, exec_lo
	s_delay_alu instid0(VALU_DEP_2) | instskip(NEXT) | instid1(VALU_DEP_1)
	v_cndmask_b32_e64 v3, v3, 0xffffff82, vcc_lo
	v_add3_u32 v99, v101, v3, v20
	v_and_b32_e32 v3, 0xfffff, v98
	s_delay_alu instid0(VALU_DEP_1) | instskip(NEXT) | instid1(VALU_DEP_1)
	v_dual_add_nc_u32 v98, 6, v99 :: v_dual_add_nc_u32 v38, v3, v96
                                        ; implicit-def: $vgpr96_vgpr97
                                        ; implicit-def: $vgpr3
	v_cmpx_ne_u32_e32 0, v98
	s_xor_b32 s11, exec_lo, s11
; %bb.1977:                             ;   in Loop: Header=BB4_1885 Depth=2
	s_delay_alu instid0(VALU_DEP_2) | instskip(SKIP_2) | instid1(VALU_DEP_2)
	v_cmp_lt_u64_e32 vcc_lo, 0xffffff, v[38:39]
	v_add_nc_u32_e32 v3, 7, v99
	v_cndmask_b32_e64 v20, 0, 1, vcc_lo
	v_cndmask_b32_e32 v3, v98, v3, vcc_lo
	s_delay_alu instid0(VALU_DEP_2)
	v_lshrrev_b64 v[96:97], v20, v[38:39]
; %bb.1978:                             ;   in Loop: Header=BB4_1885 Depth=2
	s_and_not1_saveexec_b32 s11, s11
; %bb.1979:                             ;   in Loop: Header=BB4_1885 Depth=2
	v_mov_b64_e32 v[96:97], v[38:39]
	v_bfe_u32 v3, v38, 23, 1
; %bb.1980:                             ;   in Loop: Header=BB4_1885 Depth=2
	s_or_b32 exec_lo, exec_lo, s11
	s_delay_alu instid0(VALU_DEP_2) | instskip(NEXT) | instid1(VALU_DEP_2)
	v_lshrrev_b64 v[20:21], 20, v[96:97]
	v_cmp_gt_i32_e32 vcc_lo, 16, v3
	v_min_i32_e32 v38, 15, v3
	v_cmp_eq_u32_e64 s11, 0, v3
	s_delay_alu instid0(VALU_DEP_2) | instskip(SKIP_1) | instid1(VALU_DEP_2)
	v_dual_cndmask_b32 v21, 0, v21 :: v_dual_lshlrev_b32 v38, 3, v38
	v_cndmask_b32_e32 v20, 7, v20, vcc_lo
	v_and_b32_e32 v38, 0xf8, v38
	s_delay_alu instid0(VALU_DEP_2) | instskip(NEXT) | instid1(VALU_DEP_2)
	v_cmp_eq_u64_e32 vcc_lo, 0, v[20:21]
	v_and_or_b32 v3, v20, 7, v38
	s_and_b32 s11, s11, vcc_lo
	s_delay_alu instid0(VALU_DEP_1) | instid1(SALU_CYCLE_1)
	v_cndmask_b32_e64 v3, v3, 0, s11
	s_delay_alu instid0(VALU_DEP_1)
	v_or_b32_e32 v45, v3, v2
.LBB4_1981:                             ;   in Loop: Header=BB4_1885 Depth=2
	s_or_b32 exec_lo, exec_lo, s44
                                        ; implicit-def: $vgpr2
.LBB4_1982:                             ;   in Loop: Header=BB4_1885 Depth=2
	s_and_not1_saveexec_b32 s11, s43
; %bb.1983:                             ;   in Loop: Header=BB4_1885 Depth=2
	v_or_b32_e32 v45, 0x7e, v2
; %bb.1984:                             ;   in Loop: Header=BB4_1885 Depth=2
	s_or_b32 exec_lo, exec_lo, s11
                                        ; implicit-def: $vgpr2
.LBB4_1985:                             ;   in Loop: Header=BB4_1885 Depth=2
	s_and_not1_saveexec_b32 s11, s42
; %bb.1986:                             ;   in Loop: Header=BB4_1885 Depth=2
	v_or_b32_e32 v45, 0x7f, v2
; %bb.1987:                             ;   in Loop: Header=BB4_1885 Depth=2
	s_or_b32 exec_lo, exec_lo, s11
	v_and_b32_e32 v3, 0xff, v11
	v_dual_mov_b32 v38, v11 :: v_dual_mov_b32 v2, 0
	s_mov_b32 s11, exec_lo
	s_delay_alu instid0(VALU_DEP_2)
	v_cmpx_ne_u16_e32 0, v3
	s_cbranch_execz .LBB4_1993
; %bb.1988:                             ;   in Loop: Header=BB4_1885 Depth=2
	v_bfrev_b32_e32 v2, 1
	s_mov_b32 s42, exec_lo
	v_cmpx_ne_u16_e32 0x80, v3
	s_cbranch_execz .LBB4_1992
; %bb.1989:                             ;   in Loop: Header=BB4_1885 Depth=2
	v_and_b32_e32 v3, 0x7f, v11
	v_mov_b32_e32 v2, 0x7f800001
	s_mov_b32 s43, exec_lo
	s_delay_alu instid0(VALU_DEP_2)
	v_cmpx_ne_u32_e32 0x7f, v3
	s_cbranch_execz .LBB4_1991
; %bb.1990:                             ;   in Loop: Header=BB4_1885 Depth=2
	v_and_b32_e32 v2, 7, v11
	v_cmp_gt_u32_e32 vcc_lo, 8, v3
	s_delay_alu instid0(VALU_DEP_2) | instskip(NEXT) | instid1(VALU_DEP_1)
	v_clz_i32_u32_e32 v2, v2
	v_min_u32_e32 v2, 32, v2
	v_lshrrev_b32_e32 v20, 3, v3
	s_delay_alu instid0(VALU_DEP_2) | instskip(SKIP_1) | instid1(VALU_DEP_1)
	v_subrev_nc_u32_e32 v21, 28, v2
	v_sub_nc_u32_e32 v2, 29, v2
	v_dual_cndmask_b32 v20, v20, v2, vcc_lo :: v_dual_cndmask_b32 v2, 0, v21, vcc_lo
	s_delay_alu instid0(VALU_DEP_1) | instskip(NEXT) | instid1(VALU_DEP_2)
	v_lshl_add_u32 v20, v20, 23, 0x3c000000
	v_lshlrev_b64_e32 v[2:3], v2, v[38:39]
	v_lshlrev_b32_e32 v3, 24, v38
	s_delay_alu instid0(VALU_DEP_1) | instskip(NEXT) | instid1(VALU_DEP_3)
	v_and_b32_e32 v3, 0x80000000, v3
	v_lshlrev_b32_e32 v2, 20, v2
	s_delay_alu instid0(VALU_DEP_1) | instskip(NEXT) | instid1(VALU_DEP_1)
	v_and_b32_e32 v2, 0x700000, v2
	v_or3_b32 v2, v2, v3, v20
.LBB4_1991:                             ;   in Loop: Header=BB4_1885 Depth=2
	s_or_b32 exec_lo, exec_lo, s43
.LBB4_1992:                             ;   in Loop: Header=BB4_1885 Depth=2
	s_delay_alu instid0(SALU_CYCLE_1)
	s_or_b32 exec_lo, exec_lo, s42
.LBB4_1993:                             ;   in Loop: Header=BB4_1885 Depth=2
	s_delay_alu instid0(SALU_CYCLE_1) | instskip(NEXT) | instid1(VALU_DEP_1)
	s_or_b32 exec_lo, exec_lo, s11
	v_dual_mul_f32 v3, s12, v2 :: v_dual_mov_b32 v21, v39
                                        ; implicit-def: $vgpr100
	s_mov_b32 s11, exec_lo
	s_delay_alu instid0(VALU_DEP_1) | instskip(SKIP_1) | instid1(VALU_DEP_2)
	v_and_b32_e32 v20, 0x7f800000, v3
	v_lshrrev_b32_e32 v2, 24, v3
	v_cmpx_ne_u64_e32 0x7f800000, v[20:21]
	s_xor_b32 s42, exec_lo, s11
	s_cbranch_execz .LBB4_2007
; %bb.1994:                             ;   in Loop: Header=BB4_1885 Depth=2
	v_and_b32_e32 v20, 0x7fffffff, v3
	v_mov_b32_e32 v21, v39
	v_and_b32_e32 v2, 0x80, v2
                                        ; implicit-def: $vgpr100
	s_mov_b32 s11, exec_lo
	s_delay_alu instid0(VALU_DEP_2)
	v_cmpx_gt_u64_e32 0x43e00001, v[20:21]
	s_xor_b32 s43, exec_lo, s11
	s_cbranch_execz .LBB4_2004
; %bb.1995:                             ;   in Loop: Header=BB4_1885 Depth=2
	v_mov_b32_e32 v100, 0
	s_mov_b32 s44, exec_lo
	v_cmpx_ne_u32_e32 0, v3
	s_cbranch_execz .LBB4_2003
; %bb.1996:                             ;   in Loop: Header=BB4_1885 Depth=2
	v_bfe_u32 v100, v3, 23, 8
	v_and_b32_e32 v3, 0x7fffff, v3
	s_delay_alu instid0(VALU_DEP_2) | instskip(SKIP_1) | instid1(VALU_DEP_3)
	v_dual_mov_b32 v97, v39 :: v_dual_sub_nc_u32 v20, 0x79, v100
	v_cmp_gt_u32_e32 vcc_lo, 0x7a, v100
	v_or_b32_e32 v96, 0x800000, v3
	s_delay_alu instid0(VALU_DEP_3) | instskip(SKIP_1) | instid1(VALU_DEP_2)
	v_cndmask_b32_e32 v20, 0, v20, vcc_lo
	v_cmp_eq_u32_e32 vcc_lo, 0, v100
	v_cndmask_b32_e64 v101, v20, 0x78, vcc_lo
	s_delay_alu instid0(VALU_DEP_1) | instskip(SKIP_1) | instid1(VALU_DEP_2)
	v_dual_cndmask_b32 v96, v96, v3, vcc_lo :: v_dual_add_nc_u32 v20, 20, v101
	v_add_nc_u32_e32 v98, 19, v101
	v_lshlrev_b64_e64 v[20:21], v20, -1
	s_delay_alu instid0(VALU_DEP_2) | instskip(NEXT) | instid1(VALU_DEP_2)
	v_lshlrev_b64_e64 v[98:99], v98, 1
	v_bfi_b32 v20, v20, 0, v96
	v_lshrrev_b64 v[96:97], v101, v[96:97]
	s_delay_alu instid0(VALU_DEP_4) | instskip(NEXT) | instid1(VALU_DEP_1)
	v_bfi_b32 v21, v21, 0, 0
	v_cmp_eq_u64_e64 s11, v[20:21], v[98:99]
	s_delay_alu instid0(VALU_DEP_3)
	v_mov_b64_e32 v[98:99], v[96:97]
	s_and_saveexec_b32 s45, s11
; %bb.1997:                             ;   in Loop: Header=BB4_1885 Depth=2
	v_bfe_u32 v20, v96, 20, 1
	v_mov_b32_e32 v21, v39
	s_delay_alu instid0(VALU_DEP_1) | instskip(NEXT) | instid1(VALU_DEP_1)
	v_add_nc_u64_e32 v[20:21], v[96:97], v[20:21]
	v_add_nc_u64_e32 v[98:99], -1, v[20:21]
; %bb.1998:                             ;   in Loop: Header=BB4_1885 Depth=2
	s_or_b32 exec_lo, exec_lo, s45
	v_add_nc_u32_e32 v3, 0xffffff81, v100
	v_dual_mov_b32 v97, v39 :: v_dual_lshrrev_b32 v20, 23, v96
	s_mov_b32 s11, exec_lo
	s_delay_alu instid0(VALU_DEP_2) | instskip(NEXT) | instid1(VALU_DEP_1)
	v_cndmask_b32_e64 v3, v3, 0xffffff82, vcc_lo
	v_add3_u32 v99, v101, v3, v20
	v_and_b32_e32 v3, 0xfffff, v98
	s_delay_alu instid0(VALU_DEP_1) | instskip(NEXT) | instid1(VALU_DEP_1)
	v_dual_add_nc_u32 v98, 6, v99 :: v_dual_add_nc_u32 v96, v3, v96
                                        ; implicit-def: $vgpr3
	v_cmpx_ne_u32_e32 0, v98
	s_xor_b32 s11, exec_lo, s11
; %bb.1999:                             ;   in Loop: Header=BB4_1885 Depth=2
	s_delay_alu instid0(VALU_DEP_2) | instskip(SKIP_2) | instid1(VALU_DEP_2)
	v_cmp_lt_u64_e32 vcc_lo, 0xffffff, v[96:97]
	v_add_nc_u32_e32 v3, 7, v99
	v_cndmask_b32_e64 v20, 0, 1, vcc_lo
	v_cndmask_b32_e32 v3, v98, v3, vcc_lo
	s_delay_alu instid0(VALU_DEP_2)
	v_lshrrev_b64 v[96:97], v20, v[96:97]
; %bb.2000:                             ;   in Loop: Header=BB4_1885 Depth=2
	s_and_not1_saveexec_b32 s11, s11
; %bb.2001:                             ;   in Loop: Header=BB4_1885 Depth=2
	s_delay_alu instid0(VALU_DEP_1)
	v_bfe_u32 v3, v96, 23, 1
; %bb.2002:                             ;   in Loop: Header=BB4_1885 Depth=2
	s_or_b32 exec_lo, exec_lo, s11
	s_delay_alu instid0(VALU_DEP_2) | instskip(NEXT) | instid1(VALU_DEP_2)
	v_lshrrev_b64 v[20:21], 20, v[96:97]
	v_cmp_gt_i32_e32 vcc_lo, 16, v3
	v_min_i32_e32 v96, 15, v3
	v_cmp_eq_u32_e64 s11, 0, v3
	s_delay_alu instid0(VALU_DEP_2) | instskip(SKIP_1) | instid1(VALU_DEP_2)
	v_dual_cndmask_b32 v21, 0, v21 :: v_dual_lshlrev_b32 v96, 3, v96
	v_cndmask_b32_e32 v20, 7, v20, vcc_lo
	v_and_b32_e32 v96, 0xf8, v96
	s_delay_alu instid0(VALU_DEP_2) | instskip(NEXT) | instid1(VALU_DEP_2)
	v_cmp_eq_u64_e32 vcc_lo, 0, v[20:21]
	v_and_or_b32 v3, v20, 7, v96
	s_and_b32 s11, s11, vcc_lo
	s_delay_alu instid0(VALU_DEP_1) | instid1(SALU_CYCLE_1)
	v_cndmask_b32_e64 v3, v3, 0, s11
	s_delay_alu instid0(VALU_DEP_1)
	v_or_b32_e32 v100, v3, v2
.LBB4_2003:                             ;   in Loop: Header=BB4_1885 Depth=2
	s_or_b32 exec_lo, exec_lo, s44
                                        ; implicit-def: $vgpr2
.LBB4_2004:                             ;   in Loop: Header=BB4_1885 Depth=2
	s_and_not1_saveexec_b32 s11, s43
; %bb.2005:                             ;   in Loop: Header=BB4_1885 Depth=2
	v_or_b32_e32 v100, 0x7e, v2
; %bb.2006:                             ;   in Loop: Header=BB4_1885 Depth=2
	s_or_b32 exec_lo, exec_lo, s11
                                        ; implicit-def: $vgpr2
.LBB4_2007:                             ;   in Loop: Header=BB4_1885 Depth=2
	s_and_not1_saveexec_b32 s11, s42
; %bb.2008:                             ;   in Loop: Header=BB4_1885 Depth=2
	v_or_b32_e32 v100, 0x7f, v2
; %bb.2009:                             ;   in Loop: Header=BB4_1885 Depth=2
	s_or_b32 exec_lo, exec_lo, s11
	v_lshrrev_b16 v3, 8, v38
	v_mov_b32_e32 v2, 0
	s_mov_b32 s11, exec_lo
	s_delay_alu instid0(VALU_DEP_2)
	v_cmpx_ne_u16_e32 0, v3
	s_cbranch_execz .LBB4_2017
; %bb.2010:                             ;   in Loop: Header=BB4_1885 Depth=2
	v_bfrev_b32_e32 v2, 1
	s_mov_b32 s42, exec_lo
	v_cmpx_ne_u16_e32 0x80, v3
	s_cbranch_execz .LBB4_2016
; %bb.2011:                             ;   in Loop: Header=BB4_1885 Depth=2
	v_and_b32_e32 v96, 0xffff, v3
	v_mov_b32_e32 v2, 0x7f800001
	s_mov_b32 s43, exec_lo
	s_delay_alu instid0(VALU_DEP_2) | instskip(NEXT) | instid1(VALU_DEP_1)
	v_and_b32_e32 v3, 0x7f, v96
	v_cmpx_ne_u32_e32 0x7f, v3
	s_cbranch_execz .LBB4_2015
; %bb.2012:                             ;   in Loop: Header=BB4_1885 Depth=2
	v_dual_mov_b32 v97, v39 :: v_dual_bitop2_b32 v96, 7, v96 bitop3:0x40
	v_lshrrev_b32_e32 v2, 3, v3
	s_mov_b32 s44, exec_lo
	v_cmpx_gt_u32_e32 8, v3
; %bb.2013:                             ;   in Loop: Header=BB4_1885 Depth=2
	s_delay_alu instid0(VALU_DEP_3) | instskip(NEXT) | instid1(VALU_DEP_1)
	v_clz_i32_u32_e32 v2, v96
	v_min_u32_e32 v2, 32, v2
	s_delay_alu instid0(VALU_DEP_1) | instskip(NEXT) | instid1(VALU_DEP_1)
	v_subrev_nc_u32_e32 v3, 28, v2
	v_lshlrev_b64_e32 v[20:21], v3, v[96:97]
	s_delay_alu instid0(VALU_DEP_1)
	v_dual_sub_nc_u32 v2, 29, v2 :: v_dual_bitop2_b32 v96, 7, v20 bitop3:0x40
; %bb.2014:                             ;   in Loop: Header=BB4_1885 Depth=2
	s_or_b32 exec_lo, exec_lo, s44
	s_delay_alu instid0(VALU_DEP_1) | instskip(NEXT) | instid1(VALU_DEP_2)
	v_dual_lshlrev_b32 v3, 16, v38 :: v_dual_lshlrev_b32 v20, 20, v96
	v_lshl_add_u32 v2, v2, 23, 0x3c000000
	s_delay_alu instid0(VALU_DEP_2) | instskip(NEXT) | instid1(VALU_DEP_1)
	v_and_b32_e32 v3, 0x80000000, v3
	v_or3_b32 v2, v20, v3, v2
.LBB4_2015:                             ;   in Loop: Header=BB4_1885 Depth=2
	s_or_b32 exec_lo, exec_lo, s43
.LBB4_2016:                             ;   in Loop: Header=BB4_1885 Depth=2
	s_delay_alu instid0(SALU_CYCLE_1)
	s_or_b32 exec_lo, exec_lo, s42
.LBB4_2017:                             ;   in Loop: Header=BB4_1885 Depth=2
	s_delay_alu instid0(SALU_CYCLE_1) | instskip(NEXT) | instid1(VALU_DEP_1)
	s_or_b32 exec_lo, exec_lo, s11
	v_mul_f32_e32 v3, s12, v2
                                        ; implicit-def: $vgpr101
	s_mov_b32 s11, exec_lo
	s_delay_alu instid0(VALU_DEP_1) | instskip(SKIP_1) | instid1(VALU_DEP_2)
	v_and_b32_e32 v38, 0x7f800000, v3
	v_lshrrev_b32_e32 v2, 24, v3
	v_cmpx_ne_u64_e32 0x7f800000, v[38:39]
	s_xor_b32 s42, exec_lo, s11
	s_cbranch_execz .LBB4_2031
; %bb.2018:                             ;   in Loop: Header=BB4_1885 Depth=2
	v_and_b32_e32 v38, 0x7fffffff, v3
	v_and_b32_e32 v2, 0x80, v2
                                        ; implicit-def: $vgpr101
	s_mov_b32 s11, exec_lo
	s_delay_alu instid0(VALU_DEP_2)
	v_cmpx_gt_u64_e32 0x43e00001, v[38:39]
	s_xor_b32 s43, exec_lo, s11
	s_cbranch_execz .LBB4_2028
; %bb.2019:                             ;   in Loop: Header=BB4_1885 Depth=2
	v_mov_b32_e32 v101, 0
	s_mov_b32 s44, exec_lo
	v_cmpx_ne_u32_e32 0, v3
	s_cbranch_execz .LBB4_2027
; %bb.2020:                             ;   in Loop: Header=BB4_1885 Depth=2
	v_bfe_u32 v101, v3, 23, 8
	v_and_b32_e32 v3, 0x7fffff, v3
	s_delay_alu instid0(VALU_DEP_2) | instskip(SKIP_1) | instid1(VALU_DEP_3)
	v_sub_nc_u32_e32 v20, 0x79, v101
	v_cmp_gt_u32_e32 vcc_lo, 0x7a, v101
	v_or_b32_e32 v38, 0x800000, v3
	s_delay_alu instid0(VALU_DEP_3) | instskip(SKIP_1) | instid1(VALU_DEP_2)
	v_cndmask_b32_e32 v20, 0, v20, vcc_lo
	v_cmp_eq_u32_e32 vcc_lo, 0, v101
	v_cndmask_b32_e64 v113, v20, 0x78, vcc_lo
	s_delay_alu instid0(VALU_DEP_1) | instskip(SKIP_1) | instid1(VALU_DEP_2)
	v_dual_cndmask_b32 v38, v38, v3, vcc_lo :: v_dual_add_nc_u32 v20, 20, v113
	v_add_nc_u32_e32 v96, 19, v113
	v_lshlrev_b64_e64 v[20:21], v20, -1
	s_delay_alu instid0(VALU_DEP_2) | instskip(NEXT) | instid1(VALU_DEP_4)
	v_lshlrev_b64_e64 v[98:99], v96, 1
	v_lshrrev_b64 v[96:97], v113, v[38:39]
	s_delay_alu instid0(VALU_DEP_3) | instskip(NEXT) | instid1(VALU_DEP_4)
	v_bfi_b32 v21, v21, 0, 0
	v_bfi_b32 v20, v20, 0, v38
	s_delay_alu instid0(VALU_DEP_1) | instskip(NEXT) | instid1(VALU_DEP_4)
	v_cmp_eq_u64_e64 s11, v[20:21], v[98:99]
	v_mov_b64_e32 v[98:99], v[96:97]
	s_and_saveexec_b32 s45, s11
; %bb.2021:                             ;   in Loop: Header=BB4_1885 Depth=2
	v_bfe_u32 v38, v96, 20, 1
	s_delay_alu instid0(VALU_DEP_1) | instskip(NEXT) | instid1(VALU_DEP_1)
	v_add_nc_u64_e32 v[20:21], v[96:97], v[38:39]
	v_add_nc_u64_e32 v[98:99], -1, v[20:21]
; %bb.2022:                             ;   in Loop: Header=BB4_1885 Depth=2
	s_or_b32 exec_lo, exec_lo, s45
	v_add_nc_u32_e32 v3, 0xffffff81, v101
	v_lshrrev_b32_e32 v20, 23, v96
	s_mov_b32 s11, exec_lo
	s_delay_alu instid0(VALU_DEP_2) | instskip(NEXT) | instid1(VALU_DEP_1)
	v_cndmask_b32_e64 v3, v3, 0xffffff82, vcc_lo
	v_add3_u32 v99, v113, v3, v20
	v_and_b32_e32 v3, 0xfffff, v98
	s_delay_alu instid0(VALU_DEP_1) | instskip(NEXT) | instid1(VALU_DEP_1)
	v_dual_add_nc_u32 v98, 6, v99 :: v_dual_add_nc_u32 v38, v3, v96
                                        ; implicit-def: $vgpr96_vgpr97
                                        ; implicit-def: $vgpr3
	v_cmpx_ne_u32_e32 0, v98
	s_xor_b32 s11, exec_lo, s11
; %bb.2023:                             ;   in Loop: Header=BB4_1885 Depth=2
	s_delay_alu instid0(VALU_DEP_2) | instskip(SKIP_2) | instid1(VALU_DEP_2)
	v_cmp_lt_u64_e32 vcc_lo, 0xffffff, v[38:39]
	v_add_nc_u32_e32 v3, 7, v99
	v_cndmask_b32_e64 v20, 0, 1, vcc_lo
	v_cndmask_b32_e32 v3, v98, v3, vcc_lo
	s_delay_alu instid0(VALU_DEP_2)
	v_lshrrev_b64 v[96:97], v20, v[38:39]
; %bb.2024:                             ;   in Loop: Header=BB4_1885 Depth=2
	s_and_not1_saveexec_b32 s11, s11
; %bb.2025:                             ;   in Loop: Header=BB4_1885 Depth=2
	v_mov_b64_e32 v[96:97], v[38:39]
	v_bfe_u32 v3, v38, 23, 1
; %bb.2026:                             ;   in Loop: Header=BB4_1885 Depth=2
	s_or_b32 exec_lo, exec_lo, s11
	s_delay_alu instid0(VALU_DEP_2) | instskip(NEXT) | instid1(VALU_DEP_2)
	v_lshrrev_b64 v[20:21], 20, v[96:97]
	v_cmp_gt_i32_e32 vcc_lo, 16, v3
	v_min_i32_e32 v38, 15, v3
	v_cmp_eq_u32_e64 s11, 0, v3
	s_delay_alu instid0(VALU_DEP_2) | instskip(SKIP_1) | instid1(VALU_DEP_2)
	v_dual_cndmask_b32 v21, 0, v21 :: v_dual_lshlrev_b32 v38, 3, v38
	v_cndmask_b32_e32 v20, 7, v20, vcc_lo
	v_and_b32_e32 v38, 0xf8, v38
	s_delay_alu instid0(VALU_DEP_2) | instskip(NEXT) | instid1(VALU_DEP_2)
	v_cmp_eq_u64_e32 vcc_lo, 0, v[20:21]
	v_and_or_b32 v3, v20, 7, v38
	s_and_b32 s11, s11, vcc_lo
	s_delay_alu instid0(VALU_DEP_1) | instid1(SALU_CYCLE_1)
	v_cndmask_b32_e64 v3, v3, 0, s11
	s_delay_alu instid0(VALU_DEP_1)
	v_or_b32_e32 v101, v3, v2
.LBB4_2027:                             ;   in Loop: Header=BB4_1885 Depth=2
	s_or_b32 exec_lo, exec_lo, s44
                                        ; implicit-def: $vgpr2
.LBB4_2028:                             ;   in Loop: Header=BB4_1885 Depth=2
	s_and_not1_saveexec_b32 s11, s43
; %bb.2029:                             ;   in Loop: Header=BB4_1885 Depth=2
	v_or_b32_e32 v101, 0x7e, v2
; %bb.2030:                             ;   in Loop: Header=BB4_1885 Depth=2
	s_or_b32 exec_lo, exec_lo, s11
                                        ; implicit-def: $vgpr2
.LBB4_2031:                             ;   in Loop: Header=BB4_1885 Depth=2
	s_and_not1_saveexec_b32 s11, s42
; %bb.2032:                             ;   in Loop: Header=BB4_1885 Depth=2
	v_or_b32_e32 v101, 0x7f, v2
; %bb.2033:                             ;   in Loop: Header=BB4_1885 Depth=2
	s_or_b32 exec_lo, exec_lo, s11
	v_dual_mov_b32 v3, 0 :: v_dual_lshrrev_b32 v2, 16, v11
	s_mov_b32 s11, exec_lo
	s_delay_alu instid0(VALU_DEP_1) | instskip(NEXT) | instid1(VALU_DEP_1)
	v_and_b32_e32 v38, 0xff, v2
	v_cmpx_ne_u16_e32 0, v38
	s_cbranch_execz .LBB4_2041
; %bb.2034:                             ;   in Loop: Header=BB4_1885 Depth=2
	v_bfrev_b32_e32 v3, 1
	s_mov_b32 s42, exec_lo
	v_cmpx_ne_u16_e32 0x80, v38
	s_cbranch_execz .LBB4_2040
; %bb.2035:                             ;   in Loop: Header=BB4_1885 Depth=2
	v_bfe_u32 v96, v11, 16, 7
	v_mov_b32_e32 v3, 0x7f800001
	s_mov_b32 s43, exec_lo
	s_delay_alu instid0(VALU_DEP_2)
	v_cmpx_ne_u32_e32 0x7f, v96
	s_cbranch_execz .LBB4_2039
; %bb.2036:                             ;   in Loop: Header=BB4_1885 Depth=2
	v_dual_lshrrev_b32 v3, 3, v96 :: v_dual_bitop2_b32 v38, 7, v2 bitop3:0x40
	s_mov_b32 s44, exec_lo
	v_cmpx_gt_u32_e32 8, v96
; %bb.2037:                             ;   in Loop: Header=BB4_1885 Depth=2
	s_delay_alu instid0(VALU_DEP_2) | instskip(NEXT) | instid1(VALU_DEP_1)
	v_clz_i32_u32_e32 v3, v38
	v_min_u32_e32 v3, 32, v3
	s_delay_alu instid0(VALU_DEP_1) | instskip(NEXT) | instid1(VALU_DEP_1)
	v_subrev_nc_u32_e32 v20, 28, v3
	v_lshlrev_b64_e32 v[20:21], v20, v[38:39]
	s_delay_alu instid0(VALU_DEP_1)
	v_dual_sub_nc_u32 v3, 29, v3 :: v_dual_bitop2_b32 v38, 7, v20 bitop3:0x40
; %bb.2038:                             ;   in Loop: Header=BB4_1885 Depth=2
	s_or_b32 exec_lo, exec_lo, s44
	v_lshlrev_b32_e32 v2, 24, v2
	s_delay_alu instid0(VALU_DEP_2) | instskip(NEXT) | instid1(VALU_DEP_3)
	v_lshlrev_b32_e32 v20, 20, v38
	v_lshl_add_u32 v3, v3, 23, 0x3c000000
	s_delay_alu instid0(VALU_DEP_3) | instskip(NEXT) | instid1(VALU_DEP_1)
	v_and_b32_e32 v2, 0x80000000, v2
	v_or3_b32 v3, v20, v2, v3
.LBB4_2039:                             ;   in Loop: Header=BB4_1885 Depth=2
	s_or_b32 exec_lo, exec_lo, s43
.LBB4_2040:                             ;   in Loop: Header=BB4_1885 Depth=2
	s_delay_alu instid0(SALU_CYCLE_1)
	s_or_b32 exec_lo, exec_lo, s42
.LBB4_2041:                             ;   in Loop: Header=BB4_1885 Depth=2
	s_delay_alu instid0(SALU_CYCLE_1) | instskip(NEXT) | instid1(VALU_DEP_1)
	s_or_b32 exec_lo, exec_lo, s11
	v_mul_f32_e32 v3, s12, v3
                                        ; implicit-def: $vgpr60
	s_mov_b32 s11, exec_lo
	s_delay_alu instid0(VALU_DEP_1) | instskip(SKIP_1) | instid1(VALU_DEP_2)
	v_and_b32_e32 v38, 0x7f800000, v3
	v_lshrrev_b32_e32 v2, 24, v3
	v_cmpx_ne_u64_e32 0x7f800000, v[38:39]
	s_xor_b32 s42, exec_lo, s11
	s_cbranch_execz .LBB4_2055
; %bb.2042:                             ;   in Loop: Header=BB4_1885 Depth=2
	v_and_b32_e32 v38, 0x7fffffff, v3
	v_and_b32_e32 v2, 0x80, v2
                                        ; implicit-def: $vgpr60
	s_mov_b32 s11, exec_lo
	s_delay_alu instid0(VALU_DEP_2)
	v_cmpx_gt_u64_e32 0x43e00001, v[38:39]
	s_xor_b32 s43, exec_lo, s11
	s_cbranch_execz .LBB4_2052
; %bb.2043:                             ;   in Loop: Header=BB4_1885 Depth=2
	v_mov_b32_e32 v60, 0
	s_mov_b32 s44, exec_lo
	v_cmpx_ne_u32_e32 0, v3
	s_cbranch_execz .LBB4_2051
; %bb.2044:                             ;   in Loop: Header=BB4_1885 Depth=2
	v_bfe_u32 v113, v3, 23, 8
	v_and_b32_e32 v3, 0x7fffff, v3
	s_delay_alu instid0(VALU_DEP_2) | instskip(SKIP_1) | instid1(VALU_DEP_3)
	v_sub_nc_u32_e32 v20, 0x79, v113
	v_cmp_gt_u32_e32 vcc_lo, 0x7a, v113
	v_or_b32_e32 v38, 0x800000, v3
	s_delay_alu instid0(VALU_DEP_3) | instskip(SKIP_1) | instid1(VALU_DEP_2)
	v_cndmask_b32_e32 v20, 0, v20, vcc_lo
	v_cmp_eq_u32_e32 vcc_lo, 0, v113
	v_cndmask_b32_e64 v41, v20, 0x78, vcc_lo
	s_delay_alu instid0(VALU_DEP_1) | instskip(SKIP_1) | instid1(VALU_DEP_2)
	v_dual_cndmask_b32 v38, v38, v3, vcc_lo :: v_dual_add_nc_u32 v20, 20, v41
	v_add_nc_u32_e32 v96, 19, v41
	v_lshlrev_b64_e64 v[20:21], v20, -1
	s_delay_alu instid0(VALU_DEP_2) | instskip(NEXT) | instid1(VALU_DEP_4)
	v_lshlrev_b64_e64 v[98:99], v96, 1
	v_lshrrev_b64 v[96:97], v41, v[38:39]
	s_delay_alu instid0(VALU_DEP_3) | instskip(NEXT) | instid1(VALU_DEP_4)
	v_bfi_b32 v21, v21, 0, 0
	v_bfi_b32 v20, v20, 0, v38
	s_delay_alu instid0(VALU_DEP_1) | instskip(NEXT) | instid1(VALU_DEP_4)
	v_cmp_eq_u64_e64 s11, v[20:21], v[98:99]
	v_mov_b64_e32 v[98:99], v[96:97]
	s_and_saveexec_b32 s45, s11
; %bb.2045:                             ;   in Loop: Header=BB4_1885 Depth=2
	v_bfe_u32 v38, v96, 20, 1
	s_delay_alu instid0(VALU_DEP_1) | instskip(NEXT) | instid1(VALU_DEP_1)
	v_add_nc_u64_e32 v[20:21], v[96:97], v[38:39]
	v_add_nc_u64_e32 v[98:99], -1, v[20:21]
; %bb.2046:                             ;   in Loop: Header=BB4_1885 Depth=2
	s_or_b32 exec_lo, exec_lo, s45
	v_add_nc_u32_e32 v3, 0xffffff81, v113
	v_lshrrev_b32_e32 v20, 23, v96
	s_mov_b32 s11, exec_lo
	s_delay_alu instid0(VALU_DEP_2) | instskip(NEXT) | instid1(VALU_DEP_1)
	v_cndmask_b32_e64 v3, v3, 0xffffff82, vcc_lo
	v_add3_u32 v99, v41, v3, v20
	v_and_b32_e32 v3, 0xfffff, v98
	s_delay_alu instid0(VALU_DEP_1) | instskip(NEXT) | instid1(VALU_DEP_1)
	v_dual_add_nc_u32 v98, 6, v99 :: v_dual_add_nc_u32 v38, v3, v96
                                        ; implicit-def: $vgpr96_vgpr97
                                        ; implicit-def: $vgpr3
	v_cmpx_ne_u32_e32 0, v98
	s_xor_b32 s11, exec_lo, s11
; %bb.2047:                             ;   in Loop: Header=BB4_1885 Depth=2
	s_delay_alu instid0(VALU_DEP_2) | instskip(SKIP_2) | instid1(VALU_DEP_2)
	v_cmp_lt_u64_e32 vcc_lo, 0xffffff, v[38:39]
	v_add_nc_u32_e32 v3, 7, v99
	v_cndmask_b32_e64 v20, 0, 1, vcc_lo
	v_cndmask_b32_e32 v3, v98, v3, vcc_lo
	s_delay_alu instid0(VALU_DEP_2)
	v_lshrrev_b64 v[96:97], v20, v[38:39]
; %bb.2048:                             ;   in Loop: Header=BB4_1885 Depth=2
	s_and_not1_saveexec_b32 s11, s11
; %bb.2049:                             ;   in Loop: Header=BB4_1885 Depth=2
	v_mov_b64_e32 v[96:97], v[38:39]
	v_bfe_u32 v3, v38, 23, 1
; %bb.2050:                             ;   in Loop: Header=BB4_1885 Depth=2
	s_or_b32 exec_lo, exec_lo, s11
	s_delay_alu instid0(VALU_DEP_2) | instskip(NEXT) | instid1(VALU_DEP_2)
	v_lshrrev_b64 v[20:21], 20, v[96:97]
	v_cmp_gt_i32_e32 vcc_lo, 16, v3
	v_min_i32_e32 v38, 15, v3
	v_cmp_eq_u32_e64 s11, 0, v3
	s_delay_alu instid0(VALU_DEP_2) | instskip(SKIP_1) | instid1(VALU_DEP_2)
	v_dual_cndmask_b32 v21, 0, v21 :: v_dual_lshlrev_b32 v38, 3, v38
	v_cndmask_b32_e32 v20, 7, v20, vcc_lo
	v_and_b32_e32 v38, 0xf8, v38
	s_delay_alu instid0(VALU_DEP_2) | instskip(NEXT) | instid1(VALU_DEP_2)
	v_cmp_eq_u64_e32 vcc_lo, 0, v[20:21]
	v_and_or_b32 v3, v20, 7, v38
	s_and_b32 s11, s11, vcc_lo
	s_delay_alu instid0(VALU_DEP_1) | instid1(SALU_CYCLE_1)
	v_cndmask_b32_e64 v3, v3, 0, s11
	s_delay_alu instid0(VALU_DEP_1)
	v_or_b32_e32 v60, v3, v2
.LBB4_2051:                             ;   in Loop: Header=BB4_1885 Depth=2
	s_or_b32 exec_lo, exec_lo, s44
                                        ; implicit-def: $vgpr2
.LBB4_2052:                             ;   in Loop: Header=BB4_1885 Depth=2
	s_and_not1_saveexec_b32 s11, s43
; %bb.2053:                             ;   in Loop: Header=BB4_1885 Depth=2
	v_or_b32_e32 v60, 0x7e, v2
; %bb.2054:                             ;   in Loop: Header=BB4_1885 Depth=2
	s_or_b32 exec_lo, exec_lo, s11
                                        ; implicit-def: $vgpr2
.LBB4_2055:                             ;   in Loop: Header=BB4_1885 Depth=2
	s_and_not1_saveexec_b32 s11, s42
; %bb.2056:                             ;   in Loop: Header=BB4_1885 Depth=2
	v_or_b32_e32 v60, 0x7f, v2
; %bb.2057:                             ;   in Loop: Header=BB4_1885 Depth=2
	s_or_b32 exec_lo, exec_lo, s11
	v_mov_b32_e32 v3, 0
	s_mov_b32 s11, exec_lo
	v_cmpx_lt_u64_e64 s[14:15], v[10:11]
	s_cbranch_execz .LBB4_2065
; %bb.2058:                             ;   in Loop: Header=BB4_1885 Depth=2
	v_lshrrev_b32_e32 v2, 24, v11
	v_bfrev_b32_e32 v3, 1
	s_mov_b32 s42, exec_lo
	s_delay_alu instid0(VALU_DEP_2)
	v_cmpx_ne_u32_e32 0x80, v2
	s_cbranch_execz .LBB4_2064
; %bb.2059:                             ;   in Loop: Header=BB4_1885 Depth=2
	v_bfe_u32 v10, v11, 24, 7
	v_mov_b32_e32 v3, 0x7f800001
	s_mov_b32 s43, exec_lo
	s_delay_alu instid0(VALU_DEP_2)
	v_cmpx_ne_u32_e32 0x7f, v10
	s_cbranch_execz .LBB4_2063
; %bb.2060:                             ;   in Loop: Header=BB4_1885 Depth=2
	v_and_b32_e32 v38, 7, v2
	v_lshrrev_b32_e32 v3, 3, v10
	s_mov_b32 s44, exec_lo
	v_cmpx_gt_u32_e32 8, v10
; %bb.2061:                             ;   in Loop: Header=BB4_1885 Depth=2
	s_delay_alu instid0(VALU_DEP_3) | instskip(NEXT) | instid1(VALU_DEP_1)
	v_clz_i32_u32_e32 v3, v38
	v_min_u32_e32 v3, 32, v3
	s_delay_alu instid0(VALU_DEP_1) | instskip(NEXT) | instid1(VALU_DEP_1)
	v_subrev_nc_u32_e32 v10, 28, v3
	v_lshlrev_b64_e32 v[10:11], v10, v[38:39]
	s_delay_alu instid0(VALU_DEP_1)
	v_dual_sub_nc_u32 v3, 29, v3 :: v_dual_bitop2_b32 v38, 7, v10 bitop3:0x40
; %bb.2062:                             ;   in Loop: Header=BB4_1885 Depth=2
	s_or_b32 exec_lo, exec_lo, s44
	v_lshlrev_b32_e32 v2, 24, v2
	s_delay_alu instid0(VALU_DEP_2) | instskip(NEXT) | instid1(VALU_DEP_3)
	v_lshlrev_b32_e32 v10, 20, v38
	v_lshl_add_u32 v3, v3, 23, 0x3c000000
	s_delay_alu instid0(VALU_DEP_3) | instskip(NEXT) | instid1(VALU_DEP_1)
	v_and_b32_e32 v2, 0x80000000, v2
	v_or3_b32 v3, v10, v2, v3
.LBB4_2063:                             ;   in Loop: Header=BB4_1885 Depth=2
	s_or_b32 exec_lo, exec_lo, s43
.LBB4_2064:                             ;   in Loop: Header=BB4_1885 Depth=2
	s_delay_alu instid0(SALU_CYCLE_1)
	s_or_b32 exec_lo, exec_lo, s42
.LBB4_2065:                             ;   in Loop: Header=BB4_1885 Depth=2
	s_delay_alu instid0(SALU_CYCLE_1) | instskip(NEXT) | instid1(VALU_DEP_1)
	s_or_b32 exec_lo, exec_lo, s11
	v_mul_f32_e32 v3, s12, v3
                                        ; implicit-def: $vgpr61
	s_mov_b32 s11, exec_lo
	s_delay_alu instid0(VALU_DEP_1) | instskip(SKIP_1) | instid1(VALU_DEP_2)
	v_and_b32_e32 v38, 0x7f800000, v3
	v_lshrrev_b32_e32 v2, 24, v3
	v_cmpx_ne_u64_e32 0x7f800000, v[38:39]
	s_xor_b32 s42, exec_lo, s11
	s_cbranch_execz .LBB4_2079
; %bb.2066:                             ;   in Loop: Header=BB4_1885 Depth=2
	v_and_b32_e32 v38, 0x7fffffff, v3
	v_and_b32_e32 v2, 0x80, v2
                                        ; implicit-def: $vgpr61
	s_mov_b32 s11, exec_lo
	s_delay_alu instid0(VALU_DEP_2)
	v_cmpx_gt_u64_e32 0x43e00001, v[38:39]
	s_xor_b32 s43, exec_lo, s11
	s_cbranch_execz .LBB4_2076
; %bb.2067:                             ;   in Loop: Header=BB4_1885 Depth=2
	v_mov_b32_e32 v61, 0
	s_mov_b32 s44, exec_lo
	v_cmpx_ne_u32_e32 0, v3
	s_cbranch_execz .LBB4_2075
; %bb.2068:                             ;   in Loop: Header=BB4_1885 Depth=2
	v_bfe_u32 v98, v3, 23, 8
	v_and_b32_e32 v3, 0x7fffff, v3
	s_delay_alu instid0(VALU_DEP_2) | instskip(SKIP_1) | instid1(VALU_DEP_3)
	v_sub_nc_u32_e32 v10, 0x79, v98
	v_cmp_gt_u32_e32 vcc_lo, 0x7a, v98
	v_or_b32_e32 v20, 0x800000, v3
	s_delay_alu instid0(VALU_DEP_3) | instskip(SKIP_1) | instid1(VALU_DEP_2)
	v_cndmask_b32_e32 v10, 0, v10, vcc_lo
	v_cmp_eq_u32_e32 vcc_lo, 0, v98
	v_cndmask_b32_e64 v99, v10, 0x78, vcc_lo
	s_delay_alu instid0(VALU_DEP_4) | instskip(NEXT) | instid1(VALU_DEP_2)
	v_cndmask_b32_e32 v38, v20, v3, vcc_lo
	v_dual_add_nc_u32 v10, 20, v99 :: v_dual_add_nc_u32 v21, 19, v99
	s_delay_alu instid0(VALU_DEP_1) | instskip(NEXT) | instid1(VALU_DEP_2)
	v_lshlrev_b64_e64 v[10:11], v10, -1
	v_lshlrev_b64_e64 v[20:21], v21, 1
	s_delay_alu instid0(VALU_DEP_2) | instskip(NEXT) | instid1(VALU_DEP_3)
	v_bfi_b32 v97, v11, 0, 0
	v_bfi_b32 v96, v10, 0, v38
	v_lshrrev_b64 v[10:11], v99, v[38:39]
	s_delay_alu instid0(VALU_DEP_2) | instskip(NEXT) | instid1(VALU_DEP_2)
	v_cmp_eq_u64_e64 s11, v[96:97], v[20:21]
	v_mov_b64_e32 v[96:97], v[10:11]
	s_and_saveexec_b32 s45, s11
; %bb.2069:                             ;   in Loop: Header=BB4_1885 Depth=2
	v_bfe_u32 v38, v10, 20, 1
	s_delay_alu instid0(VALU_DEP_1) | instskip(NEXT) | instid1(VALU_DEP_1)
	v_add_nc_u64_e32 v[20:21], v[10:11], v[38:39]
	v_add_nc_u64_e32 v[96:97], -1, v[20:21]
; %bb.2070:                             ;   in Loop: Header=BB4_1885 Depth=2
	s_or_b32 exec_lo, exec_lo, s45
	v_add_nc_u32_e32 v3, 0xffffff81, v98
	v_lshrrev_b32_e32 v11, 23, v10
	s_mov_b32 s11, exec_lo
	s_delay_alu instid0(VALU_DEP_2) | instskip(NEXT) | instid1(VALU_DEP_1)
	v_cndmask_b32_e64 v3, v3, 0xffffff82, vcc_lo
	v_add3_u32 v97, v99, v3, v11
	v_and_b32_e32 v3, 0xfffff, v96
	s_delay_alu instid0(VALU_DEP_1) | instskip(NEXT) | instid1(VALU_DEP_1)
	v_dual_add_nc_u32 v96, 6, v97 :: v_dual_add_nc_u32 v38, v3, v10
                                        ; implicit-def: $vgpr10_vgpr11
                                        ; implicit-def: $vgpr3
	v_cmpx_ne_u32_e32 0, v96
	s_xor_b32 s11, exec_lo, s11
; %bb.2071:                             ;   in Loop: Header=BB4_1885 Depth=2
	s_delay_alu instid0(VALU_DEP_2) | instskip(SKIP_2) | instid1(VALU_DEP_2)
	v_cmp_lt_u64_e32 vcc_lo, 0xffffff, v[38:39]
	v_add_nc_u32_e32 v3, 7, v97
	v_cndmask_b32_e64 v10, 0, 1, vcc_lo
	v_cndmask_b32_e32 v3, v96, v3, vcc_lo
	s_delay_alu instid0(VALU_DEP_2)
	v_lshrrev_b64 v[10:11], v10, v[38:39]
; %bb.2072:                             ;   in Loop: Header=BB4_1885 Depth=2
	s_and_not1_saveexec_b32 s11, s11
; %bb.2073:                             ;   in Loop: Header=BB4_1885 Depth=2
	v_mov_b64_e32 v[10:11], v[38:39]
	v_bfe_u32 v3, v38, 23, 1
; %bb.2074:                             ;   in Loop: Header=BB4_1885 Depth=2
	s_or_b32 exec_lo, exec_lo, s11
	s_delay_alu instid0(VALU_DEP_2) | instskip(NEXT) | instid1(VALU_DEP_2)
	v_lshrrev_b64 v[10:11], 20, v[10:11]
	v_cmp_gt_i32_e32 vcc_lo, 16, v3
	v_min_i32_e32 v20, 15, v3
	v_cmp_eq_u32_e64 s11, 0, v3
	s_delay_alu instid0(VALU_DEP_2) | instskip(SKIP_1) | instid1(VALU_DEP_2)
	v_dual_cndmask_b32 v10, 7, v10, vcc_lo :: v_dual_lshlrev_b32 v20, 3, v20
	v_cndmask_b32_e32 v11, 0, v11, vcc_lo
	v_and_b32_e32 v20, 0xf8, v20
	s_delay_alu instid0(VALU_DEP_2) | instskip(NEXT) | instid1(VALU_DEP_2)
	v_cmp_eq_u64_e32 vcc_lo, 0, v[10:11]
	v_and_or_b32 v3, v10, 7, v20
	s_and_b32 s11, s11, vcc_lo
	s_delay_alu instid0(VALU_DEP_1) | instid1(SALU_CYCLE_1)
	v_cndmask_b32_e64 v3, v3, 0, s11
	s_delay_alu instid0(VALU_DEP_1)
	v_or_b32_e32 v61, v3, v2
.LBB4_2075:                             ;   in Loop: Header=BB4_1885 Depth=2
	s_or_b32 exec_lo, exec_lo, s44
                                        ; implicit-def: $vgpr2
.LBB4_2076:                             ;   in Loop: Header=BB4_1885 Depth=2
	s_and_not1_saveexec_b32 s11, s43
; %bb.2077:                             ;   in Loop: Header=BB4_1885 Depth=2
	v_or_b32_e32 v61, 0x7e, v2
; %bb.2078:                             ;   in Loop: Header=BB4_1885 Depth=2
	s_or_b32 exec_lo, exec_lo, s11
                                        ; implicit-def: $vgpr2
.LBB4_2079:                             ;   in Loop: Header=BB4_1885 Depth=2
	s_and_not1_saveexec_b32 s11, s42
; %bb.2080:                             ;   in Loop: Header=BB4_1885 Depth=2
	v_or_b32_e32 v61, 0x7f, v2
; %bb.2081:                             ;   in Loop: Header=BB4_1885 Depth=2
	s_or_b32 exec_lo, exec_lo, s11
	v_and_b32_e32 v3, 0xff, v12
	v_mov_b32_e32 v2, 0
	s_mov_b32 s11, exec_lo
	s_delay_alu instid0(VALU_DEP_2)
	v_cmpx_ne_u16_e32 0, v3
	s_cbranch_execz .LBB4_2087
; %bb.2082:                             ;   in Loop: Header=BB4_1885 Depth=2
	v_bfrev_b32_e32 v2, 1
	s_mov_b32 s42, exec_lo
	v_cmpx_ne_u16_e32 0x80, v3
	s_cbranch_execz .LBB4_2086
; %bb.2083:                             ;   in Loop: Header=BB4_1885 Depth=2
	v_and_b32_e32 v3, 0x7f, v12
	v_mov_b32_e32 v2, 0x7f800001
	s_mov_b32 s43, exec_lo
	s_delay_alu instid0(VALU_DEP_2)
	v_cmpx_ne_u32_e32 0x7f, v3
	s_cbranch_execz .LBB4_2085
; %bb.2084:                             ;   in Loop: Header=BB4_1885 Depth=2
	v_dual_lshrrev_b32 v10, 3, v3 :: v_dual_bitop2_b32 v2, 7, v12 bitop3:0x40
	v_cmp_gt_u32_e32 vcc_lo, 8, v3
	s_delay_alu instid0(VALU_DEP_2) | instskip(NEXT) | instid1(VALU_DEP_1)
	v_clz_i32_u32_e32 v2, v2
	v_min_u32_e32 v2, 32, v2
	s_delay_alu instid0(VALU_DEP_1) | instskip(SKIP_1) | instid1(VALU_DEP_1)
	v_subrev_nc_u32_e32 v11, 28, v2
	v_sub_nc_u32_e32 v2, 29, v2
	v_dual_cndmask_b32 v10, v10, v2, vcc_lo :: v_dual_cndmask_b32 v2, 0, v11, vcc_lo
	s_delay_alu instid0(VALU_DEP_1) | instskip(NEXT) | instid1(VALU_DEP_2)
	v_lshl_add_u32 v10, v10, 23, 0x3c000000
	v_lshlrev_b64_e32 v[2:3], v2, v[12:13]
	v_lshlrev_b32_e32 v3, 24, v12
	s_delay_alu instid0(VALU_DEP_1) | instskip(NEXT) | instid1(VALU_DEP_3)
	v_and_b32_e32 v3, 0x80000000, v3
	v_lshlrev_b32_e32 v2, 20, v2
	s_delay_alu instid0(VALU_DEP_1) | instskip(NEXT) | instid1(VALU_DEP_1)
	v_and_b32_e32 v2, 0x700000, v2
	v_or3_b32 v2, v2, v3, v10
.LBB4_2085:                             ;   in Loop: Header=BB4_1885 Depth=2
	s_or_b32 exec_lo, exec_lo, s43
.LBB4_2086:                             ;   in Loop: Header=BB4_1885 Depth=2
	s_delay_alu instid0(SALU_CYCLE_1)
	s_or_b32 exec_lo, exec_lo, s42
.LBB4_2087:                             ;   in Loop: Header=BB4_1885 Depth=2
	s_delay_alu instid0(SALU_CYCLE_1) | instskip(NEXT) | instid1(VALU_DEP_1)
	s_or_b32 exec_lo, exec_lo, s11
	v_mul_f32_e32 v3, s12, v2
                                        ; implicit-def: $vgpr44
	s_mov_b32 s11, exec_lo
	s_delay_alu instid0(VALU_DEP_1) | instskip(SKIP_1) | instid1(VALU_DEP_2)
	v_and_b32_e32 v38, 0x7f800000, v3
	v_lshrrev_b32_e32 v2, 24, v3
	v_cmpx_ne_u64_e32 0x7f800000, v[38:39]
	s_xor_b32 s42, exec_lo, s11
	s_cbranch_execz .LBB4_2101
; %bb.2088:                             ;   in Loop: Header=BB4_1885 Depth=2
	v_and_b32_e32 v38, 0x7fffffff, v3
	v_and_b32_e32 v2, 0x80, v2
                                        ; implicit-def: $vgpr44
	s_mov_b32 s11, exec_lo
	s_delay_alu instid0(VALU_DEP_2)
	v_cmpx_gt_u64_e32 0x43e00001, v[38:39]
	s_xor_b32 s43, exec_lo, s11
	s_cbranch_execz .LBB4_2098
; %bb.2089:                             ;   in Loop: Header=BB4_1885 Depth=2
	v_mov_b32_e32 v44, 0
	s_mov_b32 s44, exec_lo
	v_cmpx_ne_u32_e32 0, v3
	s_cbranch_execz .LBB4_2097
; %bb.2090:                             ;   in Loop: Header=BB4_1885 Depth=2
	v_bfe_u32 v98, v3, 23, 8
	v_and_b32_e32 v3, 0x7fffff, v3
	s_delay_alu instid0(VALU_DEP_2) | instskip(SKIP_1) | instid1(VALU_DEP_3)
	v_sub_nc_u32_e32 v10, 0x79, v98
	v_cmp_gt_u32_e32 vcc_lo, 0x7a, v98
	v_or_b32_e32 v20, 0x800000, v3
	s_delay_alu instid0(VALU_DEP_3) | instskip(SKIP_1) | instid1(VALU_DEP_2)
	v_cndmask_b32_e32 v10, 0, v10, vcc_lo
	v_cmp_eq_u32_e32 vcc_lo, 0, v98
	v_cndmask_b32_e64 v99, v10, 0x78, vcc_lo
	s_delay_alu instid0(VALU_DEP_4) | instskip(NEXT) | instid1(VALU_DEP_2)
	v_cndmask_b32_e32 v38, v20, v3, vcc_lo
	v_dual_add_nc_u32 v10, 20, v99 :: v_dual_add_nc_u32 v21, 19, v99
	s_delay_alu instid0(VALU_DEP_1) | instskip(NEXT) | instid1(VALU_DEP_2)
	v_lshlrev_b64_e64 v[10:11], v10, -1
	v_lshlrev_b64_e64 v[20:21], v21, 1
	s_delay_alu instid0(VALU_DEP_2) | instskip(NEXT) | instid1(VALU_DEP_3)
	v_bfi_b32 v97, v11, 0, 0
	v_bfi_b32 v96, v10, 0, v38
	v_lshrrev_b64 v[10:11], v99, v[38:39]
	s_delay_alu instid0(VALU_DEP_2) | instskip(NEXT) | instid1(VALU_DEP_2)
	v_cmp_eq_u64_e64 s11, v[96:97], v[20:21]
	v_mov_b64_e32 v[96:97], v[10:11]
	s_and_saveexec_b32 s45, s11
; %bb.2091:                             ;   in Loop: Header=BB4_1885 Depth=2
	v_bfe_u32 v38, v10, 20, 1
	s_delay_alu instid0(VALU_DEP_1) | instskip(NEXT) | instid1(VALU_DEP_1)
	v_add_nc_u64_e32 v[20:21], v[10:11], v[38:39]
	v_add_nc_u64_e32 v[96:97], -1, v[20:21]
; %bb.2092:                             ;   in Loop: Header=BB4_1885 Depth=2
	s_or_b32 exec_lo, exec_lo, s45
	v_add_nc_u32_e32 v3, 0xffffff81, v98
	v_lshrrev_b32_e32 v11, 23, v10
	s_mov_b32 s11, exec_lo
	s_delay_alu instid0(VALU_DEP_2) | instskip(NEXT) | instid1(VALU_DEP_1)
	v_cndmask_b32_e64 v3, v3, 0xffffff82, vcc_lo
	v_add3_u32 v97, v99, v3, v11
	v_and_b32_e32 v3, 0xfffff, v96
	s_delay_alu instid0(VALU_DEP_1) | instskip(NEXT) | instid1(VALU_DEP_1)
	v_dual_add_nc_u32 v96, 6, v97 :: v_dual_add_nc_u32 v38, v3, v10
                                        ; implicit-def: $vgpr10_vgpr11
                                        ; implicit-def: $vgpr3
	v_cmpx_ne_u32_e32 0, v96
	s_xor_b32 s11, exec_lo, s11
; %bb.2093:                             ;   in Loop: Header=BB4_1885 Depth=2
	s_delay_alu instid0(VALU_DEP_2) | instskip(SKIP_2) | instid1(VALU_DEP_2)
	v_cmp_lt_u64_e32 vcc_lo, 0xffffff, v[38:39]
	v_add_nc_u32_e32 v3, 7, v97
	v_cndmask_b32_e64 v10, 0, 1, vcc_lo
	v_cndmask_b32_e32 v3, v96, v3, vcc_lo
	s_delay_alu instid0(VALU_DEP_2)
	v_lshrrev_b64 v[10:11], v10, v[38:39]
; %bb.2094:                             ;   in Loop: Header=BB4_1885 Depth=2
	s_and_not1_saveexec_b32 s11, s11
; %bb.2095:                             ;   in Loop: Header=BB4_1885 Depth=2
	v_mov_b64_e32 v[10:11], v[38:39]
	v_bfe_u32 v3, v38, 23, 1
; %bb.2096:                             ;   in Loop: Header=BB4_1885 Depth=2
	s_or_b32 exec_lo, exec_lo, s11
	s_delay_alu instid0(VALU_DEP_2) | instskip(NEXT) | instid1(VALU_DEP_2)
	v_lshrrev_b64 v[10:11], 20, v[10:11]
	v_cmp_gt_i32_e32 vcc_lo, 16, v3
	v_min_i32_e32 v20, 15, v3
	v_cmp_eq_u32_e64 s11, 0, v3
	s_delay_alu instid0(VALU_DEP_2) | instskip(SKIP_1) | instid1(VALU_DEP_2)
	v_dual_cndmask_b32 v10, 7, v10, vcc_lo :: v_dual_lshlrev_b32 v20, 3, v20
	v_cndmask_b32_e32 v11, 0, v11, vcc_lo
	v_and_b32_e32 v20, 0xf8, v20
	s_delay_alu instid0(VALU_DEP_2) | instskip(NEXT) | instid1(VALU_DEP_2)
	v_cmp_eq_u64_e32 vcc_lo, 0, v[10:11]
	v_and_or_b32 v3, v10, 7, v20
	s_and_b32 s11, s11, vcc_lo
	s_delay_alu instid0(VALU_DEP_1) | instid1(SALU_CYCLE_1)
	v_cndmask_b32_e64 v3, v3, 0, s11
	s_delay_alu instid0(VALU_DEP_1)
	v_or_b32_e32 v44, v3, v2
.LBB4_2097:                             ;   in Loop: Header=BB4_1885 Depth=2
	s_or_b32 exec_lo, exec_lo, s44
                                        ; implicit-def: $vgpr2
.LBB4_2098:                             ;   in Loop: Header=BB4_1885 Depth=2
	s_and_not1_saveexec_b32 s11, s43
; %bb.2099:                             ;   in Loop: Header=BB4_1885 Depth=2
	v_or_b32_e32 v44, 0x7e, v2
; %bb.2100:                             ;   in Loop: Header=BB4_1885 Depth=2
	s_or_b32 exec_lo, exec_lo, s11
                                        ; implicit-def: $vgpr2
.LBB4_2101:                             ;   in Loop: Header=BB4_1885 Depth=2
	s_and_not1_saveexec_b32 s11, s42
; %bb.2102:                             ;   in Loop: Header=BB4_1885 Depth=2
	v_or_b32_e32 v44, 0x7f, v2
; %bb.2103:                             ;   in Loop: Header=BB4_1885 Depth=2
	s_or_b32 exec_lo, exec_lo, s11
	v_lshrrev_b16 v3, 8, v12
	v_mov_b32_e32 v2, 0
	s_mov_b32 s11, exec_lo
	s_delay_alu instid0(VALU_DEP_2)
	v_cmpx_ne_u16_e32 0, v3
	s_cbranch_execz .LBB4_2111
; %bb.2104:                             ;   in Loop: Header=BB4_1885 Depth=2
	v_bfrev_b32_e32 v2, 1
	s_mov_b32 s42, exec_lo
	v_cmpx_ne_u16_e32 0x80, v3
	s_cbranch_execz .LBB4_2110
; %bb.2105:                             ;   in Loop: Header=BB4_1885 Depth=2
	v_and_b32_e32 v10, 0xffff, v3
	v_mov_b32_e32 v2, 0x7f800001
	s_mov_b32 s43, exec_lo
	s_delay_alu instid0(VALU_DEP_2) | instskip(NEXT) | instid1(VALU_DEP_1)
	v_and_b32_e32 v3, 0x7f, v10
	v_cmpx_ne_u32_e32 0x7f, v3
	s_cbranch_execz .LBB4_2109
; %bb.2106:                             ;   in Loop: Header=BB4_1885 Depth=2
	v_dual_lshrrev_b32 v2, 3, v3 :: v_dual_bitop2_b32 v38, 7, v10 bitop3:0x40
	s_mov_b32 s44, exec_lo
	v_cmpx_gt_u32_e32 8, v3
; %bb.2107:                             ;   in Loop: Header=BB4_1885 Depth=2
	s_delay_alu instid0(VALU_DEP_2) | instskip(NEXT) | instid1(VALU_DEP_1)
	v_clz_i32_u32_e32 v2, v38
	v_min_u32_e32 v2, 32, v2
	s_delay_alu instid0(VALU_DEP_1) | instskip(SKIP_1) | instid1(VALU_DEP_2)
	v_subrev_nc_u32_e32 v3, 28, v2
	v_sub_nc_u32_e32 v2, 29, v2
	v_lshlrev_b64_e32 v[10:11], v3, v[38:39]
	s_delay_alu instid0(VALU_DEP_1)
	v_and_b32_e32 v38, 7, v10
; %bb.2108:                             ;   in Loop: Header=BB4_1885 Depth=2
	s_or_b32 exec_lo, exec_lo, s44
	s_delay_alu instid0(VALU_DEP_1) | instskip(SKIP_1) | instid1(VALU_DEP_2)
	v_dual_lshlrev_b32 v3, 16, v12 :: v_dual_lshlrev_b32 v10, 20, v38
	v_lshl_add_u32 v2, v2, 23, 0x3c000000
	v_and_b32_e32 v3, 0x80000000, v3
	s_delay_alu instid0(VALU_DEP_1)
	v_or3_b32 v2, v10, v3, v2
.LBB4_2109:                             ;   in Loop: Header=BB4_1885 Depth=2
	s_or_b32 exec_lo, exec_lo, s43
.LBB4_2110:                             ;   in Loop: Header=BB4_1885 Depth=2
	s_delay_alu instid0(SALU_CYCLE_1)
	s_or_b32 exec_lo, exec_lo, s42
.LBB4_2111:                             ;   in Loop: Header=BB4_1885 Depth=2
	s_delay_alu instid0(SALU_CYCLE_1) | instskip(NEXT) | instid1(VALU_DEP_1)
	s_or_b32 exec_lo, exec_lo, s11
	v_mul_f32_e32 v3, s12, v2
                                        ; implicit-def: $vgpr47
	s_mov_b32 s11, exec_lo
	s_delay_alu instid0(VALU_DEP_1) | instskip(SKIP_1) | instid1(VALU_DEP_2)
	v_and_b32_e32 v38, 0x7f800000, v3
	v_lshrrev_b32_e32 v2, 24, v3
	v_cmpx_ne_u64_e32 0x7f800000, v[38:39]
	s_xor_b32 s42, exec_lo, s11
	s_cbranch_execz .LBB4_2125
; %bb.2112:                             ;   in Loop: Header=BB4_1885 Depth=2
	v_and_b32_e32 v38, 0x7fffffff, v3
	v_and_b32_e32 v2, 0x80, v2
                                        ; implicit-def: $vgpr47
	s_mov_b32 s11, exec_lo
	s_delay_alu instid0(VALU_DEP_2)
	v_cmpx_gt_u64_e32 0x43e00001, v[38:39]
	s_xor_b32 s43, exec_lo, s11
	s_cbranch_execz .LBB4_2122
; %bb.2113:                             ;   in Loop: Header=BB4_1885 Depth=2
	v_mov_b32_e32 v47, 0
	s_mov_b32 s44, exec_lo
	v_cmpx_ne_u32_e32 0, v3
	s_cbranch_execz .LBB4_2121
; %bb.2114:                             ;   in Loop: Header=BB4_1885 Depth=2
	v_bfe_u32 v98, v3, 23, 8
	v_and_b32_e32 v3, 0x7fffff, v3
	s_delay_alu instid0(VALU_DEP_2) | instskip(SKIP_1) | instid1(VALU_DEP_3)
	v_sub_nc_u32_e32 v10, 0x79, v98
	v_cmp_gt_u32_e32 vcc_lo, 0x7a, v98
	v_or_b32_e32 v20, 0x800000, v3
	s_delay_alu instid0(VALU_DEP_3) | instskip(SKIP_1) | instid1(VALU_DEP_2)
	v_cndmask_b32_e32 v10, 0, v10, vcc_lo
	v_cmp_eq_u32_e32 vcc_lo, 0, v98
	v_cndmask_b32_e64 v99, v10, 0x78, vcc_lo
	s_delay_alu instid0(VALU_DEP_4) | instskip(NEXT) | instid1(VALU_DEP_2)
	v_cndmask_b32_e32 v38, v20, v3, vcc_lo
	v_dual_add_nc_u32 v10, 20, v99 :: v_dual_add_nc_u32 v21, 19, v99
	s_delay_alu instid0(VALU_DEP_1) | instskip(NEXT) | instid1(VALU_DEP_2)
	v_lshlrev_b64_e64 v[10:11], v10, -1
	v_lshlrev_b64_e64 v[20:21], v21, 1
	s_delay_alu instid0(VALU_DEP_2) | instskip(NEXT) | instid1(VALU_DEP_3)
	v_bfi_b32 v97, v11, 0, 0
	v_bfi_b32 v96, v10, 0, v38
	v_lshrrev_b64 v[10:11], v99, v[38:39]
	s_delay_alu instid0(VALU_DEP_2) | instskip(NEXT) | instid1(VALU_DEP_2)
	v_cmp_eq_u64_e64 s11, v[96:97], v[20:21]
	v_mov_b64_e32 v[96:97], v[10:11]
	s_and_saveexec_b32 s45, s11
; %bb.2115:                             ;   in Loop: Header=BB4_1885 Depth=2
	v_bfe_u32 v38, v10, 20, 1
	s_delay_alu instid0(VALU_DEP_1) | instskip(NEXT) | instid1(VALU_DEP_1)
	v_add_nc_u64_e32 v[20:21], v[10:11], v[38:39]
	v_add_nc_u64_e32 v[96:97], -1, v[20:21]
; %bb.2116:                             ;   in Loop: Header=BB4_1885 Depth=2
	s_or_b32 exec_lo, exec_lo, s45
	v_add_nc_u32_e32 v3, 0xffffff81, v98
	v_lshrrev_b32_e32 v11, 23, v10
	s_mov_b32 s11, exec_lo
	s_delay_alu instid0(VALU_DEP_2) | instskip(NEXT) | instid1(VALU_DEP_1)
	v_cndmask_b32_e64 v3, v3, 0xffffff82, vcc_lo
	v_add3_u32 v97, v99, v3, v11
	v_and_b32_e32 v3, 0xfffff, v96
	s_delay_alu instid0(VALU_DEP_1) | instskip(NEXT) | instid1(VALU_DEP_1)
	v_dual_add_nc_u32 v96, 6, v97 :: v_dual_add_nc_u32 v38, v3, v10
                                        ; implicit-def: $vgpr10_vgpr11
                                        ; implicit-def: $vgpr3
	v_cmpx_ne_u32_e32 0, v96
	s_xor_b32 s11, exec_lo, s11
; %bb.2117:                             ;   in Loop: Header=BB4_1885 Depth=2
	s_delay_alu instid0(VALU_DEP_2) | instskip(SKIP_2) | instid1(VALU_DEP_2)
	v_cmp_lt_u64_e32 vcc_lo, 0xffffff, v[38:39]
	v_add_nc_u32_e32 v3, 7, v97
	v_cndmask_b32_e64 v10, 0, 1, vcc_lo
	v_cndmask_b32_e32 v3, v96, v3, vcc_lo
	s_delay_alu instid0(VALU_DEP_2)
	v_lshrrev_b64 v[10:11], v10, v[38:39]
; %bb.2118:                             ;   in Loop: Header=BB4_1885 Depth=2
	s_and_not1_saveexec_b32 s11, s11
; %bb.2119:                             ;   in Loop: Header=BB4_1885 Depth=2
	v_mov_b64_e32 v[10:11], v[38:39]
	v_bfe_u32 v3, v38, 23, 1
; %bb.2120:                             ;   in Loop: Header=BB4_1885 Depth=2
	s_or_b32 exec_lo, exec_lo, s11
	s_delay_alu instid0(VALU_DEP_2) | instskip(NEXT) | instid1(VALU_DEP_2)
	v_lshrrev_b64 v[10:11], 20, v[10:11]
	v_cmp_gt_i32_e32 vcc_lo, 16, v3
	v_min_i32_e32 v20, 15, v3
	v_cmp_eq_u32_e64 s11, 0, v3
	s_delay_alu instid0(VALU_DEP_2) | instskip(SKIP_1) | instid1(VALU_DEP_2)
	v_dual_cndmask_b32 v10, 7, v10, vcc_lo :: v_dual_lshlrev_b32 v20, 3, v20
	v_cndmask_b32_e32 v11, 0, v11, vcc_lo
	v_and_b32_e32 v20, 0xf8, v20
	s_delay_alu instid0(VALU_DEP_2) | instskip(NEXT) | instid1(VALU_DEP_2)
	v_cmp_eq_u64_e32 vcc_lo, 0, v[10:11]
	v_and_or_b32 v3, v10, 7, v20
	s_and_b32 s11, s11, vcc_lo
	s_delay_alu instid0(VALU_DEP_1) | instid1(SALU_CYCLE_1)
	v_cndmask_b32_e64 v3, v3, 0, s11
	s_delay_alu instid0(VALU_DEP_1)
	v_or_b32_e32 v47, v3, v2
.LBB4_2121:                             ;   in Loop: Header=BB4_1885 Depth=2
	s_or_b32 exec_lo, exec_lo, s44
                                        ; implicit-def: $vgpr2
.LBB4_2122:                             ;   in Loop: Header=BB4_1885 Depth=2
	s_and_not1_saveexec_b32 s11, s43
; %bb.2123:                             ;   in Loop: Header=BB4_1885 Depth=2
	v_or_b32_e32 v47, 0x7e, v2
; %bb.2124:                             ;   in Loop: Header=BB4_1885 Depth=2
	s_or_b32 exec_lo, exec_lo, s11
                                        ; implicit-def: $vgpr2
.LBB4_2125:                             ;   in Loop: Header=BB4_1885 Depth=2
	s_and_not1_saveexec_b32 s11, s42
; %bb.2126:                             ;   in Loop: Header=BB4_1885 Depth=2
	v_or_b32_e32 v47, 0x7f, v2
; %bb.2127:                             ;   in Loop: Header=BB4_1885 Depth=2
	s_or_b32 exec_lo, exec_lo, s11
	v_dual_mov_b32 v3, 0 :: v_dual_lshrrev_b32 v2, 16, v12
	s_mov_b32 s11, exec_lo
	s_delay_alu instid0(VALU_DEP_1) | instskip(NEXT) | instid1(VALU_DEP_1)
	v_and_b32_e32 v10, 0xff, v2
	v_cmpx_ne_u16_e32 0, v10
	s_cbranch_execz .LBB4_2135
; %bb.2128:                             ;   in Loop: Header=BB4_1885 Depth=2
	v_bfrev_b32_e32 v3, 1
	s_mov_b32 s42, exec_lo
	v_cmpx_ne_u16_e32 0x80, v10
	s_cbranch_execz .LBB4_2134
; %bb.2129:                             ;   in Loop: Header=BB4_1885 Depth=2
	v_bfe_u32 v10, v12, 16, 7
	v_mov_b32_e32 v3, 0x7f800001
	s_mov_b32 s43, exec_lo
	s_delay_alu instid0(VALU_DEP_2)
	v_cmpx_ne_u32_e32 0x7f, v10
	s_cbranch_execz .LBB4_2133
; %bb.2130:                             ;   in Loop: Header=BB4_1885 Depth=2
	v_and_b32_e32 v38, 7, v2
	v_lshrrev_b32_e32 v3, 3, v10
	s_mov_b32 s44, exec_lo
	v_cmpx_gt_u32_e32 8, v10
; %bb.2131:                             ;   in Loop: Header=BB4_1885 Depth=2
	s_delay_alu instid0(VALU_DEP_3) | instskip(NEXT) | instid1(VALU_DEP_1)
	v_clz_i32_u32_e32 v3, v38
	v_min_u32_e32 v3, 32, v3
	s_delay_alu instid0(VALU_DEP_1) | instskip(NEXT) | instid1(VALU_DEP_1)
	v_subrev_nc_u32_e32 v10, 28, v3
	v_lshlrev_b64_e32 v[10:11], v10, v[38:39]
	s_delay_alu instid0(VALU_DEP_1)
	v_dual_sub_nc_u32 v3, 29, v3 :: v_dual_bitop2_b32 v38, 7, v10 bitop3:0x40
; %bb.2132:                             ;   in Loop: Header=BB4_1885 Depth=2
	s_or_b32 exec_lo, exec_lo, s44
	v_lshlrev_b32_e32 v2, 24, v2
	s_delay_alu instid0(VALU_DEP_2) | instskip(NEXT) | instid1(VALU_DEP_3)
	v_lshlrev_b32_e32 v10, 20, v38
	v_lshl_add_u32 v3, v3, 23, 0x3c000000
	s_delay_alu instid0(VALU_DEP_3) | instskip(NEXT) | instid1(VALU_DEP_1)
	v_and_b32_e32 v2, 0x80000000, v2
	v_or3_b32 v3, v10, v2, v3
.LBB4_2133:                             ;   in Loop: Header=BB4_1885 Depth=2
	s_or_b32 exec_lo, exec_lo, s43
.LBB4_2134:                             ;   in Loop: Header=BB4_1885 Depth=2
	s_delay_alu instid0(SALU_CYCLE_1)
	s_or_b32 exec_lo, exec_lo, s42
.LBB4_2135:                             ;   in Loop: Header=BB4_1885 Depth=2
	s_delay_alu instid0(SALU_CYCLE_1) | instskip(NEXT) | instid1(VALU_DEP_1)
	s_or_b32 exec_lo, exec_lo, s11
	v_mul_f32_e32 v3, s12, v3
                                        ; implicit-def: $vgpr58
	s_mov_b32 s11, exec_lo
	s_delay_alu instid0(VALU_DEP_1) | instskip(SKIP_1) | instid1(VALU_DEP_2)
	v_and_b32_e32 v38, 0x7f800000, v3
	v_lshrrev_b32_e32 v2, 24, v3
	v_cmpx_ne_u64_e32 0x7f800000, v[38:39]
	s_xor_b32 s42, exec_lo, s11
	s_cbranch_execz .LBB4_2149
; %bb.2136:                             ;   in Loop: Header=BB4_1885 Depth=2
	v_and_b32_e32 v38, 0x7fffffff, v3
	v_and_b32_e32 v2, 0x80, v2
                                        ; implicit-def: $vgpr58
	s_mov_b32 s11, exec_lo
	s_delay_alu instid0(VALU_DEP_2)
	v_cmpx_gt_u64_e32 0x43e00001, v[38:39]
	s_xor_b32 s43, exec_lo, s11
	s_cbranch_execz .LBB4_2146
; %bb.2137:                             ;   in Loop: Header=BB4_1885 Depth=2
	v_mov_b32_e32 v58, 0
	s_mov_b32 s44, exec_lo
	v_cmpx_ne_u32_e32 0, v3
	s_cbranch_execz .LBB4_2145
; %bb.2138:                             ;   in Loop: Header=BB4_1885 Depth=2
	v_bfe_u32 v98, v3, 23, 8
	v_and_b32_e32 v3, 0x7fffff, v3
	s_delay_alu instid0(VALU_DEP_2) | instskip(SKIP_1) | instid1(VALU_DEP_3)
	v_sub_nc_u32_e32 v10, 0x79, v98
	v_cmp_gt_u32_e32 vcc_lo, 0x7a, v98
	v_or_b32_e32 v20, 0x800000, v3
	s_delay_alu instid0(VALU_DEP_3) | instskip(SKIP_1) | instid1(VALU_DEP_2)
	v_cndmask_b32_e32 v10, 0, v10, vcc_lo
	v_cmp_eq_u32_e32 vcc_lo, 0, v98
	v_cndmask_b32_e64 v99, v10, 0x78, vcc_lo
	s_delay_alu instid0(VALU_DEP_4) | instskip(NEXT) | instid1(VALU_DEP_2)
	v_cndmask_b32_e32 v38, v20, v3, vcc_lo
	v_dual_add_nc_u32 v10, 20, v99 :: v_dual_add_nc_u32 v21, 19, v99
	s_delay_alu instid0(VALU_DEP_1) | instskip(NEXT) | instid1(VALU_DEP_2)
	v_lshlrev_b64_e64 v[10:11], v10, -1
	v_lshlrev_b64_e64 v[20:21], v21, 1
	s_delay_alu instid0(VALU_DEP_2) | instskip(NEXT) | instid1(VALU_DEP_3)
	v_bfi_b32 v97, v11, 0, 0
	v_bfi_b32 v96, v10, 0, v38
	v_lshrrev_b64 v[10:11], v99, v[38:39]
	s_delay_alu instid0(VALU_DEP_2) | instskip(NEXT) | instid1(VALU_DEP_2)
	v_cmp_eq_u64_e64 s11, v[96:97], v[20:21]
	v_mov_b64_e32 v[96:97], v[10:11]
	s_and_saveexec_b32 s45, s11
; %bb.2139:                             ;   in Loop: Header=BB4_1885 Depth=2
	v_bfe_u32 v38, v10, 20, 1
	s_delay_alu instid0(VALU_DEP_1) | instskip(NEXT) | instid1(VALU_DEP_1)
	v_add_nc_u64_e32 v[20:21], v[10:11], v[38:39]
	v_add_nc_u64_e32 v[96:97], -1, v[20:21]
; %bb.2140:                             ;   in Loop: Header=BB4_1885 Depth=2
	s_or_b32 exec_lo, exec_lo, s45
	v_add_nc_u32_e32 v3, 0xffffff81, v98
	v_lshrrev_b32_e32 v11, 23, v10
	s_mov_b32 s11, exec_lo
	s_delay_alu instid0(VALU_DEP_2) | instskip(NEXT) | instid1(VALU_DEP_1)
	v_cndmask_b32_e64 v3, v3, 0xffffff82, vcc_lo
	v_add3_u32 v97, v99, v3, v11
	v_and_b32_e32 v3, 0xfffff, v96
	s_delay_alu instid0(VALU_DEP_1) | instskip(NEXT) | instid1(VALU_DEP_1)
	v_dual_add_nc_u32 v96, 6, v97 :: v_dual_add_nc_u32 v38, v3, v10
                                        ; implicit-def: $vgpr10_vgpr11
                                        ; implicit-def: $vgpr3
	v_cmpx_ne_u32_e32 0, v96
	s_xor_b32 s11, exec_lo, s11
; %bb.2141:                             ;   in Loop: Header=BB4_1885 Depth=2
	s_delay_alu instid0(VALU_DEP_2) | instskip(SKIP_2) | instid1(VALU_DEP_2)
	v_cmp_lt_u64_e32 vcc_lo, 0xffffff, v[38:39]
	v_add_nc_u32_e32 v3, 7, v97
	v_cndmask_b32_e64 v10, 0, 1, vcc_lo
	v_cndmask_b32_e32 v3, v96, v3, vcc_lo
	s_delay_alu instid0(VALU_DEP_2)
	v_lshrrev_b64 v[10:11], v10, v[38:39]
; %bb.2142:                             ;   in Loop: Header=BB4_1885 Depth=2
	s_and_not1_saveexec_b32 s11, s11
; %bb.2143:                             ;   in Loop: Header=BB4_1885 Depth=2
	v_mov_b64_e32 v[10:11], v[38:39]
	v_bfe_u32 v3, v38, 23, 1
; %bb.2144:                             ;   in Loop: Header=BB4_1885 Depth=2
	s_or_b32 exec_lo, exec_lo, s11
	s_delay_alu instid0(VALU_DEP_2) | instskip(NEXT) | instid1(VALU_DEP_2)
	v_lshrrev_b64 v[10:11], 20, v[10:11]
	v_cmp_gt_i32_e32 vcc_lo, 16, v3
	v_min_i32_e32 v20, 15, v3
	v_cmp_eq_u32_e64 s11, 0, v3
	s_delay_alu instid0(VALU_DEP_2) | instskip(SKIP_1) | instid1(VALU_DEP_2)
	v_dual_cndmask_b32 v10, 7, v10, vcc_lo :: v_dual_lshlrev_b32 v20, 3, v20
	v_cndmask_b32_e32 v11, 0, v11, vcc_lo
	v_and_b32_e32 v20, 0xf8, v20
	s_delay_alu instid0(VALU_DEP_2) | instskip(NEXT) | instid1(VALU_DEP_2)
	v_cmp_eq_u64_e32 vcc_lo, 0, v[10:11]
	v_and_or_b32 v3, v10, 7, v20
	s_and_b32 s11, s11, vcc_lo
	s_delay_alu instid0(VALU_DEP_1) | instid1(SALU_CYCLE_1)
	v_cndmask_b32_e64 v3, v3, 0, s11
	s_delay_alu instid0(VALU_DEP_1)
	v_or_b32_e32 v58, v3, v2
.LBB4_2145:                             ;   in Loop: Header=BB4_1885 Depth=2
	s_or_b32 exec_lo, exec_lo, s44
                                        ; implicit-def: $vgpr2
.LBB4_2146:                             ;   in Loop: Header=BB4_1885 Depth=2
	s_and_not1_saveexec_b32 s11, s43
; %bb.2147:                             ;   in Loop: Header=BB4_1885 Depth=2
	v_or_b32_e32 v58, 0x7e, v2
; %bb.2148:                             ;   in Loop: Header=BB4_1885 Depth=2
	s_or_b32 exec_lo, exec_lo, s11
                                        ; implicit-def: $vgpr2
.LBB4_2149:                             ;   in Loop: Header=BB4_1885 Depth=2
	s_and_not1_saveexec_b32 s11, s42
; %bb.2150:                             ;   in Loop: Header=BB4_1885 Depth=2
	v_or_b32_e32 v58, 0x7f, v2
; %bb.2151:                             ;   in Loop: Header=BB4_1885 Depth=2
	s_or_b32 exec_lo, exec_lo, s11
	v_mov_b32_e32 v3, 0
	s_mov_b32 s11, exec_lo
	v_cmpx_lt_u32_e32 0xffffff, v12
	s_cbranch_execz .LBB4_2159
; %bb.2152:                             ;   in Loop: Header=BB4_1885 Depth=2
	v_lshrrev_b32_e32 v2, 24, v12
	v_bfrev_b32_e32 v3, 1
	s_mov_b32 s42, exec_lo
	s_delay_alu instid0(VALU_DEP_2)
	v_cmpx_ne_u32_e32 0x80, v2
	s_cbranch_execz .LBB4_2158
; %bb.2153:                             ;   in Loop: Header=BB4_1885 Depth=2
	v_bfe_u32 v10, v12, 24, 7
	v_mov_b32_e32 v3, 0x7f800001
	s_mov_b32 s43, exec_lo
	s_delay_alu instid0(VALU_DEP_2)
	v_cmpx_ne_u32_e32 0x7f, v10
	s_cbranch_execz .LBB4_2157
; %bb.2154:                             ;   in Loop: Header=BB4_1885 Depth=2
	v_and_b32_e32 v38, 7, v2
	v_lshrrev_b32_e32 v3, 3, v10
	s_mov_b32 s44, exec_lo
	v_cmpx_gt_u32_e32 8, v10
; %bb.2155:                             ;   in Loop: Header=BB4_1885 Depth=2
	s_delay_alu instid0(VALU_DEP_3) | instskip(NEXT) | instid1(VALU_DEP_1)
	v_clz_i32_u32_e32 v3, v38
	v_min_u32_e32 v3, 32, v3
	s_delay_alu instid0(VALU_DEP_1) | instskip(NEXT) | instid1(VALU_DEP_1)
	v_subrev_nc_u32_e32 v10, 28, v3
	v_lshlrev_b64_e32 v[10:11], v10, v[38:39]
	s_delay_alu instid0(VALU_DEP_1)
	v_dual_sub_nc_u32 v3, 29, v3 :: v_dual_bitop2_b32 v38, 7, v10 bitop3:0x40
; %bb.2156:                             ;   in Loop: Header=BB4_1885 Depth=2
	s_or_b32 exec_lo, exec_lo, s44
	v_lshlrev_b32_e32 v2, 24, v2
	s_delay_alu instid0(VALU_DEP_2) | instskip(NEXT) | instid1(VALU_DEP_3)
	v_lshlrev_b32_e32 v10, 20, v38
	v_lshl_add_u32 v3, v3, 23, 0x3c000000
	s_delay_alu instid0(VALU_DEP_3) | instskip(NEXT) | instid1(VALU_DEP_1)
	v_and_b32_e32 v2, 0x80000000, v2
	v_or3_b32 v3, v10, v2, v3
.LBB4_2157:                             ;   in Loop: Header=BB4_1885 Depth=2
	s_or_b32 exec_lo, exec_lo, s43
.LBB4_2158:                             ;   in Loop: Header=BB4_1885 Depth=2
	s_delay_alu instid0(SALU_CYCLE_1)
	s_or_b32 exec_lo, exec_lo, s42
.LBB4_2159:                             ;   in Loop: Header=BB4_1885 Depth=2
	s_delay_alu instid0(SALU_CYCLE_1) | instskip(NEXT) | instid1(VALU_DEP_1)
	s_or_b32 exec_lo, exec_lo, s11
	v_mul_f32_e32 v3, s12, v3
                                        ; implicit-def: $vgpr59
	s_mov_b32 s11, exec_lo
	s_delay_alu instid0(VALU_DEP_1) | instskip(SKIP_1) | instid1(VALU_DEP_2)
	v_and_b32_e32 v38, 0x7f800000, v3
	v_lshrrev_b32_e32 v2, 24, v3
	v_cmpx_ne_u64_e32 0x7f800000, v[38:39]
	s_xor_b32 s42, exec_lo, s11
	s_cbranch_execz .LBB4_2173
; %bb.2160:                             ;   in Loop: Header=BB4_1885 Depth=2
	v_and_b32_e32 v38, 0x7fffffff, v3
	v_and_b32_e32 v2, 0x80, v2
                                        ; implicit-def: $vgpr59
	s_mov_b32 s11, exec_lo
	s_delay_alu instid0(VALU_DEP_2)
	v_cmpx_gt_u64_e32 0x43e00001, v[38:39]
	s_xor_b32 s43, exec_lo, s11
	s_cbranch_execz .LBB4_2170
; %bb.2161:                             ;   in Loop: Header=BB4_1885 Depth=2
	v_mov_b32_e32 v59, 0
	s_mov_b32 s44, exec_lo
	v_cmpx_ne_u32_e32 0, v3
	s_cbranch_execz .LBB4_2169
; %bb.2162:                             ;   in Loop: Header=BB4_1885 Depth=2
	v_bfe_u32 v98, v3, 23, 8
	v_and_b32_e32 v3, 0x7fffff, v3
	s_delay_alu instid0(VALU_DEP_2) | instskip(SKIP_1) | instid1(VALU_DEP_3)
	v_sub_nc_u32_e32 v10, 0x79, v98
	v_cmp_gt_u32_e32 vcc_lo, 0x7a, v98
	v_or_b32_e32 v20, 0x800000, v3
	s_delay_alu instid0(VALU_DEP_3) | instskip(SKIP_1) | instid1(VALU_DEP_2)
	v_cndmask_b32_e32 v10, 0, v10, vcc_lo
	v_cmp_eq_u32_e32 vcc_lo, 0, v98
	v_cndmask_b32_e64 v99, v10, 0x78, vcc_lo
	s_delay_alu instid0(VALU_DEP_4) | instskip(NEXT) | instid1(VALU_DEP_2)
	v_cndmask_b32_e32 v38, v20, v3, vcc_lo
	v_dual_add_nc_u32 v10, 20, v99 :: v_dual_add_nc_u32 v21, 19, v99
	s_delay_alu instid0(VALU_DEP_1) | instskip(NEXT) | instid1(VALU_DEP_2)
	v_lshlrev_b64_e64 v[10:11], v10, -1
	v_lshlrev_b64_e64 v[20:21], v21, 1
	s_delay_alu instid0(VALU_DEP_2) | instskip(NEXT) | instid1(VALU_DEP_3)
	v_bfi_b32 v97, v11, 0, 0
	v_bfi_b32 v96, v10, 0, v38
	v_lshrrev_b64 v[10:11], v99, v[38:39]
	s_delay_alu instid0(VALU_DEP_2) | instskip(NEXT) | instid1(VALU_DEP_2)
	v_cmp_eq_u64_e64 s11, v[96:97], v[20:21]
	v_mov_b64_e32 v[96:97], v[10:11]
	s_and_saveexec_b32 s45, s11
; %bb.2163:                             ;   in Loop: Header=BB4_1885 Depth=2
	v_bfe_u32 v38, v10, 20, 1
	s_delay_alu instid0(VALU_DEP_1) | instskip(NEXT) | instid1(VALU_DEP_1)
	v_add_nc_u64_e32 v[20:21], v[10:11], v[38:39]
	v_add_nc_u64_e32 v[96:97], -1, v[20:21]
; %bb.2164:                             ;   in Loop: Header=BB4_1885 Depth=2
	s_or_b32 exec_lo, exec_lo, s45
	v_add_nc_u32_e32 v3, 0xffffff81, v98
	v_lshrrev_b32_e32 v11, 23, v10
	s_mov_b32 s11, exec_lo
	s_delay_alu instid0(VALU_DEP_2) | instskip(NEXT) | instid1(VALU_DEP_1)
	v_cndmask_b32_e64 v3, v3, 0xffffff82, vcc_lo
	v_add3_u32 v97, v99, v3, v11
	v_and_b32_e32 v3, 0xfffff, v96
	s_delay_alu instid0(VALU_DEP_1) | instskip(NEXT) | instid1(VALU_DEP_1)
	v_dual_add_nc_u32 v96, 6, v97 :: v_dual_add_nc_u32 v38, v3, v10
                                        ; implicit-def: $vgpr10_vgpr11
                                        ; implicit-def: $vgpr3
	v_cmpx_ne_u32_e32 0, v96
	s_xor_b32 s11, exec_lo, s11
; %bb.2165:                             ;   in Loop: Header=BB4_1885 Depth=2
	s_delay_alu instid0(VALU_DEP_2) | instskip(SKIP_2) | instid1(VALU_DEP_2)
	v_cmp_lt_u64_e32 vcc_lo, 0xffffff, v[38:39]
	v_add_nc_u32_e32 v3, 7, v97
	v_cndmask_b32_e64 v10, 0, 1, vcc_lo
	v_cndmask_b32_e32 v3, v96, v3, vcc_lo
	s_delay_alu instid0(VALU_DEP_2)
	v_lshrrev_b64 v[10:11], v10, v[38:39]
; %bb.2166:                             ;   in Loop: Header=BB4_1885 Depth=2
	s_and_not1_saveexec_b32 s11, s11
; %bb.2167:                             ;   in Loop: Header=BB4_1885 Depth=2
	v_mov_b64_e32 v[10:11], v[38:39]
	v_bfe_u32 v3, v38, 23, 1
; %bb.2168:                             ;   in Loop: Header=BB4_1885 Depth=2
	s_or_b32 exec_lo, exec_lo, s11
	s_delay_alu instid0(VALU_DEP_2) | instskip(NEXT) | instid1(VALU_DEP_2)
	v_lshrrev_b64 v[10:11], 20, v[10:11]
	v_cmp_gt_i32_e32 vcc_lo, 16, v3
	v_min_i32_e32 v20, 15, v3
	v_cmp_eq_u32_e64 s11, 0, v3
	s_delay_alu instid0(VALU_DEP_2) | instskip(SKIP_1) | instid1(VALU_DEP_2)
	v_dual_cndmask_b32 v10, 7, v10, vcc_lo :: v_dual_lshlrev_b32 v20, 3, v20
	v_cndmask_b32_e32 v11, 0, v11, vcc_lo
	v_and_b32_e32 v20, 0xf8, v20
	s_delay_alu instid0(VALU_DEP_2) | instskip(NEXT) | instid1(VALU_DEP_2)
	v_cmp_eq_u64_e32 vcc_lo, 0, v[10:11]
	v_and_or_b32 v3, v10, 7, v20
	s_and_b32 s11, s11, vcc_lo
	s_delay_alu instid0(VALU_DEP_1) | instid1(SALU_CYCLE_1)
	v_cndmask_b32_e64 v3, v3, 0, s11
	s_delay_alu instid0(VALU_DEP_1)
	v_or_b32_e32 v59, v3, v2
.LBB4_2169:                             ;   in Loop: Header=BB4_1885 Depth=2
	s_or_b32 exec_lo, exec_lo, s44
                                        ; implicit-def: $vgpr2
.LBB4_2170:                             ;   in Loop: Header=BB4_1885 Depth=2
	s_and_not1_saveexec_b32 s11, s43
; %bb.2171:                             ;   in Loop: Header=BB4_1885 Depth=2
	v_or_b32_e32 v59, 0x7e, v2
; %bb.2172:                             ;   in Loop: Header=BB4_1885 Depth=2
	s_or_b32 exec_lo, exec_lo, s11
                                        ; implicit-def: $vgpr2
.LBB4_2173:                             ;   in Loop: Header=BB4_1885 Depth=2
	s_and_not1_saveexec_b32 s11, s42
; %bb.2174:                             ;   in Loop: Header=BB4_1885 Depth=2
	v_or_b32_e32 v59, 0x7f, v2
; %bb.2175:                             ;   in Loop: Header=BB4_1885 Depth=2
	s_or_b32 exec_lo, exec_lo, s11
	v_and_b32_e32 v3, 0xff, v13
	v_dual_mov_b32 v38, v13 :: v_dual_mov_b32 v2, 0
	s_mov_b32 s11, exec_lo
	s_delay_alu instid0(VALU_DEP_2)
	v_cmpx_ne_u16_e32 0, v3
	s_cbranch_execz .LBB4_2181
; %bb.2176:                             ;   in Loop: Header=BB4_1885 Depth=2
	v_bfrev_b32_e32 v2, 1
	s_mov_b32 s42, exec_lo
	v_cmpx_ne_u16_e32 0x80, v3
	s_cbranch_execz .LBB4_2180
; %bb.2177:                             ;   in Loop: Header=BB4_1885 Depth=2
	v_and_b32_e32 v3, 0x7f, v13
	v_mov_b32_e32 v2, 0x7f800001
	s_mov_b32 s43, exec_lo
	s_delay_alu instid0(VALU_DEP_2)
	v_cmpx_ne_u32_e32 0x7f, v3
	s_cbranch_execz .LBB4_2179
; %bb.2178:                             ;   in Loop: Header=BB4_1885 Depth=2
	v_dual_lshrrev_b32 v10, 3, v3 :: v_dual_bitop2_b32 v2, 7, v13 bitop3:0x40
	v_cmp_gt_u32_e32 vcc_lo, 8, v3
	s_delay_alu instid0(VALU_DEP_2) | instskip(NEXT) | instid1(VALU_DEP_1)
	v_clz_i32_u32_e32 v2, v2
	v_min_u32_e32 v2, 32, v2
	s_delay_alu instid0(VALU_DEP_1) | instskip(SKIP_1) | instid1(VALU_DEP_1)
	v_subrev_nc_u32_e32 v11, 28, v2
	v_sub_nc_u32_e32 v2, 29, v2
	v_dual_cndmask_b32 v10, v10, v2, vcc_lo :: v_dual_cndmask_b32 v2, 0, v11, vcc_lo
	s_delay_alu instid0(VALU_DEP_1) | instskip(NEXT) | instid1(VALU_DEP_2)
	v_lshl_add_u32 v10, v10, 23, 0x3c000000
	v_lshlrev_b64_e32 v[2:3], v2, v[38:39]
	v_lshlrev_b32_e32 v3, 24, v38
	s_delay_alu instid0(VALU_DEP_1) | instskip(NEXT) | instid1(VALU_DEP_3)
	v_and_b32_e32 v3, 0x80000000, v3
	v_lshlrev_b32_e32 v2, 20, v2
	s_delay_alu instid0(VALU_DEP_1) | instskip(NEXT) | instid1(VALU_DEP_1)
	v_and_b32_e32 v2, 0x700000, v2
	v_or3_b32 v2, v2, v3, v10
.LBB4_2179:                             ;   in Loop: Header=BB4_1885 Depth=2
	s_or_b32 exec_lo, exec_lo, s43
.LBB4_2180:                             ;   in Loop: Header=BB4_1885 Depth=2
	s_delay_alu instid0(SALU_CYCLE_1)
	s_or_b32 exec_lo, exec_lo, s42
.LBB4_2181:                             ;   in Loop: Header=BB4_1885 Depth=2
	s_delay_alu instid0(SALU_CYCLE_1) | instskip(NEXT) | instid1(VALU_DEP_1)
	s_or_b32 exec_lo, exec_lo, s11
	v_dual_mul_f32 v3, s12, v2 :: v_dual_mov_b32 v11, v39
                                        ; implicit-def: $vgpr41
	s_mov_b32 s11, exec_lo
	s_delay_alu instid0(VALU_DEP_1) | instskip(SKIP_1) | instid1(VALU_DEP_2)
	v_and_b32_e32 v10, 0x7f800000, v3
	v_lshrrev_b32_e32 v2, 24, v3
	v_cmpx_ne_u64_e32 0x7f800000, v[10:11]
	s_xor_b32 s42, exec_lo, s11
	s_cbranch_execz .LBB4_2195
; %bb.2182:                             ;   in Loop: Header=BB4_1885 Depth=2
	v_and_b32_e32 v10, 0x7fffffff, v3
	v_mov_b32_e32 v11, v39
	v_and_b32_e32 v2, 0x80, v2
                                        ; implicit-def: $vgpr41
	s_mov_b32 s11, exec_lo
	s_delay_alu instid0(VALU_DEP_2)
	v_cmpx_gt_u64_e32 0x43e00001, v[10:11]
	s_xor_b32 s43, exec_lo, s11
	s_cbranch_execz .LBB4_2192
; %bb.2183:                             ;   in Loop: Header=BB4_1885 Depth=2
	v_mov_b32_e32 v41, 0
	s_mov_b32 s44, exec_lo
	v_cmpx_ne_u32_e32 0, v3
	s_cbranch_execz .LBB4_2191
; %bb.2184:                             ;   in Loop: Header=BB4_1885 Depth=2
	v_bfe_u32 v98, v3, 23, 8
	v_and_b32_e32 v3, 0x7fffff, v3
	s_delay_alu instid0(VALU_DEP_2) | instskip(SKIP_1) | instid1(VALU_DEP_3)
	v_dual_mov_b32 v21, v39 :: v_dual_sub_nc_u32 v10, 0x79, v98
	v_cmp_gt_u32_e32 vcc_lo, 0x7a, v98
	v_or_b32_e32 v20, 0x800000, v3
	s_delay_alu instid0(VALU_DEP_3) | instskip(SKIP_1) | instid1(VALU_DEP_2)
	v_cndmask_b32_e32 v10, 0, v10, vcc_lo
	v_cmp_eq_u32_e32 vcc_lo, 0, v98
	v_cndmask_b32_e64 v99, v10, 0x78, vcc_lo
	s_delay_alu instid0(VALU_DEP_4) | instskip(NEXT) | instid1(VALU_DEP_2)
	v_cndmask_b32_e32 v20, v20, v3, vcc_lo
	v_dual_add_nc_u32 v10, 20, v99 :: v_dual_add_nc_u32 v96, 19, v99
	s_delay_alu instid0(VALU_DEP_1) | instskip(NEXT) | instid1(VALU_DEP_2)
	v_lshlrev_b64_e64 v[10:11], v10, -1
	v_lshlrev_b64_e64 v[96:97], v96, 1
	s_delay_alu instid0(VALU_DEP_2) | instskip(NEXT) | instid1(VALU_DEP_3)
	v_bfi_b32 v57, v11, 0, 0
	v_bfi_b32 v56, v10, 0, v20
	v_lshrrev_b64 v[10:11], v99, v[20:21]
	s_delay_alu instid0(VALU_DEP_2) | instskip(NEXT) | instid1(VALU_DEP_2)
	v_cmp_eq_u64_e64 s11, v[56:57], v[96:97]
	v_mov_b64_e32 v[96:97], v[10:11]
	s_and_saveexec_b32 s45, s11
; %bb.2185:                             ;   in Loop: Header=BB4_1885 Depth=2
	v_bfe_u32 v20, v10, 20, 1
	v_mov_b32_e32 v21, v39
	s_delay_alu instid0(VALU_DEP_1) | instskip(NEXT) | instid1(VALU_DEP_1)
	v_add_nc_u64_e32 v[20:21], v[10:11], v[20:21]
	v_add_nc_u64_e32 v[96:97], -1, v[20:21]
; %bb.2186:                             ;   in Loop: Header=BB4_1885 Depth=2
	s_or_b32 exec_lo, exec_lo, s45
	v_add_nc_u32_e32 v3, 0xffffff81, v98
	v_lshrrev_b32_e32 v11, 23, v10
	s_mov_b32 s11, exec_lo
	s_delay_alu instid0(VALU_DEP_2) | instskip(NEXT) | instid1(VALU_DEP_1)
	v_cndmask_b32_e64 v3, v3, 0xffffff82, vcc_lo
	v_add3_u32 v97, v99, v3, v11
	v_and_b32_e32 v3, 0xfffff, v96
	s_delay_alu instid0(VALU_DEP_2) | instskip(NEXT) | instid1(VALU_DEP_2)
	v_dual_mov_b32 v11, v39 :: v_dual_add_nc_u32 v96, 6, v97
	v_add_nc_u32_e32 v10, v3, v10
                                        ; implicit-def: $vgpr3
	s_delay_alu instid0(VALU_DEP_2)
	v_cmpx_ne_u32_e32 0, v96
	s_xor_b32 s11, exec_lo, s11
; %bb.2187:                             ;   in Loop: Header=BB4_1885 Depth=2
	s_delay_alu instid0(VALU_DEP_2) | instskip(SKIP_2) | instid1(VALU_DEP_2)
	v_cmp_lt_u64_e32 vcc_lo, 0xffffff, v[10:11]
	v_add_nc_u32_e32 v3, 7, v97
	v_cndmask_b32_e64 v20, 0, 1, vcc_lo
	v_cndmask_b32_e32 v3, v96, v3, vcc_lo
	s_delay_alu instid0(VALU_DEP_2)
	v_lshrrev_b64 v[10:11], v20, v[10:11]
; %bb.2188:                             ;   in Loop: Header=BB4_1885 Depth=2
	s_and_not1_saveexec_b32 s11, s11
; %bb.2189:                             ;   in Loop: Header=BB4_1885 Depth=2
	s_delay_alu instid0(VALU_DEP_1)
	v_bfe_u32 v3, v10, 23, 1
; %bb.2190:                             ;   in Loop: Header=BB4_1885 Depth=2
	s_or_b32 exec_lo, exec_lo, s11
	s_delay_alu instid0(VALU_DEP_2) | instskip(NEXT) | instid1(VALU_DEP_2)
	v_lshrrev_b64 v[10:11], 20, v[10:11]
	v_cmp_gt_i32_e32 vcc_lo, 16, v3
	v_min_i32_e32 v20, 15, v3
	v_cmp_eq_u32_e64 s11, 0, v3
	s_delay_alu instid0(VALU_DEP_2) | instskip(SKIP_1) | instid1(VALU_DEP_2)
	v_dual_cndmask_b32 v10, 7, v10, vcc_lo :: v_dual_lshlrev_b32 v20, 3, v20
	v_cndmask_b32_e32 v11, 0, v11, vcc_lo
	v_and_b32_e32 v20, 0xf8, v20
	s_delay_alu instid0(VALU_DEP_2) | instskip(NEXT) | instid1(VALU_DEP_2)
	v_cmp_eq_u64_e32 vcc_lo, 0, v[10:11]
	v_and_or_b32 v3, v10, 7, v20
	s_and_b32 s11, s11, vcc_lo
	s_delay_alu instid0(VALU_DEP_1) | instid1(SALU_CYCLE_1)
	v_cndmask_b32_e64 v3, v3, 0, s11
	s_delay_alu instid0(VALU_DEP_1)
	v_or_b32_e32 v41, v3, v2
.LBB4_2191:                             ;   in Loop: Header=BB4_1885 Depth=2
	s_or_b32 exec_lo, exec_lo, s44
                                        ; implicit-def: $vgpr2
.LBB4_2192:                             ;   in Loop: Header=BB4_1885 Depth=2
	s_and_not1_saveexec_b32 s11, s43
; %bb.2193:                             ;   in Loop: Header=BB4_1885 Depth=2
	v_or_b32_e32 v41, 0x7e, v2
; %bb.2194:                             ;   in Loop: Header=BB4_1885 Depth=2
	s_or_b32 exec_lo, exec_lo, s11
                                        ; implicit-def: $vgpr2
.LBB4_2195:                             ;   in Loop: Header=BB4_1885 Depth=2
	s_and_not1_saveexec_b32 s11, s42
; %bb.2196:                             ;   in Loop: Header=BB4_1885 Depth=2
	v_or_b32_e32 v41, 0x7f, v2
; %bb.2197:                             ;   in Loop: Header=BB4_1885 Depth=2
	s_or_b32 exec_lo, exec_lo, s11
	v_lshrrev_b16 v3, 8, v38
	v_mov_b32_e32 v2, 0
	s_mov_b32 s11, exec_lo
	s_delay_alu instid0(VALU_DEP_2)
	v_cmpx_ne_u16_e32 0, v3
	s_cbranch_execz .LBB4_2205
; %bb.2198:                             ;   in Loop: Header=BB4_1885 Depth=2
	v_bfrev_b32_e32 v2, 1
	s_mov_b32 s42, exec_lo
	v_cmpx_ne_u16_e32 0x80, v3
	s_cbranch_execz .LBB4_2204
; %bb.2199:                             ;   in Loop: Header=BB4_1885 Depth=2
	v_and_b32_e32 v10, 0xffff, v3
	v_mov_b32_e32 v2, 0x7f800001
	s_mov_b32 s43, exec_lo
	s_delay_alu instid0(VALU_DEP_2) | instskip(NEXT) | instid1(VALU_DEP_1)
	v_and_b32_e32 v3, 0x7f, v10
	v_cmpx_ne_u32_e32 0x7f, v3
	s_cbranch_execz .LBB4_2203
; %bb.2200:                             ;   in Loop: Header=BB4_1885 Depth=2
	v_dual_mov_b32 v11, v39 :: v_dual_bitop2_b32 v10, 7, v10 bitop3:0x40
	v_lshrrev_b32_e32 v2, 3, v3
	s_mov_b32 s44, exec_lo
	v_cmpx_gt_u32_e32 8, v3
; %bb.2201:                             ;   in Loop: Header=BB4_1885 Depth=2
	s_delay_alu instid0(VALU_DEP_3) | instskip(NEXT) | instid1(VALU_DEP_1)
	v_clz_i32_u32_e32 v2, v10
	v_min_u32_e32 v2, 32, v2
	s_delay_alu instid0(VALU_DEP_1) | instskip(SKIP_1) | instid1(VALU_DEP_2)
	v_subrev_nc_u32_e32 v3, 28, v2
	v_sub_nc_u32_e32 v2, 29, v2
	v_lshlrev_b64_e32 v[10:11], v3, v[10:11]
	s_delay_alu instid0(VALU_DEP_1)
	v_and_b32_e32 v10, 7, v10
; %bb.2202:                             ;   in Loop: Header=BB4_1885 Depth=2
	s_or_b32 exec_lo, exec_lo, s44
	v_lshlrev_b32_e32 v3, 16, v38
	s_delay_alu instid0(VALU_DEP_2) | instskip(SKIP_1) | instid1(VALU_DEP_3)
	v_lshlrev_b32_e32 v10, 20, v10
	v_lshl_add_u32 v2, v2, 23, 0x3c000000
	v_and_b32_e32 v3, 0x80000000, v3
	s_delay_alu instid0(VALU_DEP_1)
	v_or3_b32 v2, v10, v3, v2
.LBB4_2203:                             ;   in Loop: Header=BB4_1885 Depth=2
	s_or_b32 exec_lo, exec_lo, s43
.LBB4_2204:                             ;   in Loop: Header=BB4_1885 Depth=2
	s_delay_alu instid0(SALU_CYCLE_1)
	s_or_b32 exec_lo, exec_lo, s42
.LBB4_2205:                             ;   in Loop: Header=BB4_1885 Depth=2
	s_delay_alu instid0(SALU_CYCLE_1) | instskip(NEXT) | instid1(VALU_DEP_1)
	s_or_b32 exec_lo, exec_lo, s11
	v_mul_f32_e32 v3, s12, v2
                                        ; implicit-def: $vgpr43
	s_mov_b32 s11, exec_lo
	s_delay_alu instid0(VALU_DEP_1) | instskip(SKIP_1) | instid1(VALU_DEP_2)
	v_and_b32_e32 v38, 0x7f800000, v3
	v_lshrrev_b32_e32 v2, 24, v3
	v_cmpx_ne_u64_e32 0x7f800000, v[38:39]
	s_xor_b32 s42, exec_lo, s11
	s_cbranch_execz .LBB4_2219
; %bb.2206:                             ;   in Loop: Header=BB4_1885 Depth=2
	v_and_b32_e32 v38, 0x7fffffff, v3
	v_and_b32_e32 v2, 0x80, v2
                                        ; implicit-def: $vgpr43
	s_mov_b32 s11, exec_lo
	s_delay_alu instid0(VALU_DEP_2)
	v_cmpx_gt_u64_e32 0x43e00001, v[38:39]
	s_xor_b32 s43, exec_lo, s11
	s_cbranch_execz .LBB4_2216
; %bb.2207:                             ;   in Loop: Header=BB4_1885 Depth=2
	v_mov_b32_e32 v43, 0
	s_mov_b32 s44, exec_lo
	v_cmpx_ne_u32_e32 0, v3
	s_cbranch_execz .LBB4_2215
; %bb.2208:                             ;   in Loop: Header=BB4_1885 Depth=2
	v_bfe_u32 v98, v3, 23, 8
	v_and_b32_e32 v3, 0x7fffff, v3
	s_delay_alu instid0(VALU_DEP_2) | instskip(SKIP_1) | instid1(VALU_DEP_3)
	v_sub_nc_u32_e32 v10, 0x79, v98
	v_cmp_gt_u32_e32 vcc_lo, 0x7a, v98
	v_or_b32_e32 v20, 0x800000, v3
	s_delay_alu instid0(VALU_DEP_3) | instskip(SKIP_1) | instid1(VALU_DEP_2)
	v_cndmask_b32_e32 v10, 0, v10, vcc_lo
	v_cmp_eq_u32_e32 vcc_lo, 0, v98
	v_cndmask_b32_e64 v99, v10, 0x78, vcc_lo
	s_delay_alu instid0(VALU_DEP_4) | instskip(NEXT) | instid1(VALU_DEP_2)
	v_cndmask_b32_e32 v38, v20, v3, vcc_lo
	v_dual_add_nc_u32 v10, 20, v99 :: v_dual_add_nc_u32 v21, 19, v99
	s_delay_alu instid0(VALU_DEP_1) | instskip(NEXT) | instid1(VALU_DEP_2)
	v_lshlrev_b64_e64 v[10:11], v10, -1
	v_lshlrev_b64_e64 v[20:21], v21, 1
	s_delay_alu instid0(VALU_DEP_2) | instskip(NEXT) | instid1(VALU_DEP_3)
	v_bfi_b32 v97, v11, 0, 0
	v_bfi_b32 v96, v10, 0, v38
	v_lshrrev_b64 v[10:11], v99, v[38:39]
	s_delay_alu instid0(VALU_DEP_2) | instskip(NEXT) | instid1(VALU_DEP_2)
	v_cmp_eq_u64_e64 s11, v[96:97], v[20:21]
	v_mov_b64_e32 v[96:97], v[10:11]
	s_and_saveexec_b32 s45, s11
; %bb.2209:                             ;   in Loop: Header=BB4_1885 Depth=2
	v_bfe_u32 v38, v10, 20, 1
	s_delay_alu instid0(VALU_DEP_1) | instskip(NEXT) | instid1(VALU_DEP_1)
	v_add_nc_u64_e32 v[20:21], v[10:11], v[38:39]
	v_add_nc_u64_e32 v[96:97], -1, v[20:21]
; %bb.2210:                             ;   in Loop: Header=BB4_1885 Depth=2
	s_or_b32 exec_lo, exec_lo, s45
	v_add_nc_u32_e32 v3, 0xffffff81, v98
	v_lshrrev_b32_e32 v11, 23, v10
	s_mov_b32 s11, exec_lo
	s_delay_alu instid0(VALU_DEP_2) | instskip(NEXT) | instid1(VALU_DEP_1)
	v_cndmask_b32_e64 v3, v3, 0xffffff82, vcc_lo
	v_add3_u32 v97, v99, v3, v11
	v_and_b32_e32 v3, 0xfffff, v96
	s_delay_alu instid0(VALU_DEP_1) | instskip(NEXT) | instid1(VALU_DEP_1)
	v_dual_add_nc_u32 v96, 6, v97 :: v_dual_add_nc_u32 v38, v3, v10
                                        ; implicit-def: $vgpr10_vgpr11
                                        ; implicit-def: $vgpr3
	v_cmpx_ne_u32_e32 0, v96
	s_xor_b32 s11, exec_lo, s11
; %bb.2211:                             ;   in Loop: Header=BB4_1885 Depth=2
	s_delay_alu instid0(VALU_DEP_2) | instskip(SKIP_2) | instid1(VALU_DEP_2)
	v_cmp_lt_u64_e32 vcc_lo, 0xffffff, v[38:39]
	v_add_nc_u32_e32 v3, 7, v97
	v_cndmask_b32_e64 v10, 0, 1, vcc_lo
	v_cndmask_b32_e32 v3, v96, v3, vcc_lo
	s_delay_alu instid0(VALU_DEP_2)
	v_lshrrev_b64 v[10:11], v10, v[38:39]
; %bb.2212:                             ;   in Loop: Header=BB4_1885 Depth=2
	s_and_not1_saveexec_b32 s11, s11
; %bb.2213:                             ;   in Loop: Header=BB4_1885 Depth=2
	v_mov_b64_e32 v[10:11], v[38:39]
	v_bfe_u32 v3, v38, 23, 1
; %bb.2214:                             ;   in Loop: Header=BB4_1885 Depth=2
	s_or_b32 exec_lo, exec_lo, s11
	s_delay_alu instid0(VALU_DEP_2) | instskip(NEXT) | instid1(VALU_DEP_2)
	v_lshrrev_b64 v[10:11], 20, v[10:11]
	v_cmp_gt_i32_e32 vcc_lo, 16, v3
	v_min_i32_e32 v20, 15, v3
	v_cmp_eq_u32_e64 s11, 0, v3
	s_delay_alu instid0(VALU_DEP_2) | instskip(SKIP_1) | instid1(VALU_DEP_2)
	v_dual_cndmask_b32 v10, 7, v10, vcc_lo :: v_dual_lshlrev_b32 v20, 3, v20
	v_cndmask_b32_e32 v11, 0, v11, vcc_lo
	v_and_b32_e32 v20, 0xf8, v20
	s_delay_alu instid0(VALU_DEP_2) | instskip(NEXT) | instid1(VALU_DEP_2)
	v_cmp_eq_u64_e32 vcc_lo, 0, v[10:11]
	v_and_or_b32 v3, v10, 7, v20
	s_and_b32 s11, s11, vcc_lo
	s_delay_alu instid0(VALU_DEP_1) | instid1(SALU_CYCLE_1)
	v_cndmask_b32_e64 v3, v3, 0, s11
	s_delay_alu instid0(VALU_DEP_1)
	v_or_b32_e32 v43, v3, v2
.LBB4_2215:                             ;   in Loop: Header=BB4_1885 Depth=2
	s_or_b32 exec_lo, exec_lo, s44
                                        ; implicit-def: $vgpr2
.LBB4_2216:                             ;   in Loop: Header=BB4_1885 Depth=2
	s_and_not1_saveexec_b32 s11, s43
; %bb.2217:                             ;   in Loop: Header=BB4_1885 Depth=2
	v_or_b32_e32 v43, 0x7e, v2
; %bb.2218:                             ;   in Loop: Header=BB4_1885 Depth=2
	s_or_b32 exec_lo, exec_lo, s11
                                        ; implicit-def: $vgpr2
.LBB4_2219:                             ;   in Loop: Header=BB4_1885 Depth=2
	s_and_not1_saveexec_b32 s11, s42
; %bb.2220:                             ;   in Loop: Header=BB4_1885 Depth=2
	v_or_b32_e32 v43, 0x7f, v2
; %bb.2221:                             ;   in Loop: Header=BB4_1885 Depth=2
	s_or_b32 exec_lo, exec_lo, s11
	v_dual_mov_b32 v3, 0 :: v_dual_lshrrev_b32 v2, 16, v13
	s_mov_b32 s11, exec_lo
	s_delay_alu instid0(VALU_DEP_1) | instskip(NEXT) | instid1(VALU_DEP_1)
	v_and_b32_e32 v10, 0xff, v2
	v_cmpx_ne_u16_e32 0, v10
	s_cbranch_execz .LBB4_2229
; %bb.2222:                             ;   in Loop: Header=BB4_1885 Depth=2
	v_bfrev_b32_e32 v3, 1
	s_mov_b32 s42, exec_lo
	v_cmpx_ne_u16_e32 0x80, v10
	s_cbranch_execz .LBB4_2228
; %bb.2223:                             ;   in Loop: Header=BB4_1885 Depth=2
	v_bfe_u32 v10, v13, 16, 7
	v_mov_b32_e32 v3, 0x7f800001
	s_mov_b32 s43, exec_lo
	s_delay_alu instid0(VALU_DEP_2)
	v_cmpx_ne_u32_e32 0x7f, v10
	s_cbranch_execz .LBB4_2227
; %bb.2224:                             ;   in Loop: Header=BB4_1885 Depth=2
	v_and_b32_e32 v38, 7, v2
	v_lshrrev_b32_e32 v3, 3, v10
	s_mov_b32 s44, exec_lo
	v_cmpx_gt_u32_e32 8, v10
; %bb.2225:                             ;   in Loop: Header=BB4_1885 Depth=2
	s_delay_alu instid0(VALU_DEP_3) | instskip(NEXT) | instid1(VALU_DEP_1)
	v_clz_i32_u32_e32 v3, v38
	v_min_u32_e32 v3, 32, v3
	s_delay_alu instid0(VALU_DEP_1) | instskip(NEXT) | instid1(VALU_DEP_1)
	v_subrev_nc_u32_e32 v10, 28, v3
	v_lshlrev_b64_e32 v[10:11], v10, v[38:39]
	s_delay_alu instid0(VALU_DEP_1)
	v_dual_sub_nc_u32 v3, 29, v3 :: v_dual_bitop2_b32 v38, 7, v10 bitop3:0x40
; %bb.2226:                             ;   in Loop: Header=BB4_1885 Depth=2
	s_or_b32 exec_lo, exec_lo, s44
	v_lshlrev_b32_e32 v2, 24, v2
	s_delay_alu instid0(VALU_DEP_2) | instskip(NEXT) | instid1(VALU_DEP_3)
	v_lshlrev_b32_e32 v10, 20, v38
	v_lshl_add_u32 v3, v3, 23, 0x3c000000
	s_delay_alu instid0(VALU_DEP_3) | instskip(NEXT) | instid1(VALU_DEP_1)
	v_and_b32_e32 v2, 0x80000000, v2
	v_or3_b32 v3, v10, v2, v3
.LBB4_2227:                             ;   in Loop: Header=BB4_1885 Depth=2
	s_or_b32 exec_lo, exec_lo, s43
.LBB4_2228:                             ;   in Loop: Header=BB4_1885 Depth=2
	s_delay_alu instid0(SALU_CYCLE_1)
	s_or_b32 exec_lo, exec_lo, s42
.LBB4_2229:                             ;   in Loop: Header=BB4_1885 Depth=2
	s_delay_alu instid0(SALU_CYCLE_1) | instskip(NEXT) | instid1(VALU_DEP_1)
	s_or_b32 exec_lo, exec_lo, s11
	v_mul_f32_e32 v3, s12, v3
                                        ; implicit-def: $vgpr46
	s_mov_b32 s11, exec_lo
	s_delay_alu instid0(VALU_DEP_1) | instskip(SKIP_1) | instid1(VALU_DEP_2)
	v_and_b32_e32 v38, 0x7f800000, v3
	v_lshrrev_b32_e32 v2, 24, v3
	v_cmpx_ne_u64_e32 0x7f800000, v[38:39]
	s_xor_b32 s42, exec_lo, s11
	s_cbranch_execz .LBB4_2243
; %bb.2230:                             ;   in Loop: Header=BB4_1885 Depth=2
	v_and_b32_e32 v38, 0x7fffffff, v3
	v_and_b32_e32 v2, 0x80, v2
                                        ; implicit-def: $vgpr46
	s_mov_b32 s11, exec_lo
	s_delay_alu instid0(VALU_DEP_2)
	v_cmpx_gt_u64_e32 0x43e00001, v[38:39]
	s_xor_b32 s43, exec_lo, s11
	s_cbranch_execz .LBB4_2240
; %bb.2231:                             ;   in Loop: Header=BB4_1885 Depth=2
	v_mov_b32_e32 v46, 0
	s_mov_b32 s44, exec_lo
	v_cmpx_ne_u32_e32 0, v3
	s_cbranch_execz .LBB4_2239
; %bb.2232:                             ;   in Loop: Header=BB4_1885 Depth=2
	v_bfe_u32 v98, v3, 23, 8
	v_and_b32_e32 v3, 0x7fffff, v3
	s_delay_alu instid0(VALU_DEP_2) | instskip(SKIP_1) | instid1(VALU_DEP_3)
	v_sub_nc_u32_e32 v10, 0x79, v98
	v_cmp_gt_u32_e32 vcc_lo, 0x7a, v98
	v_or_b32_e32 v20, 0x800000, v3
	s_delay_alu instid0(VALU_DEP_3) | instskip(SKIP_1) | instid1(VALU_DEP_2)
	v_cndmask_b32_e32 v10, 0, v10, vcc_lo
	v_cmp_eq_u32_e32 vcc_lo, 0, v98
	v_cndmask_b32_e64 v99, v10, 0x78, vcc_lo
	s_delay_alu instid0(VALU_DEP_4) | instskip(NEXT) | instid1(VALU_DEP_2)
	v_cndmask_b32_e32 v38, v20, v3, vcc_lo
	v_dual_add_nc_u32 v10, 20, v99 :: v_dual_add_nc_u32 v21, 19, v99
	s_delay_alu instid0(VALU_DEP_1) | instskip(NEXT) | instid1(VALU_DEP_2)
	v_lshlrev_b64_e64 v[10:11], v10, -1
	v_lshlrev_b64_e64 v[20:21], v21, 1
	s_delay_alu instid0(VALU_DEP_2) | instskip(NEXT) | instid1(VALU_DEP_3)
	v_bfi_b32 v97, v11, 0, 0
	v_bfi_b32 v96, v10, 0, v38
	v_lshrrev_b64 v[10:11], v99, v[38:39]
	s_delay_alu instid0(VALU_DEP_2) | instskip(NEXT) | instid1(VALU_DEP_2)
	v_cmp_eq_u64_e64 s11, v[96:97], v[20:21]
	v_mov_b64_e32 v[96:97], v[10:11]
	s_and_saveexec_b32 s45, s11
; %bb.2233:                             ;   in Loop: Header=BB4_1885 Depth=2
	v_bfe_u32 v38, v10, 20, 1
	s_delay_alu instid0(VALU_DEP_1) | instskip(NEXT) | instid1(VALU_DEP_1)
	v_add_nc_u64_e32 v[20:21], v[10:11], v[38:39]
	v_add_nc_u64_e32 v[96:97], -1, v[20:21]
; %bb.2234:                             ;   in Loop: Header=BB4_1885 Depth=2
	s_or_b32 exec_lo, exec_lo, s45
	v_add_nc_u32_e32 v3, 0xffffff81, v98
	v_lshrrev_b32_e32 v11, 23, v10
	s_mov_b32 s11, exec_lo
	s_delay_alu instid0(VALU_DEP_2) | instskip(NEXT) | instid1(VALU_DEP_1)
	v_cndmask_b32_e64 v3, v3, 0xffffff82, vcc_lo
	v_add3_u32 v97, v99, v3, v11
	v_and_b32_e32 v3, 0xfffff, v96
	s_delay_alu instid0(VALU_DEP_1) | instskip(NEXT) | instid1(VALU_DEP_1)
	v_dual_add_nc_u32 v96, 6, v97 :: v_dual_add_nc_u32 v38, v3, v10
                                        ; implicit-def: $vgpr10_vgpr11
                                        ; implicit-def: $vgpr3
	v_cmpx_ne_u32_e32 0, v96
	s_xor_b32 s11, exec_lo, s11
; %bb.2235:                             ;   in Loop: Header=BB4_1885 Depth=2
	s_delay_alu instid0(VALU_DEP_2) | instskip(SKIP_2) | instid1(VALU_DEP_2)
	v_cmp_lt_u64_e32 vcc_lo, 0xffffff, v[38:39]
	v_add_nc_u32_e32 v3, 7, v97
	v_cndmask_b32_e64 v10, 0, 1, vcc_lo
	v_cndmask_b32_e32 v3, v96, v3, vcc_lo
	s_delay_alu instid0(VALU_DEP_2)
	v_lshrrev_b64 v[10:11], v10, v[38:39]
; %bb.2236:                             ;   in Loop: Header=BB4_1885 Depth=2
	s_and_not1_saveexec_b32 s11, s11
; %bb.2237:                             ;   in Loop: Header=BB4_1885 Depth=2
	v_mov_b64_e32 v[10:11], v[38:39]
	v_bfe_u32 v3, v38, 23, 1
; %bb.2238:                             ;   in Loop: Header=BB4_1885 Depth=2
	s_or_b32 exec_lo, exec_lo, s11
	s_delay_alu instid0(VALU_DEP_2) | instskip(NEXT) | instid1(VALU_DEP_2)
	v_lshrrev_b64 v[10:11], 20, v[10:11]
	v_cmp_gt_i32_e32 vcc_lo, 16, v3
	v_min_i32_e32 v20, 15, v3
	v_cmp_eq_u32_e64 s11, 0, v3
	s_delay_alu instid0(VALU_DEP_2) | instskip(SKIP_1) | instid1(VALU_DEP_2)
	v_dual_cndmask_b32 v10, 7, v10, vcc_lo :: v_dual_lshlrev_b32 v20, 3, v20
	v_cndmask_b32_e32 v11, 0, v11, vcc_lo
	v_and_b32_e32 v20, 0xf8, v20
	s_delay_alu instid0(VALU_DEP_2) | instskip(NEXT) | instid1(VALU_DEP_2)
	v_cmp_eq_u64_e32 vcc_lo, 0, v[10:11]
	v_and_or_b32 v3, v10, 7, v20
	s_and_b32 s11, s11, vcc_lo
	s_delay_alu instid0(VALU_DEP_1) | instid1(SALU_CYCLE_1)
	v_cndmask_b32_e64 v3, v3, 0, s11
	s_delay_alu instid0(VALU_DEP_1)
	v_or_b32_e32 v46, v3, v2
.LBB4_2239:                             ;   in Loop: Header=BB4_1885 Depth=2
	s_or_b32 exec_lo, exec_lo, s44
                                        ; implicit-def: $vgpr2
.LBB4_2240:                             ;   in Loop: Header=BB4_1885 Depth=2
	s_and_not1_saveexec_b32 s11, s43
; %bb.2241:                             ;   in Loop: Header=BB4_1885 Depth=2
	v_or_b32_e32 v46, 0x7e, v2
; %bb.2242:                             ;   in Loop: Header=BB4_1885 Depth=2
	s_or_b32 exec_lo, exec_lo, s11
                                        ; implicit-def: $vgpr2
.LBB4_2243:                             ;   in Loop: Header=BB4_1885 Depth=2
	s_and_not1_saveexec_b32 s11, s42
; %bb.2244:                             ;   in Loop: Header=BB4_1885 Depth=2
	v_or_b32_e32 v46, 0x7f, v2
; %bb.2245:                             ;   in Loop: Header=BB4_1885 Depth=2
	s_or_b32 exec_lo, exec_lo, s11
	v_mov_b32_e32 v3, 0
	s_mov_b32 s11, exec_lo
	v_cmpx_lt_u64_e64 s[14:15], v[12:13]
	s_cbranch_execz .LBB4_2253
; %bb.2246:                             ;   in Loop: Header=BB4_1885 Depth=2
	v_lshrrev_b32_e32 v2, 24, v13
	v_bfrev_b32_e32 v3, 1
	s_mov_b32 s42, exec_lo
	s_delay_alu instid0(VALU_DEP_2)
	v_cmpx_ne_u32_e32 0x80, v2
	s_cbranch_execz .LBB4_2252
; %bb.2247:                             ;   in Loop: Header=BB4_1885 Depth=2
	v_bfe_u32 v10, v13, 24, 7
	v_mov_b32_e32 v3, 0x7f800001
	s_mov_b32 s43, exec_lo
	s_delay_alu instid0(VALU_DEP_2)
	v_cmpx_ne_u32_e32 0x7f, v10
	s_cbranch_execz .LBB4_2251
; %bb.2248:                             ;   in Loop: Header=BB4_1885 Depth=2
	v_and_b32_e32 v38, 7, v2
	v_lshrrev_b32_e32 v3, 3, v10
	s_mov_b32 s44, exec_lo
	v_cmpx_gt_u32_e32 8, v10
; %bb.2249:                             ;   in Loop: Header=BB4_1885 Depth=2
	s_delay_alu instid0(VALU_DEP_3) | instskip(NEXT) | instid1(VALU_DEP_1)
	v_clz_i32_u32_e32 v3, v38
	v_min_u32_e32 v3, 32, v3
	s_delay_alu instid0(VALU_DEP_1) | instskip(NEXT) | instid1(VALU_DEP_1)
	v_subrev_nc_u32_e32 v10, 28, v3
	v_lshlrev_b64_e32 v[10:11], v10, v[38:39]
	s_delay_alu instid0(VALU_DEP_1)
	v_dual_sub_nc_u32 v3, 29, v3 :: v_dual_bitop2_b32 v38, 7, v10 bitop3:0x40
; %bb.2250:                             ;   in Loop: Header=BB4_1885 Depth=2
	s_or_b32 exec_lo, exec_lo, s44
	v_lshlrev_b32_e32 v2, 24, v2
	s_delay_alu instid0(VALU_DEP_2) | instskip(NEXT) | instid1(VALU_DEP_3)
	v_lshlrev_b32_e32 v10, 20, v38
	v_lshl_add_u32 v3, v3, 23, 0x3c000000
	s_delay_alu instid0(VALU_DEP_3) | instskip(NEXT) | instid1(VALU_DEP_1)
	v_and_b32_e32 v2, 0x80000000, v2
	v_or3_b32 v3, v10, v2, v3
.LBB4_2251:                             ;   in Loop: Header=BB4_1885 Depth=2
	s_or_b32 exec_lo, exec_lo, s43
.LBB4_2252:                             ;   in Loop: Header=BB4_1885 Depth=2
	s_delay_alu instid0(SALU_CYCLE_1)
	s_or_b32 exec_lo, exec_lo, s42
.LBB4_2253:                             ;   in Loop: Header=BB4_1885 Depth=2
	s_delay_alu instid0(SALU_CYCLE_1) | instskip(NEXT) | instid1(VALU_DEP_1)
	s_or_b32 exec_lo, exec_lo, s11
	v_mul_f32_e32 v3, s12, v3
                                        ; implicit-def: $vgpr57
	s_mov_b32 s11, exec_lo
	s_delay_alu instid0(VALU_DEP_1) | instskip(SKIP_1) | instid1(VALU_DEP_2)
	v_and_b32_e32 v38, 0x7f800000, v3
	v_lshrrev_b32_e32 v2, 24, v3
	v_cmpx_ne_u64_e32 0x7f800000, v[38:39]
	s_xor_b32 s12, exec_lo, s11
	s_cbranch_execz .LBB4_2267
; %bb.2254:                             ;   in Loop: Header=BB4_1885 Depth=2
	v_and_b32_e32 v38, 0x7fffffff, v3
	v_and_b32_e32 v2, 0x80, v2
                                        ; implicit-def: $vgpr57
	s_mov_b32 s11, exec_lo
	s_delay_alu instid0(VALU_DEP_2)
	v_cmpx_gt_u64_e32 0x43e00001, v[38:39]
	s_xor_b32 s42, exec_lo, s11
	s_cbranch_execz .LBB4_2264
; %bb.2255:                             ;   in Loop: Header=BB4_1885 Depth=2
	v_mov_b32_e32 v57, 0
	s_mov_b32 s43, exec_lo
	v_cmpx_ne_u32_e32 0, v3
	s_cbranch_execz .LBB4_2263
; %bb.2256:                             ;   in Loop: Header=BB4_1885 Depth=2
	v_bfe_u32 v96, v3, 23, 8
	v_and_b32_e32 v3, 0x7fffff, v3
	s_delay_alu instid0(VALU_DEP_2) | instskip(SKIP_1) | instid1(VALU_DEP_3)
	v_sub_nc_u32_e32 v10, 0x79, v96
	v_cmp_gt_u32_e32 vcc_lo, 0x7a, v96
	v_or_b32_e32 v12, 0x800000, v3
	s_delay_alu instid0(VALU_DEP_3) | instskip(SKIP_1) | instid1(VALU_DEP_2)
	v_cndmask_b32_e32 v10, 0, v10, vcc_lo
	v_cmp_eq_u32_e32 vcc_lo, 0, v96
	v_cndmask_b32_e64 v97, v10, 0x78, vcc_lo
	s_delay_alu instid0(VALU_DEP_1) | instskip(SKIP_1) | instid1(VALU_DEP_2)
	v_dual_cndmask_b32 v38, v12, v3, vcc_lo :: v_dual_add_nc_u32 v10, 20, v97
	v_add_nc_u32_e32 v13, 19, v97
	v_lshlrev_b64_e64 v[10:11], v10, -1
	s_delay_alu instid0(VALU_DEP_2) | instskip(NEXT) | instid1(VALU_DEP_2)
	v_lshlrev_b64_e64 v[12:13], v13, 1
	v_bfi_b32 v21, v11, 0, 0
	s_delay_alu instid0(VALU_DEP_3) | instskip(SKIP_1) | instid1(VALU_DEP_2)
	v_bfi_b32 v20, v10, 0, v38
	v_lshrrev_b64 v[10:11], v97, v[38:39]
	v_cmp_eq_u64_e64 s11, v[20:21], v[12:13]
	s_delay_alu instid0(VALU_DEP_2)
	v_mov_b64_e32 v[12:13], v[10:11]
	s_and_saveexec_b32 s44, s11
; %bb.2257:                             ;   in Loop: Header=BB4_1885 Depth=2
	v_bfe_u32 v38, v10, 20, 1
	s_delay_alu instid0(VALU_DEP_1) | instskip(NEXT) | instid1(VALU_DEP_1)
	v_add_nc_u64_e32 v[12:13], v[10:11], v[38:39]
	v_add_nc_u64_e32 v[12:13], -1, v[12:13]
; %bb.2258:                             ;   in Loop: Header=BB4_1885 Depth=2
	s_or_b32 exec_lo, exec_lo, s44
	v_add_nc_u32_e32 v3, 0xffffff81, v96
	v_lshrrev_b32_e32 v11, 23, v10
	s_mov_b32 s11, exec_lo
	s_delay_alu instid0(VALU_DEP_2) | instskip(NEXT) | instid1(VALU_DEP_1)
	v_cndmask_b32_e64 v3, v3, 0xffffff82, vcc_lo
	v_add3_u32 v13, v97, v3, v11
	v_and_b32_e32 v3, 0xfffff, v12
	s_delay_alu instid0(VALU_DEP_1) | instskip(NEXT) | instid1(VALU_DEP_1)
	v_dual_add_nc_u32 v12, 6, v13 :: v_dual_add_nc_u32 v38, v3, v10
                                        ; implicit-def: $vgpr10_vgpr11
                                        ; implicit-def: $vgpr3
	v_cmpx_ne_u32_e32 0, v12
	s_xor_b32 s11, exec_lo, s11
; %bb.2259:                             ;   in Loop: Header=BB4_1885 Depth=2
	s_delay_alu instid0(VALU_DEP_2) | instskip(SKIP_2) | instid1(VALU_DEP_2)
	v_cmp_lt_u64_e32 vcc_lo, 0xffffff, v[38:39]
	v_add_nc_u32_e32 v3, 7, v13
	v_cndmask_b32_e64 v10, 0, 1, vcc_lo
	v_cndmask_b32_e32 v3, v12, v3, vcc_lo
	s_delay_alu instid0(VALU_DEP_2)
	v_lshrrev_b64 v[10:11], v10, v[38:39]
; %bb.2260:                             ;   in Loop: Header=BB4_1885 Depth=2
	s_and_not1_saveexec_b32 s11, s11
; %bb.2261:                             ;   in Loop: Header=BB4_1885 Depth=2
	v_mov_b64_e32 v[10:11], v[38:39]
	v_bfe_u32 v3, v38, 23, 1
; %bb.2262:                             ;   in Loop: Header=BB4_1885 Depth=2
	s_or_b32 exec_lo, exec_lo, s11
	s_delay_alu instid0(VALU_DEP_2) | instskip(NEXT) | instid1(VALU_DEP_2)
	v_lshrrev_b64 v[10:11], 20, v[10:11]
	v_cmp_gt_i32_e32 vcc_lo, 16, v3
	v_min_i32_e32 v12, 15, v3
	v_cmp_eq_u32_e64 s11, 0, v3
	s_delay_alu instid0(VALU_DEP_2) | instskip(SKIP_1) | instid1(VALU_DEP_2)
	v_dual_cndmask_b32 v10, 7, v10, vcc_lo :: v_dual_lshlrev_b32 v12, 3, v12
	v_cndmask_b32_e32 v11, 0, v11, vcc_lo
	v_and_b32_e32 v12, 0xf8, v12
	s_delay_alu instid0(VALU_DEP_2) | instskip(NEXT) | instid1(VALU_DEP_2)
	v_cmp_eq_u64_e32 vcc_lo, 0, v[10:11]
	v_and_or_b32 v3, v10, 7, v12
	s_and_b32 s11, s11, vcc_lo
	s_delay_alu instid0(VALU_DEP_1) | instid1(SALU_CYCLE_1)
	v_cndmask_b32_e64 v3, v3, 0, s11
	s_delay_alu instid0(VALU_DEP_1)
	v_or_b32_e32 v57, v3, v2
.LBB4_2263:                             ;   in Loop: Header=BB4_1885 Depth=2
	s_or_b32 exec_lo, exec_lo, s43
                                        ; implicit-def: $vgpr2
.LBB4_2264:                             ;   in Loop: Header=BB4_1885 Depth=2
	s_and_not1_saveexec_b32 s11, s42
; %bb.2265:                             ;   in Loop: Header=BB4_1885 Depth=2
	v_or_b32_e32 v57, 0x7e, v2
; %bb.2266:                             ;   in Loop: Header=BB4_1885 Depth=2
	s_or_b32 exec_lo, exec_lo, s11
                                        ; implicit-def: $vgpr2
.LBB4_2267:                             ;   in Loop: Header=BB4_1885 Depth=2
	s_and_not1_saveexec_b32 s11, s12
; %bb.2268:                             ;   in Loop: Header=BB4_1885 Depth=2
	v_or_b32_e32 v57, 0x7f, v2
; %bb.2269:                             ;   in Loop: Header=BB4_1885 Depth=2
	s_or_b32 exec_lo, exec_lo, s11
	global_load_b128 v[10:13], v[86:87], off th:TH_LOAD_NT
	v_lshl_or_b32 v2, v40, 8, v30
	v_dual_lshlrev_b32 v3, 16, v42 :: v_dual_lshlrev_b32 v20, 24, v45
	s_mov_b32 s11, exec_lo
	s_delay_alu instid0(VALU_DEP_1)
	v_or3_b32 v38, v3, v20, v2
	v_mov_b32_e32 v3, 0
	s_wait_xcnt 0x0
	v_cmpx_ne_u32_e32 0, v30
	s_cbranch_execz .LBB4_2275
; %bb.2270:                             ;   in Loop: Header=BB4_1885 Depth=2
	v_bfrev_b32_e32 v3, 1
	s_mov_b32 s12, exec_lo
	v_cmpx_ne_u32_e32 0x80, v30
	s_cbranch_execz .LBB4_2274
; %bb.2271:                             ;   in Loop: Header=BB4_1885 Depth=2
	v_and_b32_e32 v96, 0x7f, v30
	v_mov_b32_e32 v3, 0x7f800001
	s_mov_b32 s42, exec_lo
	s_delay_alu instid0(VALU_DEP_2)
	v_cmpx_ne_u32_e32 0x7f, v96
	s_cbranch_execz .LBB4_2273
; %bb.2272:                             ;   in Loop: Header=BB4_1885 Depth=2
	v_dual_lshrrev_b32 v20, 3, v96 :: v_dual_bitop2_b32 v3, 7, v30 bitop3:0x40
	v_cmp_gt_u32_e32 vcc_lo, 8, v96
	s_delay_alu instid0(VALU_DEP_2) | instskip(NEXT) | instid1(VALU_DEP_1)
	v_clz_i32_u32_e32 v3, v3
	v_min_u32_e32 v3, 32, v3
	s_delay_alu instid0(VALU_DEP_1) | instskip(SKIP_1) | instid1(VALU_DEP_1)
	v_subrev_nc_u32_e32 v21, 28, v3
	v_sub_nc_u32_e32 v3, 29, v3
	v_dual_cndmask_b32 v3, v20, v3 :: v_dual_cndmask_b32 v20, 0, v21
	s_delay_alu instid0(VALU_DEP_1) | instskip(SKIP_1) | instid1(VALU_DEP_3)
	v_lshlrev_b64_e32 v[20:21], v20, v[38:39]
	v_lshlrev_b32_e32 v21, 24, v38
	v_lshl_add_u32 v3, v3, 23, 0x3c000000
	s_delay_alu instid0(VALU_DEP_2) | instskip(NEXT) | instid1(VALU_DEP_4)
	v_and_b32_e32 v21, 0x80000000, v21
	v_lshlrev_b32_e32 v20, 20, v20
	s_delay_alu instid0(VALU_DEP_1) | instskip(NEXT) | instid1(VALU_DEP_1)
	v_and_b32_e32 v20, 0x700000, v20
	v_or3_b32 v3, v20, v21, v3
.LBB4_2273:                             ;   in Loop: Header=BB4_1885 Depth=2
	s_or_b32 exec_lo, exec_lo, s42
.LBB4_2274:                             ;   in Loop: Header=BB4_1885 Depth=2
	s_delay_alu instid0(SALU_CYCLE_1)
	s_or_b32 exec_lo, exec_lo, s12
.LBB4_2275:                             ;   in Loop: Header=BB4_1885 Depth=2
	s_delay_alu instid0(SALU_CYCLE_1) | instskip(SKIP_4) | instid1(VALU_DEP_1)
	s_or_b32 exec_lo, exec_lo, s11
	s_wait_loadcnt 0x0
	v_and_b32_e32 v96, 0xff, v10
	s_mov_b32 s11, 0
	s_mov_b32 s12, exec_lo
	v_cmpx_lt_i16_e32 0x7f, v96
	s_xor_b32 s12, exec_lo, s12
	s_cbranch_execnz .LBB4_2306
; %bb.2276:                             ;   in Loop: Header=BB4_1885 Depth=2
	s_or_saveexec_b32 s12, s12
	v_bfrev_b32_e32 v30, 1
	s_xor_b32 exec_lo, exec_lo, s12
	s_cbranch_execnz .LBB4_2309
.LBB4_2277:                             ;   in Loop: Header=BB4_1885 Depth=2
	s_or_b32 exec_lo, exec_lo, s12
	s_and_saveexec_b32 s12, s11
	s_cbranch_execz .LBB4_2279
.LBB4_2278:                             ;   in Loop: Header=BB4_1885 Depth=2
	v_and_b32_e32 v20, 7, v10
	v_and_b32_e32 v30, 0x7f, v10
	v_bfe_u32 v21, v10, 3, 4
	s_delay_alu instid0(VALU_DEP_3) | instskip(NEXT) | instid1(VALU_DEP_3)
	v_clz_i32_u32_e32 v20, v20
	v_cmp_gt_u32_e32 vcc_lo, 8, v30
	s_delay_alu instid0(VALU_DEP_2) | instskip(NEXT) | instid1(VALU_DEP_1)
	v_min_u32_e32 v20, 32, v20
	v_subrev_nc_u32_e32 v96, 28, v20
	v_sub_nc_u32_e32 v20, 29, v20
	s_delay_alu instid0(VALU_DEP_1) | instskip(NEXT) | instid1(VALU_DEP_3)
	v_cndmask_b32_e32 v97, v21, v20, vcc_lo
	v_cndmask_b32_e32 v20, 0, v96, vcc_lo
	v_cmp_ne_u32_e32 vcc_lo, 0x7f, v30
	s_delay_alu instid0(VALU_DEP_2) | instskip(SKIP_1) | instid1(VALU_DEP_1)
	v_lshlrev_b64_e32 v[20:21], v20, v[10:11]
	v_lshlrev_b32_e32 v21, 24, v10
	v_and_b32_e32 v21, 0x80000000, v21
	s_delay_alu instid0(VALU_DEP_3) | instskip(SKIP_1) | instid1(VALU_DEP_2)
	v_lshlrev_b32_e32 v20, 20, v20
	v_lshl_add_u32 v96, v97, 23, 0x3c000000
	v_and_b32_e32 v20, 0x700000, v20
	s_delay_alu instid0(VALU_DEP_1) | instskip(NEXT) | instid1(VALU_DEP_1)
	v_or3_b32 v20, v20, v21, v96
	v_cndmask_b32_e32 v30, 0x7f800001, v20, vcc_lo
.LBB4_2279:                             ;   in Loop: Header=BB4_1885 Depth=2
	s_or_b32 exec_lo, exec_lo, s12
	s_delay_alu instid0(VALU_DEP_1) | instskip(SKIP_2) | instid1(VALU_DEP_2)
	v_add_f32_e32 v30, v3, v30
	v_mov_b32_e32 v21, v39
                                        ; implicit-def: $vgpr40
	s_mov_b32 s11, exec_lo
	v_and_b32_e32 v20, 0x7f800000, v30
	v_lshrrev_b32_e32 v3, 24, v30
	s_delay_alu instid0(VALU_DEP_2)
	v_cmpx_ne_u64_e32 0x7f800000, v[20:21]
	s_xor_b32 s12, exec_lo, s11
	s_cbranch_execz .LBB4_2293
; %bb.2280:                             ;   in Loop: Header=BB4_1885 Depth=2
	v_and_b32_e32 v20, 0x7fffffff, v30
	v_mov_b32_e32 v21, v39
	v_and_b32_e32 v3, 0x80, v3
                                        ; implicit-def: $vgpr40
	s_mov_b32 s11, exec_lo
	s_delay_alu instid0(VALU_DEP_2)
	v_cmpx_gt_u64_e32 0x43e00001, v[20:21]
	s_xor_b32 s42, exec_lo, s11
	s_cbranch_execz .LBB4_2290
; %bb.2281:                             ;   in Loop: Header=BB4_1885 Depth=2
	v_mov_b32_e32 v40, 0
	s_mov_b32 s43, exec_lo
	v_cmpx_ne_u32_e32 0, v30
	s_cbranch_execz .LBB4_2289
; %bb.2282:                             ;   in Loop: Header=BB4_1885 Depth=2
	v_bfe_u32 v113, v30, 23, 8
	v_and_b32_e32 v30, 0x7fffff, v30
	s_delay_alu instid0(VALU_DEP_2) | instskip(SKIP_1) | instid1(VALU_DEP_3)
	v_dual_mov_b32 v97, v39 :: v_dual_sub_nc_u32 v20, 0x79, v113
	v_cmp_gt_u32_e32 vcc_lo, 0x7a, v113
	v_or_b32_e32 v96, 0x800000, v30
	s_delay_alu instid0(VALU_DEP_3) | instskip(SKIP_1) | instid1(VALU_DEP_3)
	v_cndmask_b32_e32 v20, 0, v20, vcc_lo
	v_cmp_eq_u32_e32 vcc_lo, 0, v113
	v_cndmask_b32_e32 v96, v96, v30, vcc_lo
	s_delay_alu instid0(VALU_DEP_3) | instskip(NEXT) | instid1(VALU_DEP_1)
	v_cndmask_b32_e64 v40, v20, 0x78, vcc_lo
	v_dual_add_nc_u32 v20, 20, v40 :: v_dual_add_nc_u32 v98, 19, v40
	s_delay_alu instid0(VALU_DEP_1) | instskip(NEXT) | instid1(VALU_DEP_2)
	v_lshlrev_b64_e64 v[20:21], v20, -1
	v_lshlrev_b64_e64 v[98:99], v98, 1
	s_delay_alu instid0(VALU_DEP_2) | instskip(SKIP_1) | instid1(VALU_DEP_4)
	v_bfi_b32 v20, v20, 0, v96
	v_lshrrev_b64 v[96:97], v40, v[96:97]
	v_bfi_b32 v21, v21, 0, 0
	s_delay_alu instid0(VALU_DEP_1) | instskip(NEXT) | instid1(VALU_DEP_3)
	v_cmp_eq_u64_e64 s11, v[20:21], v[98:99]
	v_mov_b64_e32 v[98:99], v[96:97]
	s_and_saveexec_b32 s44, s11
; %bb.2283:                             ;   in Loop: Header=BB4_1885 Depth=2
	v_bfe_u32 v20, v96, 20, 1
	v_mov_b32_e32 v21, v39
	s_delay_alu instid0(VALU_DEP_1) | instskip(NEXT) | instid1(VALU_DEP_1)
	v_add_nc_u64_e32 v[20:21], v[96:97], v[20:21]
	v_add_nc_u64_e32 v[98:99], -1, v[20:21]
; %bb.2284:                             ;   in Loop: Header=BB4_1885 Depth=2
	s_or_b32 exec_lo, exec_lo, s44
	v_dual_mov_b32 v97, v39 :: v_dual_add_nc_u32 v20, 0xffffff81, v113
	v_lshrrev_b32_e32 v21, 23, v96
	s_mov_b32 s11, exec_lo
                                        ; implicit-def: $vgpr30
	s_delay_alu instid0(VALU_DEP_2) | instskip(NEXT) | instid1(VALU_DEP_1)
	v_cndmask_b32_e64 v20, v20, 0xffffff82, vcc_lo
	v_add3_u32 v99, v40, v20, v21
	v_and_b32_e32 v20, 0xfffff, v98
	s_delay_alu instid0(VALU_DEP_1) | instskip(NEXT) | instid1(VALU_DEP_1)
	v_dual_add_nc_u32 v98, 6, v99 :: v_dual_add_nc_u32 v96, v20, v96
	v_cmpx_ne_u32_e32 0, v98
	s_xor_b32 s11, exec_lo, s11
; %bb.2285:                             ;   in Loop: Header=BB4_1885 Depth=2
	s_delay_alu instid0(VALU_DEP_2) | instskip(SKIP_1) | instid1(VALU_DEP_1)
	v_cmp_lt_u64_e32 vcc_lo, 0xffffff, v[96:97]
	v_add_nc_u32_e32 v20, 7, v99
	v_cndmask_b32_e32 v30, v98, v20, vcc_lo
	v_cndmask_b32_e64 v20, 0, 1, vcc_lo
	s_delay_alu instid0(VALU_DEP_1)
	v_lshrrev_b64 v[96:97], v20, v[96:97]
; %bb.2286:                             ;   in Loop: Header=BB4_1885 Depth=2
	s_and_not1_saveexec_b32 s11, s11
; %bb.2287:                             ;   in Loop: Header=BB4_1885 Depth=2
	s_delay_alu instid0(VALU_DEP_1)
	v_bfe_u32 v30, v96, 23, 1
; %bb.2288:                             ;   in Loop: Header=BB4_1885 Depth=2
	s_or_b32 exec_lo, exec_lo, s11
	s_delay_alu instid0(VALU_DEP_2) | instskip(NEXT) | instid1(VALU_DEP_2)
	v_lshrrev_b64 v[20:21], 20, v[96:97]
	v_cmp_gt_i32_e32 vcc_lo, 16, v30
	v_min_i32_e32 v96, 15, v30
	v_cmp_eq_u32_e64 s11, 0, v30
	s_delay_alu instid0(VALU_DEP_2) | instskip(SKIP_1) | instid1(VALU_DEP_2)
	v_dual_cndmask_b32 v21, 0, v21 :: v_dual_lshlrev_b32 v96, 3, v96
	v_cndmask_b32_e32 v20, 7, v20, vcc_lo
	v_and_b32_e32 v96, 0xf8, v96
	s_delay_alu instid0(VALU_DEP_2) | instskip(NEXT) | instid1(VALU_DEP_2)
	v_cmp_eq_u64_e32 vcc_lo, 0, v[20:21]
	v_and_or_b32 v20, v20, 7, v96
	s_and_b32 s11, s11, vcc_lo
	s_delay_alu instid0(VALU_DEP_1) | instid1(SALU_CYCLE_1)
	v_cndmask_b32_e64 v20, v20, 0, s11
	s_delay_alu instid0(VALU_DEP_1)
	v_or_b32_e32 v40, v20, v3
.LBB4_2289:                             ;   in Loop: Header=BB4_1885 Depth=2
	s_or_b32 exec_lo, exec_lo, s43
                                        ; implicit-def: $vgpr3
.LBB4_2290:                             ;   in Loop: Header=BB4_1885 Depth=2
	s_and_not1_saveexec_b32 s11, s42
; %bb.2291:                             ;   in Loop: Header=BB4_1885 Depth=2
	v_or_b32_e32 v40, 0x7e, v3
; %bb.2292:                             ;   in Loop: Header=BB4_1885 Depth=2
	s_or_b32 exec_lo, exec_lo, s11
                                        ; implicit-def: $vgpr3
.LBB4_2293:                             ;   in Loop: Header=BB4_1885 Depth=2
	s_and_not1_saveexec_b32 s11, s12
; %bb.2294:                             ;   in Loop: Header=BB4_1885 Depth=2
	v_or_b32_e32 v40, 0x7f, v3
; %bb.2295:                             ;   in Loop: Header=BB4_1885 Depth=2
	s_or_b32 exec_lo, exec_lo, s11
	v_lshrrev_b16 v30, 8, v2
	v_mov_b32_e32 v3, 0
	s_mov_b32 s11, exec_lo
	s_delay_alu instid0(VALU_DEP_2)
	v_cmpx_ne_u16_e32 0, v30
	s_cbranch_execz .LBB4_2303
; %bb.2296:                             ;   in Loop: Header=BB4_1885 Depth=2
	v_bfrev_b32_e32 v3, 1
	s_mov_b32 s12, exec_lo
	v_cmpx_ne_u16_e32 0x80, v30
	s_cbranch_execz .LBB4_2302
; %bb.2297:                             ;   in Loop: Header=BB4_1885 Depth=2
	v_and_b32_e32 v96, 0xffff, v30
	v_mov_b32_e32 v3, 0x7f800001
	s_mov_b32 s42, exec_lo
	s_delay_alu instid0(VALU_DEP_2) | instskip(NEXT) | instid1(VALU_DEP_1)
	v_and_b32_e32 v30, 0x7f, v96
	v_cmpx_ne_u32_e32 0x7f, v30
	s_cbranch_execz .LBB4_2301
; %bb.2298:                             ;   in Loop: Header=BB4_1885 Depth=2
	v_dual_mov_b32 v97, v39 :: v_dual_bitop2_b32 v96, 7, v96 bitop3:0x40
	v_lshrrev_b32_e32 v3, 3, v30
	s_mov_b32 s43, exec_lo
	v_cmpx_gt_u32_e32 8, v30
; %bb.2299:                             ;   in Loop: Header=BB4_1885 Depth=2
	s_delay_alu instid0(VALU_DEP_3) | instskip(NEXT) | instid1(VALU_DEP_1)
	v_clz_i32_u32_e32 v3, v96
	v_min_u32_e32 v3, 32, v3
	s_delay_alu instid0(VALU_DEP_1) | instskip(NEXT) | instid1(VALU_DEP_1)
	v_subrev_nc_u32_e32 v20, 28, v3
	v_lshlrev_b64_e32 v[20:21], v20, v[96:97]
	s_delay_alu instid0(VALU_DEP_1)
	v_dual_sub_nc_u32 v3, 29, v3 :: v_dual_bitop2_b32 v96, 7, v20 bitop3:0x40
; %bb.2300:                             ;   in Loop: Header=BB4_1885 Depth=2
	s_or_b32 exec_lo, exec_lo, s43
	s_delay_alu instid0(VALU_DEP_1) | instskip(NEXT) | instid1(VALU_DEP_2)
	v_dual_lshlrev_b32 v2, 16, v2 :: v_dual_lshlrev_b32 v20, 20, v96
	v_lshl_add_u32 v3, v3, 23, 0x3c000000
	s_delay_alu instid0(VALU_DEP_2) | instskip(NEXT) | instid1(VALU_DEP_1)
	v_and_b32_e32 v2, 0x80000000, v2
	v_or3_b32 v3, v20, v2, v3
.LBB4_2301:                             ;   in Loop: Header=BB4_1885 Depth=2
	s_or_b32 exec_lo, exec_lo, s42
.LBB4_2302:                             ;   in Loop: Header=BB4_1885 Depth=2
	s_delay_alu instid0(SALU_CYCLE_1)
	s_or_b32 exec_lo, exec_lo, s12
.LBB4_2303:                             ;   in Loop: Header=BB4_1885 Depth=2
	s_delay_alu instid0(SALU_CYCLE_1) | instskip(SKIP_3) | instid1(VALU_DEP_1)
	s_or_b32 exec_lo, exec_lo, s11
	v_lshrrev_b16 v2, 8, v10
	s_mov_b32 s12, 0
	s_mov_b32 s11, exec_lo
	v_cmpx_lt_i16_e32 0x7f, v2
	s_xor_b32 s11, exec_lo, s11
	s_cbranch_execnz .LBB4_2310
; %bb.2304:                             ;   in Loop: Header=BB4_1885 Depth=2
	s_or_saveexec_b32 s11, s11
	v_bfrev_b32_e32 v96, 1
	s_xor_b32 exec_lo, exec_lo, s11
	s_cbranch_execnz .LBB4_2313
.LBB4_2305:                             ;   in Loop: Header=BB4_1885 Depth=2
	s_or_b32 exec_lo, exec_lo, s11
	s_and_saveexec_b32 s11, s12
	s_cbranch_execnz .LBB4_2314
	s_branch .LBB4_2317
.LBB4_2306:                             ;   in Loop: Header=BB4_1885 Depth=2
	s_mov_b32 s11, -1
	s_mov_b32 s42, exec_lo
	v_cmpx_eq_u16_e32 0x80, v96
; %bb.2307:                             ;   in Loop: Header=BB4_1885 Depth=2
	s_xor_b32 s11, exec_lo, -1
; %bb.2308:                             ;   in Loop: Header=BB4_1885 Depth=2
	s_or_b32 exec_lo, exec_lo, s42
	s_delay_alu instid0(SALU_CYCLE_1)
	s_and_b32 s11, s11, exec_lo
                                        ; implicit-def: $vgpr96
	s_or_saveexec_b32 s12, s12
	v_bfrev_b32_e32 v30, 1
	s_xor_b32 exec_lo, exec_lo, s12
	s_cbranch_execz .LBB4_2277
.LBB4_2309:                             ;   in Loop: Header=BB4_1885 Depth=2
	v_cmp_ne_u16_e32 vcc_lo, 0, v96
	v_mov_b32_e32 v30, 0
	s_and_not1_b32 s11, s11, exec_lo
	s_and_b32 s42, vcc_lo, exec_lo
	s_delay_alu instid0(SALU_CYCLE_1)
	s_or_b32 s11, s11, s42
	s_or_b32 exec_lo, exec_lo, s12
	s_and_saveexec_b32 s12, s11
	s_cbranch_execnz .LBB4_2278
	s_branch .LBB4_2279
.LBB4_2310:                             ;   in Loop: Header=BB4_1885 Depth=2
	s_mov_b32 s12, -1
	s_mov_b32 s42, exec_lo
	v_cmpx_eq_u16_e32 0x80, v2
; %bb.2311:                             ;   in Loop: Header=BB4_1885 Depth=2
	s_xor_b32 s12, exec_lo, -1
; %bb.2312:                             ;   in Loop: Header=BB4_1885 Depth=2
	s_or_b32 exec_lo, exec_lo, s42
	s_delay_alu instid0(SALU_CYCLE_1)
	s_and_b32 s12, s12, exec_lo
	s_or_saveexec_b32 s11, s11
	v_bfrev_b32_e32 v96, 1
	s_xor_b32 exec_lo, exec_lo, s11
	s_cbranch_execz .LBB4_2305
.LBB4_2313:                             ;   in Loop: Header=BB4_1885 Depth=2
	v_cmp_ne_u16_e32 vcc_lo, 0, v2
	v_mov_b32_e32 v96, 0
	s_and_not1_b32 s12, s12, exec_lo
	s_and_b32 s42, vcc_lo, exec_lo
	s_delay_alu instid0(SALU_CYCLE_1)
	s_or_b32 s12, s12, s42
	s_or_b32 exec_lo, exec_lo, s11
	s_and_saveexec_b32 s11, s12
	s_cbranch_execz .LBB4_2317
.LBB4_2314:                             ;   in Loop: Header=BB4_1885 Depth=2
	v_and_b32_e32 v30, 0xffff, v2
	v_mov_b32_e32 v96, 0x7f800001
	s_mov_b32 s12, exec_lo
	s_delay_alu instid0(VALU_DEP_2) | instskip(NEXT) | instid1(VALU_DEP_1)
	v_and_b32_e32 v97, 0x7f, v30
	v_cmpx_ne_u32_e32 0x7f, v97
	s_cbranch_execz .LBB4_2316
; %bb.2315:                             ;   in Loop: Header=BB4_1885 Depth=2
	v_and_b32_e32 v96, 7, v30
	v_cmp_gt_u32_e32 vcc_lo, 8, v97
	s_delay_alu instid0(VALU_DEP_2) | instskip(NEXT) | instid1(VALU_DEP_1)
	v_clz_i32_u32_e32 v20, v96
	v_min_u32_e32 v98, 32, v20
	s_delay_alu instid0(VALU_DEP_1) | instskip(NEXT) | instid1(VALU_DEP_1)
	v_subrev_nc_u32_e32 v20, 28, v98
	v_lshlrev_b64_e32 v[20:21], v20, v[30:31]
	v_dual_lshrrev_b32 v21, 3, v97 :: v_dual_sub_nc_u32 v30, 29, v98
	s_delay_alu instid0(VALU_DEP_2) | instskip(NEXT) | instid1(VALU_DEP_1)
	v_dual_lshlrev_b32 v2, 24, v2 :: v_dual_bitop2_b32 v20, 7, v20 bitop3:0x40
	v_dual_cndmask_b32 v20, v96, v20 :: v_dual_cndmask_b32 v21, v21, v30
	s_delay_alu instid0(VALU_DEP_2) | instskip(NEXT) | instid1(VALU_DEP_2)
	v_and_b32_e32 v2, 0x80000000, v2
	v_lshlrev_b32_e32 v20, 20, v20
	s_delay_alu instid0(VALU_DEP_3) | instskip(NEXT) | instid1(VALU_DEP_1)
	v_lshl_add_u32 v21, v21, 23, 0x3c000000
	v_or3_b32 v96, v20, v2, v21
.LBB4_2316:                             ;   in Loop: Header=BB4_1885 Depth=2
	s_or_b32 exec_lo, exec_lo, s12
.LBB4_2317:                             ;   in Loop: Header=BB4_1885 Depth=2
	s_delay_alu instid0(SALU_CYCLE_1) | instskip(NEXT) | instid1(VALU_DEP_1)
	s_or_b32 exec_lo, exec_lo, s11
	v_add_f32_e32 v3, v3, v96
	v_mov_b32_e32 v21, v39
                                        ; implicit-def: $vgpr42
	s_mov_b32 s11, exec_lo
	s_delay_alu instid0(VALU_DEP_2) | instskip(SKIP_1) | instid1(VALU_DEP_2)
	v_and_b32_e32 v20, 0x7f800000, v3
	v_lshrrev_b32_e32 v2, 24, v3
	v_cmpx_ne_u64_e32 0x7f800000, v[20:21]
	s_xor_b32 s12, exec_lo, s11
	s_cbranch_execz .LBB4_2331
; %bb.2318:                             ;   in Loop: Header=BB4_1885 Depth=2
	v_and_b32_e32 v20, 0x7fffffff, v3
	v_mov_b32_e32 v21, v39
	v_and_b32_e32 v2, 0x80, v2
                                        ; implicit-def: $vgpr42
	s_mov_b32 s11, exec_lo
	s_delay_alu instid0(VALU_DEP_2)
	v_cmpx_gt_u64_e32 0x43e00001, v[20:21]
	s_xor_b32 s42, exec_lo, s11
	s_cbranch_execz .LBB4_2328
; %bb.2319:                             ;   in Loop: Header=BB4_1885 Depth=2
	v_mov_b32_e32 v42, 0
	s_mov_b32 s43, exec_lo
	v_cmpx_ne_u32_e32 0, v3
	s_cbranch_execz .LBB4_2327
; %bb.2320:                             ;   in Loop: Header=BB4_1885 Depth=2
	v_bfe_u32 v30, v3, 23, 8
	v_and_b32_e32 v3, 0x7fffff, v3
	s_delay_alu instid0(VALU_DEP_2) | instskip(SKIP_1) | instid1(VALU_DEP_3)
	v_dual_mov_b32 v97, v39 :: v_dual_sub_nc_u32 v20, 0x79, v30
	v_cmp_gt_u32_e32 vcc_lo, 0x7a, v30
	v_or_b32_e32 v96, 0x800000, v3
	s_delay_alu instid0(VALU_DEP_3) | instskip(SKIP_1) | instid1(VALU_DEP_2)
	v_cndmask_b32_e32 v20, 0, v20, vcc_lo
	v_cmp_eq_u32_e32 vcc_lo, 0, v30
	v_cndmask_b32_e64 v113, v20, 0x78, vcc_lo
	s_delay_alu instid0(VALU_DEP_1) | instskip(SKIP_1) | instid1(VALU_DEP_2)
	v_dual_cndmask_b32 v96, v96, v3, vcc_lo :: v_dual_add_nc_u32 v20, 20, v113
	v_add_nc_u32_e32 v98, 19, v113
	v_lshlrev_b64_e64 v[20:21], v20, -1
	s_delay_alu instid0(VALU_DEP_2) | instskip(NEXT) | instid1(VALU_DEP_2)
	v_lshlrev_b64_e64 v[98:99], v98, 1
	v_bfi_b32 v20, v20, 0, v96
	v_lshrrev_b64 v[96:97], v113, v[96:97]
	s_delay_alu instid0(VALU_DEP_4) | instskip(NEXT) | instid1(VALU_DEP_1)
	v_bfi_b32 v21, v21, 0, 0
	v_cmp_eq_u64_e64 s11, v[20:21], v[98:99]
	s_delay_alu instid0(VALU_DEP_3)
	v_mov_b64_e32 v[98:99], v[96:97]
	s_and_saveexec_b32 s44, s11
; %bb.2321:                             ;   in Loop: Header=BB4_1885 Depth=2
	v_bfe_u32 v20, v96, 20, 1
	v_mov_b32_e32 v21, v39
	s_delay_alu instid0(VALU_DEP_1) | instskip(NEXT) | instid1(VALU_DEP_1)
	v_add_nc_u64_e32 v[20:21], v[96:97], v[20:21]
	v_add_nc_u64_e32 v[98:99], -1, v[20:21]
; %bb.2322:                             ;   in Loop: Header=BB4_1885 Depth=2
	s_or_b32 exec_lo, exec_lo, s44
	v_add_nc_u32_e32 v3, 0xffffff81, v30
	v_dual_mov_b32 v97, v39 :: v_dual_lshrrev_b32 v20, 23, v96
	s_mov_b32 s11, exec_lo
	s_delay_alu instid0(VALU_DEP_2) | instskip(NEXT) | instid1(VALU_DEP_1)
	v_cndmask_b32_e64 v3, v3, 0xffffff82, vcc_lo
	v_add3_u32 v30, v113, v3, v20
	v_and_b32_e32 v3, 0xfffff, v98
	s_delay_alu instid0(VALU_DEP_1) | instskip(NEXT) | instid1(VALU_DEP_1)
	v_dual_add_nc_u32 v98, 6, v30 :: v_dual_add_nc_u32 v96, v3, v96
                                        ; implicit-def: $vgpr3
	v_cmpx_ne_u32_e32 0, v98
	s_xor_b32 s11, exec_lo, s11
; %bb.2323:                             ;   in Loop: Header=BB4_1885 Depth=2
	s_delay_alu instid0(VALU_DEP_2) | instskip(SKIP_2) | instid1(VALU_DEP_2)
	v_cmp_lt_u64_e32 vcc_lo, 0xffffff, v[96:97]
	v_add_nc_u32_e32 v3, 7, v30
	v_cndmask_b32_e64 v20, 0, 1, vcc_lo
	v_cndmask_b32_e32 v3, v98, v3, vcc_lo
	s_delay_alu instid0(VALU_DEP_2)
	v_lshrrev_b64 v[96:97], v20, v[96:97]
; %bb.2324:                             ;   in Loop: Header=BB4_1885 Depth=2
	s_and_not1_saveexec_b32 s11, s11
; %bb.2325:                             ;   in Loop: Header=BB4_1885 Depth=2
	s_delay_alu instid0(VALU_DEP_1)
	v_bfe_u32 v3, v96, 23, 1
; %bb.2326:                             ;   in Loop: Header=BB4_1885 Depth=2
	s_or_b32 exec_lo, exec_lo, s11
	s_delay_alu instid0(VALU_DEP_2) | instskip(NEXT) | instid1(VALU_DEP_2)
	v_lshrrev_b64 v[20:21], 20, v[96:97]
	v_cmp_gt_i32_e32 vcc_lo, 16, v3
	v_min_i32_e32 v30, 15, v3
	v_cmp_eq_u32_e64 s11, 0, v3
	s_delay_alu instid0(VALU_DEP_2) | instskip(SKIP_1) | instid1(VALU_DEP_2)
	v_dual_cndmask_b32 v21, 0, v21 :: v_dual_lshlrev_b32 v30, 3, v30
	v_cndmask_b32_e32 v20, 7, v20, vcc_lo
	v_and_b32_e32 v30, 0xf8, v30
	s_delay_alu instid0(VALU_DEP_2) | instskip(NEXT) | instid1(VALU_DEP_2)
	v_cmp_eq_u64_e32 vcc_lo, 0, v[20:21]
	v_and_or_b32 v3, v20, 7, v30
	s_and_b32 s11, s11, vcc_lo
	s_delay_alu instid0(VALU_DEP_1) | instid1(SALU_CYCLE_1)
	v_cndmask_b32_e64 v3, v3, 0, s11
	s_delay_alu instid0(VALU_DEP_1)
	v_or_b32_e32 v42, v3, v2
.LBB4_2327:                             ;   in Loop: Header=BB4_1885 Depth=2
	s_or_b32 exec_lo, exec_lo, s43
                                        ; implicit-def: $vgpr2
.LBB4_2328:                             ;   in Loop: Header=BB4_1885 Depth=2
	s_and_not1_saveexec_b32 s11, s42
; %bb.2329:                             ;   in Loop: Header=BB4_1885 Depth=2
	v_or_b32_e32 v42, 0x7e, v2
; %bb.2330:                             ;   in Loop: Header=BB4_1885 Depth=2
	s_or_b32 exec_lo, exec_lo, s11
                                        ; implicit-def: $vgpr2
.LBB4_2331:                             ;   in Loop: Header=BB4_1885 Depth=2
	s_and_not1_saveexec_b32 s11, s12
; %bb.2332:                             ;   in Loop: Header=BB4_1885 Depth=2
	v_or_b32_e32 v42, 0x7f, v2
; %bb.2333:                             ;   in Loop: Header=BB4_1885 Depth=2
	s_or_b32 exec_lo, exec_lo, s11
	v_dual_mov_b32 v2, 0 :: v_dual_lshrrev_b32 v3, 16, v38
	s_mov_b32 s11, exec_lo
	s_delay_alu instid0(VALU_DEP_1) | instskip(NEXT) | instid1(VALU_DEP_1)
	v_and_b32_e32 v30, 0xff, v3
	v_cmpx_ne_u16_e32 0, v30
	s_cbranch_execz .LBB4_2341
; %bb.2334:                             ;   in Loop: Header=BB4_1885 Depth=2
	v_bfrev_b32_e32 v2, 1
	s_mov_b32 s12, exec_lo
	v_cmpx_ne_u16_e32 0x80, v30
	s_cbranch_execz .LBB4_2340
; %bb.2335:                             ;   in Loop: Header=BB4_1885 Depth=2
	v_bfe_u32 v30, v38, 16, 7
	v_mov_b32_e32 v2, 0x7f800001
	s_mov_b32 s42, exec_lo
	s_delay_alu instid0(VALU_DEP_2)
	v_cmpx_ne_u32_e32 0x7f, v30
	s_cbranch_execz .LBB4_2339
; %bb.2336:                             ;   in Loop: Header=BB4_1885 Depth=2
	v_dual_mov_b32 v97, v39 :: v_dual_bitop2_b32 v96, 7, v3 bitop3:0x40
	v_lshrrev_b32_e32 v2, 3, v30
	s_mov_b32 s43, exec_lo
	v_cmpx_gt_u32_e32 8, v30
; %bb.2337:                             ;   in Loop: Header=BB4_1885 Depth=2
	s_delay_alu instid0(VALU_DEP_3) | instskip(NEXT) | instid1(VALU_DEP_1)
	v_clz_i32_u32_e32 v2, v96
	v_min_u32_e32 v2, 32, v2
	s_delay_alu instid0(VALU_DEP_1) | instskip(NEXT) | instid1(VALU_DEP_1)
	v_subrev_nc_u32_e32 v20, 28, v2
	v_lshlrev_b64_e32 v[20:21], v20, v[96:97]
	s_delay_alu instid0(VALU_DEP_1)
	v_dual_sub_nc_u32 v2, 29, v2 :: v_dual_bitop2_b32 v96, 7, v20 bitop3:0x40
; %bb.2338:                             ;   in Loop: Header=BB4_1885 Depth=2
	s_or_b32 exec_lo, exec_lo, s43
	s_delay_alu instid0(VALU_DEP_1) | instskip(NEXT) | instid1(VALU_DEP_2)
	v_dual_lshlrev_b32 v3, 24, v3 :: v_dual_lshlrev_b32 v20, 20, v96
	v_lshl_add_u32 v2, v2, 23, 0x3c000000
	s_delay_alu instid0(VALU_DEP_2) | instskip(NEXT) | instid1(VALU_DEP_1)
	v_and_b32_e32 v3, 0x80000000, v3
	v_or3_b32 v2, v20, v3, v2
.LBB4_2339:                             ;   in Loop: Header=BB4_1885 Depth=2
	s_or_b32 exec_lo, exec_lo, s42
.LBB4_2340:                             ;   in Loop: Header=BB4_1885 Depth=2
	s_delay_alu instid0(SALU_CYCLE_1)
	s_or_b32 exec_lo, exec_lo, s12
.LBB4_2341:                             ;   in Loop: Header=BB4_1885 Depth=2
	s_delay_alu instid0(SALU_CYCLE_1) | instskip(SKIP_3) | instid1(VALU_DEP_1)
	s_or_b32 exec_lo, exec_lo, s11
	v_lshrrev_b32_e32 v30, 16, v10
	s_mov_b32 s12, 0
	s_mov_b32 s11, exec_lo
	v_and_b32_e32 v96, 0xff, v30
	s_delay_alu instid0(VALU_DEP_1)
	v_cmpx_lt_i16_e32 0x7f, v96
	s_xor_b32 s11, exec_lo, s11
	s_cbranch_execnz .LBB4_2344
; %bb.2342:                             ;   in Loop: Header=BB4_1885 Depth=2
	s_or_saveexec_b32 s11, s11
	v_bfrev_b32_e32 v3, 1
	s_xor_b32 exec_lo, exec_lo, s11
	s_cbranch_execnz .LBB4_2347
.LBB4_2343:                             ;   in Loop: Header=BB4_1885 Depth=2
	s_or_b32 exec_lo, exec_lo, s11
	s_and_saveexec_b32 s11, s12
	s_cbranch_execnz .LBB4_2348
	s_branch .LBB4_2351
.LBB4_2344:                             ;   in Loop: Header=BB4_1885 Depth=2
	s_mov_b32 s12, -1
	s_mov_b32 s42, exec_lo
	v_cmpx_eq_u16_e32 0x80, v96
; %bb.2345:                             ;   in Loop: Header=BB4_1885 Depth=2
	s_xor_b32 s12, exec_lo, -1
; %bb.2346:                             ;   in Loop: Header=BB4_1885 Depth=2
	s_or_b32 exec_lo, exec_lo, s42
	s_delay_alu instid0(SALU_CYCLE_1)
	s_and_b32 s12, s12, exec_lo
                                        ; implicit-def: $vgpr96
	s_or_saveexec_b32 s11, s11
	v_bfrev_b32_e32 v3, 1
	s_xor_b32 exec_lo, exec_lo, s11
	s_cbranch_execz .LBB4_2343
.LBB4_2347:                             ;   in Loop: Header=BB4_1885 Depth=2
	v_cmp_ne_u16_e32 vcc_lo, 0, v96
	v_mov_b32_e32 v3, 0
	s_and_not1_b32 s12, s12, exec_lo
	s_and_b32 s42, vcc_lo, exec_lo
	s_delay_alu instid0(SALU_CYCLE_1)
	s_or_b32 s12, s12, s42
	s_or_b32 exec_lo, exec_lo, s11
	s_and_saveexec_b32 s11, s12
	s_cbranch_execz .LBB4_2351
.LBB4_2348:                             ;   in Loop: Header=BB4_1885 Depth=2
	v_and_b32_e32 v96, 0x7f, v30
	v_mov_b32_e32 v3, 0x7f800001
	s_mov_b32 s12, exec_lo
	s_delay_alu instid0(VALU_DEP_2)
	v_cmpx_ne_u32_e32 0x7f, v96
	s_cbranch_execz .LBB4_2350
; %bb.2349:                             ;   in Loop: Header=BB4_1885 Depth=2
	v_and_b32_e32 v3, 7, v30
	v_cmp_gt_u32_e32 vcc_lo, 8, v96
	s_delay_alu instid0(VALU_DEP_2) | instskip(NEXT) | instid1(VALU_DEP_1)
	v_clz_i32_u32_e32 v20, v3
	v_min_u32_e32 v97, 32, v20
	s_delay_alu instid0(VALU_DEP_1) | instskip(NEXT) | instid1(VALU_DEP_1)
	v_subrev_nc_u32_e32 v20, 28, v97
	v_lshlrev_b64_e32 v[20:21], v20, v[30:31]
	v_dual_lshrrev_b32 v21, 3, v96 :: v_dual_sub_nc_u32 v97, 29, v97
	s_delay_alu instid0(VALU_DEP_2) | instskip(NEXT) | instid1(VALU_DEP_1)
	v_dual_lshlrev_b32 v30, 24, v30 :: v_dual_bitop2_b32 v20, 7, v20 bitop3:0x40
	v_dual_cndmask_b32 v21, v21, v97, vcc_lo :: v_dual_cndmask_b32 v3, v3, v20, vcc_lo
	s_delay_alu instid0(VALU_DEP_2) | instskip(NEXT) | instid1(VALU_DEP_2)
	v_and_b32_e32 v20, 0x80000000, v30
	v_lshl_add_u32 v21, v21, 23, 0x3c000000
	s_delay_alu instid0(VALU_DEP_3) | instskip(NEXT) | instid1(VALU_DEP_1)
	v_lshlrev_b32_e32 v3, 20, v3
	v_or3_b32 v3, v3, v20, v21
.LBB4_2350:                             ;   in Loop: Header=BB4_1885 Depth=2
	s_or_b32 exec_lo, exec_lo, s12
.LBB4_2351:                             ;   in Loop: Header=BB4_1885 Depth=2
	s_delay_alu instid0(SALU_CYCLE_1) | instskip(NEXT) | instid1(VALU_DEP_1)
	s_or_b32 exec_lo, exec_lo, s11
	v_dual_add_f32 v3, v2, v3 :: v_dual_mov_b32 v21, v39
                                        ; implicit-def: $vgpr45
	s_mov_b32 s11, exec_lo
	s_delay_alu instid0(VALU_DEP_1) | instskip(SKIP_1) | instid1(VALU_DEP_2)
	v_and_b32_e32 v20, 0x7f800000, v3
	v_lshrrev_b32_e32 v2, 24, v3
	v_cmpx_ne_u64_e32 0x7f800000, v[20:21]
	s_xor_b32 s12, exec_lo, s11
	s_cbranch_execz .LBB4_2365
; %bb.2352:                             ;   in Loop: Header=BB4_1885 Depth=2
	v_and_b32_e32 v20, 0x7fffffff, v3
	v_mov_b32_e32 v21, v39
	v_and_b32_e32 v2, 0x80, v2
                                        ; implicit-def: $vgpr45
	s_mov_b32 s11, exec_lo
	s_delay_alu instid0(VALU_DEP_2)
	v_cmpx_gt_u64_e32 0x43e00001, v[20:21]
	s_xor_b32 s42, exec_lo, s11
	s_cbranch_execz .LBB4_2362
; %bb.2353:                             ;   in Loop: Header=BB4_1885 Depth=2
	v_mov_b32_e32 v45, 0
	s_mov_b32 s43, exec_lo
	v_cmpx_ne_u32_e32 0, v3
	s_cbranch_execz .LBB4_2361
; %bb.2354:                             ;   in Loop: Header=BB4_1885 Depth=2
	v_bfe_u32 v30, v3, 23, 8
	v_and_b32_e32 v3, 0x7fffff, v3
	s_delay_alu instid0(VALU_DEP_2) | instskip(SKIP_1) | instid1(VALU_DEP_3)
	v_dual_mov_b32 v97, v39 :: v_dual_sub_nc_u32 v20, 0x79, v30
	v_cmp_gt_u32_e32 vcc_lo, 0x7a, v30
	v_or_b32_e32 v96, 0x800000, v3
	s_delay_alu instid0(VALU_DEP_3) | instskip(SKIP_1) | instid1(VALU_DEP_2)
	v_cndmask_b32_e32 v20, 0, v20, vcc_lo
	v_cmp_eq_u32_e32 vcc_lo, 0, v30
	v_cndmask_b32_e64 v113, v20, 0x78, vcc_lo
	s_delay_alu instid0(VALU_DEP_1) | instskip(SKIP_1) | instid1(VALU_DEP_2)
	v_dual_cndmask_b32 v96, v96, v3, vcc_lo :: v_dual_add_nc_u32 v20, 20, v113
	v_add_nc_u32_e32 v98, 19, v113
	v_lshlrev_b64_e64 v[20:21], v20, -1
	s_delay_alu instid0(VALU_DEP_2) | instskip(NEXT) | instid1(VALU_DEP_2)
	v_lshlrev_b64_e64 v[98:99], v98, 1
	v_bfi_b32 v20, v20, 0, v96
	v_lshrrev_b64 v[96:97], v113, v[96:97]
	s_delay_alu instid0(VALU_DEP_4) | instskip(NEXT) | instid1(VALU_DEP_1)
	v_bfi_b32 v21, v21, 0, 0
	v_cmp_eq_u64_e64 s11, v[20:21], v[98:99]
	s_delay_alu instid0(VALU_DEP_3)
	v_mov_b64_e32 v[98:99], v[96:97]
	s_and_saveexec_b32 s44, s11
; %bb.2355:                             ;   in Loop: Header=BB4_1885 Depth=2
	v_bfe_u32 v20, v96, 20, 1
	v_mov_b32_e32 v21, v39
	s_delay_alu instid0(VALU_DEP_1) | instskip(NEXT) | instid1(VALU_DEP_1)
	v_add_nc_u64_e32 v[20:21], v[96:97], v[20:21]
	v_add_nc_u64_e32 v[98:99], -1, v[20:21]
; %bb.2356:                             ;   in Loop: Header=BB4_1885 Depth=2
	s_or_b32 exec_lo, exec_lo, s44
	v_add_nc_u32_e32 v3, 0xffffff81, v30
	v_dual_mov_b32 v97, v39 :: v_dual_lshrrev_b32 v20, 23, v96
	s_mov_b32 s11, exec_lo
	s_delay_alu instid0(VALU_DEP_2) | instskip(NEXT) | instid1(VALU_DEP_1)
	v_cndmask_b32_e64 v3, v3, 0xffffff82, vcc_lo
	v_add3_u32 v30, v113, v3, v20
	v_and_b32_e32 v3, 0xfffff, v98
	s_delay_alu instid0(VALU_DEP_1) | instskip(NEXT) | instid1(VALU_DEP_1)
	v_dual_add_nc_u32 v98, 6, v30 :: v_dual_add_nc_u32 v96, v3, v96
                                        ; implicit-def: $vgpr3
	v_cmpx_ne_u32_e32 0, v98
	s_xor_b32 s11, exec_lo, s11
; %bb.2357:                             ;   in Loop: Header=BB4_1885 Depth=2
	s_delay_alu instid0(VALU_DEP_2) | instskip(SKIP_2) | instid1(VALU_DEP_2)
	v_cmp_lt_u64_e32 vcc_lo, 0xffffff, v[96:97]
	v_add_nc_u32_e32 v3, 7, v30
	v_cndmask_b32_e64 v20, 0, 1, vcc_lo
	v_cndmask_b32_e32 v3, v98, v3, vcc_lo
	s_delay_alu instid0(VALU_DEP_2)
	v_lshrrev_b64 v[96:97], v20, v[96:97]
; %bb.2358:                             ;   in Loop: Header=BB4_1885 Depth=2
	s_and_not1_saveexec_b32 s11, s11
; %bb.2359:                             ;   in Loop: Header=BB4_1885 Depth=2
	s_delay_alu instid0(VALU_DEP_1)
	v_bfe_u32 v3, v96, 23, 1
; %bb.2360:                             ;   in Loop: Header=BB4_1885 Depth=2
	s_or_b32 exec_lo, exec_lo, s11
	s_delay_alu instid0(VALU_DEP_2) | instskip(NEXT) | instid1(VALU_DEP_2)
	v_lshrrev_b64 v[20:21], 20, v[96:97]
	v_cmp_gt_i32_e32 vcc_lo, 16, v3
	v_min_i32_e32 v30, 15, v3
	v_cmp_eq_u32_e64 s11, 0, v3
	s_delay_alu instid0(VALU_DEP_2) | instskip(SKIP_1) | instid1(VALU_DEP_2)
	v_dual_cndmask_b32 v21, 0, v21 :: v_dual_lshlrev_b32 v30, 3, v30
	v_cndmask_b32_e32 v20, 7, v20, vcc_lo
	v_and_b32_e32 v30, 0xf8, v30
	s_delay_alu instid0(VALU_DEP_2) | instskip(NEXT) | instid1(VALU_DEP_2)
	v_cmp_eq_u64_e32 vcc_lo, 0, v[20:21]
	v_and_or_b32 v3, v20, 7, v30
	s_and_b32 s11, s11, vcc_lo
	s_delay_alu instid0(VALU_DEP_1) | instid1(SALU_CYCLE_1)
	v_cndmask_b32_e64 v3, v3, 0, s11
	s_delay_alu instid0(VALU_DEP_1)
	v_or_b32_e32 v45, v3, v2
.LBB4_2361:                             ;   in Loop: Header=BB4_1885 Depth=2
	s_or_b32 exec_lo, exec_lo, s43
                                        ; implicit-def: $vgpr2
.LBB4_2362:                             ;   in Loop: Header=BB4_1885 Depth=2
	s_and_not1_saveexec_b32 s11, s42
; %bb.2363:                             ;   in Loop: Header=BB4_1885 Depth=2
	v_or_b32_e32 v45, 0x7e, v2
; %bb.2364:                             ;   in Loop: Header=BB4_1885 Depth=2
	s_or_b32 exec_lo, exec_lo, s11
                                        ; implicit-def: $vgpr2
.LBB4_2365:                             ;   in Loop: Header=BB4_1885 Depth=2
	s_and_not1_saveexec_b32 s11, s12
; %bb.2366:                             ;   in Loop: Header=BB4_1885 Depth=2
	v_or_b32_e32 v45, 0x7f, v2
; %bb.2367:                             ;   in Loop: Header=BB4_1885 Depth=2
	s_or_b32 exec_lo, exec_lo, s11
	v_mov_b32_e32 v2, 0
	s_mov_b32 s11, exec_lo
	v_cmpx_lt_u32_e32 0xffffff, v38
	s_cbranch_execz .LBB4_2375
; %bb.2368:                             ;   in Loop: Header=BB4_1885 Depth=2
	v_lshrrev_b32_e32 v3, 24, v38
	v_bfrev_b32_e32 v2, 1
	s_mov_b32 s12, exec_lo
	s_delay_alu instid0(VALU_DEP_2)
	v_cmpx_ne_u32_e32 0x80, v3
	s_cbranch_execz .LBB4_2374
; %bb.2369:                             ;   in Loop: Header=BB4_1885 Depth=2
	v_bfe_u32 v30, v38, 24, 7
	v_mov_b32_e32 v2, 0x7f800001
	s_mov_b32 s42, exec_lo
	s_delay_alu instid0(VALU_DEP_2)
	v_cmpx_ne_u32_e32 0x7f, v30
	s_cbranch_execz .LBB4_2373
; %bb.2370:                             ;   in Loop: Header=BB4_1885 Depth=2
	v_dual_lshrrev_b32 v2, 3, v30 :: v_dual_bitop2_b32 v38, 7, v3 bitop3:0x40
	s_mov_b32 s43, exec_lo
	v_cmpx_gt_u32_e32 8, v30
; %bb.2371:                             ;   in Loop: Header=BB4_1885 Depth=2
	s_delay_alu instid0(VALU_DEP_2) | instskip(NEXT) | instid1(VALU_DEP_1)
	v_clz_i32_u32_e32 v2, v38
	v_min_u32_e32 v2, 32, v2
	s_delay_alu instid0(VALU_DEP_1) | instskip(NEXT) | instid1(VALU_DEP_1)
	v_subrev_nc_u32_e32 v20, 28, v2
	v_lshlrev_b64_e32 v[20:21], v20, v[38:39]
	s_delay_alu instid0(VALU_DEP_1)
	v_dual_sub_nc_u32 v2, 29, v2 :: v_dual_bitop2_b32 v38, 7, v20 bitop3:0x40
; %bb.2372:                             ;   in Loop: Header=BB4_1885 Depth=2
	s_or_b32 exec_lo, exec_lo, s43
	s_delay_alu instid0(VALU_DEP_1) | instskip(NEXT) | instid1(VALU_DEP_2)
	v_dual_lshlrev_b32 v3, 24, v3 :: v_dual_lshlrev_b32 v20, 20, v38
	v_lshl_add_u32 v2, v2, 23, 0x3c000000
	s_delay_alu instid0(VALU_DEP_2) | instskip(NEXT) | instid1(VALU_DEP_1)
	v_and_b32_e32 v3, 0x80000000, v3
	v_or3_b32 v2, v20, v3, v2
.LBB4_2373:                             ;   in Loop: Header=BB4_1885 Depth=2
	s_or_b32 exec_lo, exec_lo, s42
.LBB4_2374:                             ;   in Loop: Header=BB4_1885 Depth=2
	s_delay_alu instid0(SALU_CYCLE_1)
	s_or_b32 exec_lo, exec_lo, s12
.LBB4_2375:                             ;   in Loop: Header=BB4_1885 Depth=2
	s_delay_alu instid0(SALU_CYCLE_1) | instskip(SKIP_3) | instid1(VALU_DEP_3)
	s_or_b32 exec_lo, exec_lo, s11
	v_lshrrev_b32_e32 v30, 24, v10
	v_bfe_u32 v3, v10, 24, 7
	v_cmp_gt_u32_e64 s12, 0x1000000, v10
	v_cmp_eq_u32_e32 vcc_lo, 0x80, v30
	s_delay_alu instid0(VALU_DEP_3) | instskip(SKIP_2) | instid1(VALU_DEP_1)
	v_cmp_eq_u32_e64 s11, 0x7f, v3
	v_cndmask_b32_e32 v20, 0x7f800001, v118, vcc_lo
	s_or_b32 s11, vcc_lo, s11
	v_cndmask_b32_e64 v38, v20, 0, s12
	s_nor_b32 s12, s12, s11
	s_delay_alu instid0(SALU_CYCLE_1)
	s_and_saveexec_b32 s11, s12
	s_cbranch_execz .LBB4_2377
; %bb.2376:                             ;   in Loop: Header=BB4_1885 Depth=2
	v_and_b32_e32 v38, 7, v30
	v_cmp_gt_u32_e32 vcc_lo, 8, v3
	s_delay_alu instid0(VALU_DEP_2) | instskip(NEXT) | instid1(VALU_DEP_1)
	v_clz_i32_u32_e32 v20, v38
	v_min_u32_e32 v96, 32, v20
	s_delay_alu instid0(VALU_DEP_1) | instskip(SKIP_1) | instid1(VALU_DEP_2)
	v_subrev_nc_u32_e32 v20, 28, v96
	v_sub_nc_u32_e32 v96, 29, v96
	v_lshlrev_b64_e32 v[20:21], v20, v[30:31]
	s_delay_alu instid0(VALU_DEP_1) | instskip(NEXT) | instid1(VALU_DEP_1)
	v_dual_lshrrev_b32 v21, 3, v3 :: v_dual_bitop2_b32 v3, 7, v20 bitop3:0x40
	v_dual_cndmask_b32 v21, v21, v96 :: v_dual_lshlrev_b32 v20, 24, v30
	s_delay_alu instid0(VALU_DEP_2) | instskip(NEXT) | instid1(VALU_DEP_2)
	v_cndmask_b32_e32 v3, v38, v3, vcc_lo
	v_and_b32_e32 v20, 0x80000000, v20
	s_delay_alu instid0(VALU_DEP_3) | instskip(NEXT) | instid1(VALU_DEP_3)
	v_lshl_add_u32 v21, v21, 23, 0x3c000000
	v_lshlrev_b32_e32 v3, 20, v3
	s_delay_alu instid0(VALU_DEP_1)
	v_or3_b32 v38, v3, v20, v21
.LBB4_2377:                             ;   in Loop: Header=BB4_1885 Depth=2
	s_or_b32 exec_lo, exec_lo, s11
	s_delay_alu instid0(VALU_DEP_1) | instskip(SKIP_1) | instid1(VALU_DEP_1)
	v_add_f32_e32 v3, v2, v38
                                        ; implicit-def: $vgpr56
	s_mov_b32 s11, exec_lo
	v_and_b32_e32 v38, 0x7f800000, v3
	v_lshrrev_b32_e32 v2, 24, v3
	s_delay_alu instid0(VALU_DEP_2)
	v_cmpx_ne_u64_e32 0x7f800000, v[38:39]
	s_xor_b32 s12, exec_lo, s11
	s_cbranch_execz .LBB4_2391
; %bb.2378:                             ;   in Loop: Header=BB4_1885 Depth=2
	v_and_b32_e32 v38, 0x7fffffff, v3
	v_and_b32_e32 v2, 0x80, v2
                                        ; implicit-def: $vgpr56
	s_mov_b32 s11, exec_lo
	s_delay_alu instid0(VALU_DEP_2)
	v_cmpx_gt_u64_e32 0x43e00001, v[38:39]
	s_xor_b32 s42, exec_lo, s11
	s_cbranch_execz .LBB4_2388
; %bb.2379:                             ;   in Loop: Header=BB4_1885 Depth=2
	v_mov_b32_e32 v56, 0
	s_mov_b32 s43, exec_lo
	v_cmpx_ne_u32_e32 0, v3
	s_cbranch_execz .LBB4_2387
; %bb.2380:                             ;   in Loop: Header=BB4_1885 Depth=2
	v_bfe_u32 v30, v3, 23, 8
	v_and_b32_e32 v3, 0x7fffff, v3
	s_delay_alu instid0(VALU_DEP_2) | instskip(SKIP_1) | instid1(VALU_DEP_3)
	v_sub_nc_u32_e32 v20, 0x79, v30
	v_cmp_gt_u32_e32 vcc_lo, 0x7a, v30
	v_or_b32_e32 v38, 0x800000, v3
	s_delay_alu instid0(VALU_DEP_3) | instskip(SKIP_1) | instid1(VALU_DEP_2)
	v_cndmask_b32_e32 v20, 0, v20, vcc_lo
	v_cmp_eq_u32_e32 vcc_lo, 0, v30
	v_cndmask_b32_e64 v113, v20, 0x78, vcc_lo
	s_delay_alu instid0(VALU_DEP_1) | instskip(SKIP_1) | instid1(VALU_DEP_2)
	v_dual_cndmask_b32 v38, v38, v3, vcc_lo :: v_dual_add_nc_u32 v20, 20, v113
	v_add_nc_u32_e32 v96, 19, v113
	v_lshlrev_b64_e64 v[20:21], v20, -1
	s_delay_alu instid0(VALU_DEP_2) | instskip(NEXT) | instid1(VALU_DEP_4)
	v_lshlrev_b64_e64 v[98:99], v96, 1
	v_lshrrev_b64 v[96:97], v113, v[38:39]
	s_delay_alu instid0(VALU_DEP_3) | instskip(NEXT) | instid1(VALU_DEP_4)
	v_bfi_b32 v21, v21, 0, 0
	v_bfi_b32 v20, v20, 0, v38
	s_delay_alu instid0(VALU_DEP_1) | instskip(NEXT) | instid1(VALU_DEP_4)
	v_cmp_eq_u64_e64 s11, v[20:21], v[98:99]
	v_mov_b64_e32 v[98:99], v[96:97]
	s_and_saveexec_b32 s44, s11
; %bb.2381:                             ;   in Loop: Header=BB4_1885 Depth=2
	v_bfe_u32 v38, v96, 20, 1
	s_delay_alu instid0(VALU_DEP_1) | instskip(NEXT) | instid1(VALU_DEP_1)
	v_add_nc_u64_e32 v[20:21], v[96:97], v[38:39]
	v_add_nc_u64_e32 v[98:99], -1, v[20:21]
; %bb.2382:                             ;   in Loop: Header=BB4_1885 Depth=2
	s_or_b32 exec_lo, exec_lo, s44
	v_add_nc_u32_e32 v3, 0xffffff81, v30
	v_lshrrev_b32_e32 v20, 23, v96
	s_mov_b32 s11, exec_lo
	s_delay_alu instid0(VALU_DEP_2) | instskip(NEXT) | instid1(VALU_DEP_1)
	v_cndmask_b32_e64 v3, v3, 0xffffff82, vcc_lo
	v_add3_u32 v30, v113, v3, v20
	v_and_b32_e32 v3, 0xfffff, v98
	s_delay_alu instid0(VALU_DEP_1) | instskip(NEXT) | instid1(VALU_DEP_1)
	v_dual_add_nc_u32 v98, 6, v30 :: v_dual_add_nc_u32 v38, v3, v96
                                        ; implicit-def: $vgpr96_vgpr97
                                        ; implicit-def: $vgpr3
	v_cmpx_ne_u32_e32 0, v98
	s_xor_b32 s11, exec_lo, s11
; %bb.2383:                             ;   in Loop: Header=BB4_1885 Depth=2
	s_delay_alu instid0(VALU_DEP_2) | instskip(SKIP_2) | instid1(VALU_DEP_2)
	v_cmp_lt_u64_e32 vcc_lo, 0xffffff, v[38:39]
	v_add_nc_u32_e32 v3, 7, v30
	v_cndmask_b32_e64 v20, 0, 1, vcc_lo
	v_cndmask_b32_e32 v3, v98, v3, vcc_lo
	s_delay_alu instid0(VALU_DEP_2)
	v_lshrrev_b64 v[96:97], v20, v[38:39]
; %bb.2384:                             ;   in Loop: Header=BB4_1885 Depth=2
	s_and_not1_saveexec_b32 s11, s11
; %bb.2385:                             ;   in Loop: Header=BB4_1885 Depth=2
	v_mov_b64_e32 v[96:97], v[38:39]
	v_bfe_u32 v3, v38, 23, 1
; %bb.2386:                             ;   in Loop: Header=BB4_1885 Depth=2
	s_or_b32 exec_lo, exec_lo, s11
	s_delay_alu instid0(VALU_DEP_2) | instskip(NEXT) | instid1(VALU_DEP_2)
	v_lshrrev_b64 v[20:21], 20, v[96:97]
	v_cmp_gt_i32_e32 vcc_lo, 16, v3
	v_min_i32_e32 v30, 15, v3
	v_cmp_eq_u32_e64 s11, 0, v3
	s_delay_alu instid0(VALU_DEP_2) | instskip(SKIP_1) | instid1(VALU_DEP_2)
	v_dual_cndmask_b32 v21, 0, v21 :: v_dual_lshlrev_b32 v30, 3, v30
	v_cndmask_b32_e32 v20, 7, v20, vcc_lo
	v_and_b32_e32 v30, 0xf8, v30
	s_delay_alu instid0(VALU_DEP_2) | instskip(NEXT) | instid1(VALU_DEP_2)
	v_cmp_eq_u64_e32 vcc_lo, 0, v[20:21]
	v_and_or_b32 v3, v20, 7, v30
	s_and_b32 s11, s11, vcc_lo
	s_delay_alu instid0(VALU_DEP_1) | instid1(SALU_CYCLE_1)
	v_cndmask_b32_e64 v3, v3, 0, s11
	s_delay_alu instid0(VALU_DEP_1)
	v_or_b32_e32 v56, v3, v2
.LBB4_2387:                             ;   in Loop: Header=BB4_1885 Depth=2
	s_or_b32 exec_lo, exec_lo, s43
                                        ; implicit-def: $vgpr2
.LBB4_2388:                             ;   in Loop: Header=BB4_1885 Depth=2
	s_and_not1_saveexec_b32 s11, s42
; %bb.2389:                             ;   in Loop: Header=BB4_1885 Depth=2
	v_or_b32_e32 v56, 0x7e, v2
; %bb.2390:                             ;   in Loop: Header=BB4_1885 Depth=2
	s_or_b32 exec_lo, exec_lo, s11
                                        ; implicit-def: $vgpr2
.LBB4_2391:                             ;   in Loop: Header=BB4_1885 Depth=2
	s_and_not1_saveexec_b32 s11, s12
; %bb.2392:                             ;   in Loop: Header=BB4_1885 Depth=2
	v_or_b32_e32 v56, 0x7f, v2
; %bb.2393:                             ;   in Loop: Header=BB4_1885 Depth=2
	s_or_b32 exec_lo, exec_lo, s11
	v_lshl_or_b32 v2, v101, 8, v100
	v_dual_lshlrev_b32 v3, 16, v60 :: v_dual_lshlrev_b32 v20, 24, v61
	s_mov_b32 s11, exec_lo
	s_delay_alu instid0(VALU_DEP_1)
	v_or3_b32 v38, v3, v20, v2
	v_mov_b32_e32 v3, 0
	v_cmpx_ne_u32_e32 0, v100
	s_cbranch_execz .LBB4_2399
; %bb.2394:                             ;   in Loop: Header=BB4_1885 Depth=2
	v_bfrev_b32_e32 v3, 1
	s_mov_b32 s12, exec_lo
	v_cmpx_ne_u32_e32 0x80, v100
	s_cbranch_execz .LBB4_2398
; %bb.2395:                             ;   in Loop: Header=BB4_1885 Depth=2
	v_and_b32_e32 v30, 0x7f, v100
	v_mov_b32_e32 v3, 0x7f800001
	s_mov_b32 s42, exec_lo
	s_delay_alu instid0(VALU_DEP_2)
	v_cmpx_ne_u32_e32 0x7f, v30
	s_cbranch_execz .LBB4_2397
; %bb.2396:                             ;   in Loop: Header=BB4_1885 Depth=2
	v_dual_lshrrev_b32 v20, 3, v30 :: v_dual_bitop2_b32 v3, 7, v100 bitop3:0x40
	v_cmp_gt_u32_e32 vcc_lo, 8, v30
	s_delay_alu instid0(VALU_DEP_2) | instskip(NEXT) | instid1(VALU_DEP_1)
	v_clz_i32_u32_e32 v3, v3
	v_min_u32_e32 v3, 32, v3
	s_delay_alu instid0(VALU_DEP_1) | instskip(SKIP_1) | instid1(VALU_DEP_1)
	v_subrev_nc_u32_e32 v21, 28, v3
	v_sub_nc_u32_e32 v3, 29, v3
	v_dual_cndmask_b32 v3, v20, v3 :: v_dual_cndmask_b32 v20, 0, v21
	s_delay_alu instid0(VALU_DEP_1) | instskip(SKIP_1) | instid1(VALU_DEP_3)
	v_lshlrev_b64_e32 v[20:21], v20, v[38:39]
	v_lshlrev_b32_e32 v21, 24, v38
	v_lshl_add_u32 v3, v3, 23, 0x3c000000
	s_delay_alu instid0(VALU_DEP_2) | instskip(NEXT) | instid1(VALU_DEP_4)
	v_and_b32_e32 v21, 0x80000000, v21
	v_lshlrev_b32_e32 v20, 20, v20
	s_delay_alu instid0(VALU_DEP_1) | instskip(NEXT) | instid1(VALU_DEP_1)
	v_and_b32_e32 v20, 0x700000, v20
	v_or3_b32 v3, v20, v21, v3
.LBB4_2397:                             ;   in Loop: Header=BB4_1885 Depth=2
	s_or_b32 exec_lo, exec_lo, s42
.LBB4_2398:                             ;   in Loop: Header=BB4_1885 Depth=2
	s_delay_alu instid0(SALU_CYCLE_1)
	s_or_b32 exec_lo, exec_lo, s12
.LBB4_2399:                             ;   in Loop: Header=BB4_1885 Depth=2
	s_delay_alu instid0(SALU_CYCLE_1) | instskip(SKIP_4) | instid1(VALU_DEP_2)
	s_or_b32 exec_lo, exec_lo, s11
	v_and_b32_e32 v97, 0xff, v11
	v_mov_b32_e32 v96, v11
	s_mov_b32 s11, 0
	s_mov_b32 s12, exec_lo
	v_cmpx_lt_i16_e32 0x7f, v97
	s_xor_b32 s12, exec_lo, s12
	s_cbranch_execnz .LBB4_2430
; %bb.2400:                             ;   in Loop: Header=BB4_1885 Depth=2
	s_or_saveexec_b32 s12, s12
	v_bfrev_b32_e32 v30, 1
	s_xor_b32 exec_lo, exec_lo, s12
	s_cbranch_execnz .LBB4_2433
.LBB4_2401:                             ;   in Loop: Header=BB4_1885 Depth=2
	s_or_b32 exec_lo, exec_lo, s12
	v_mov_b32_e32 v97, v39
	s_and_saveexec_b32 s12, s11
	s_cbranch_execz .LBB4_2403
.LBB4_2402:                             ;   in Loop: Header=BB4_1885 Depth=2
	v_and_b32_e32 v20, 7, v11
	v_and_b32_e32 v30, 0x7f, v11
	v_bfe_u32 v21, v11, 3, 4
	s_delay_alu instid0(VALU_DEP_3) | instskip(NEXT) | instid1(VALU_DEP_3)
	v_clz_i32_u32_e32 v20, v20
	v_cmp_gt_u32_e32 vcc_lo, 8, v30
	s_delay_alu instid0(VALU_DEP_2) | instskip(NEXT) | instid1(VALU_DEP_1)
	v_min_u32_e32 v20, 32, v20
	v_subrev_nc_u32_e32 v98, 28, v20
	v_sub_nc_u32_e32 v20, 29, v20
	s_delay_alu instid0(VALU_DEP_1) | instskip(SKIP_1) | instid1(VALU_DEP_2)
	v_dual_cndmask_b32 v99, v21, v20 :: v_dual_cndmask_b32 v20, 0, v98
	v_cmp_ne_u32_e32 vcc_lo, 0x7f, v30
	v_lshlrev_b64_e32 v[20:21], v20, v[96:97]
	v_lshlrev_b32_e32 v21, 24, v96
	s_delay_alu instid0(VALU_DEP_4) | instskip(NEXT) | instid1(VALU_DEP_2)
	v_lshl_add_u32 v97, v99, 23, 0x3c000000
	v_and_b32_e32 v21, 0x80000000, v21
	s_delay_alu instid0(VALU_DEP_4) | instskip(NEXT) | instid1(VALU_DEP_1)
	v_lshlrev_b32_e32 v20, 20, v20
	v_and_b32_e32 v20, 0x700000, v20
	s_delay_alu instid0(VALU_DEP_1) | instskip(NEXT) | instid1(VALU_DEP_1)
	v_or3_b32 v20, v20, v21, v97
	v_cndmask_b32_e32 v30, 0x7f800001, v20, vcc_lo
.LBB4_2403:                             ;   in Loop: Header=BB4_1885 Depth=2
	s_or_b32 exec_lo, exec_lo, s12
	s_delay_alu instid0(VALU_DEP_1) | instskip(SKIP_2) | instid1(VALU_DEP_2)
	v_add_f32_e32 v30, v3, v30
	v_mov_b32_e32 v21, v39
                                        ; implicit-def: $vgpr100
	s_mov_b32 s11, exec_lo
	v_and_b32_e32 v20, 0x7f800000, v30
	v_lshrrev_b32_e32 v3, 24, v30
	s_delay_alu instid0(VALU_DEP_2)
	v_cmpx_ne_u64_e32 0x7f800000, v[20:21]
	s_xor_b32 s12, exec_lo, s11
	s_cbranch_execz .LBB4_2417
; %bb.2404:                             ;   in Loop: Header=BB4_1885 Depth=2
	v_and_b32_e32 v20, 0x7fffffff, v30
	v_mov_b32_e32 v21, v39
	v_and_b32_e32 v3, 0x80, v3
                                        ; implicit-def: $vgpr100
	s_mov_b32 s11, exec_lo
	s_delay_alu instid0(VALU_DEP_2)
	v_cmpx_gt_u64_e32 0x43e00001, v[20:21]
	s_xor_b32 s42, exec_lo, s11
	s_cbranch_execz .LBB4_2414
; %bb.2405:                             ;   in Loop: Header=BB4_1885 Depth=2
	v_mov_b32_e32 v100, 0
	s_mov_b32 s43, exec_lo
	v_cmpx_ne_u32_e32 0, v30
	s_cbranch_execz .LBB4_2413
; %bb.2406:                             ;   in Loop: Header=BB4_1885 Depth=2
	v_bfe_u32 v97, v30, 23, 8
	v_and_b32_e32 v30, 0x7fffff, v30
	s_delay_alu instid0(VALU_DEP_2) | instskip(SKIP_1) | instid1(VALU_DEP_3)
	v_dual_mov_b32 v99, v39 :: v_dual_sub_nc_u32 v20, 0x79, v97
	v_cmp_gt_u32_e32 vcc_lo, 0x7a, v97
	v_or_b32_e32 v98, 0x800000, v30
	s_delay_alu instid0(VALU_DEP_3) | instskip(SKIP_1) | instid1(VALU_DEP_2)
	v_cndmask_b32_e32 v20, 0, v20, vcc_lo
	v_cmp_eq_u32_e32 vcc_lo, 0, v97
	v_cndmask_b32_e64 v113, v20, 0x78, vcc_lo
	s_delay_alu instid0(VALU_DEP_1) | instskip(SKIP_1) | instid1(VALU_DEP_2)
	v_dual_cndmask_b32 v98, v98, v30, vcc_lo :: v_dual_add_nc_u32 v20, 20, v113
	v_add_nc_u32_e32 v100, 19, v113
	v_lshlrev_b64_e64 v[20:21], v20, -1
	s_delay_alu instid0(VALU_DEP_2) | instskip(NEXT) | instid1(VALU_DEP_2)
	v_lshlrev_b64_e64 v[100:101], v100, 1
	v_bfi_b32 v20, v20, 0, v98
	v_lshrrev_b64 v[98:99], v113, v[98:99]
	s_delay_alu instid0(VALU_DEP_4) | instskip(NEXT) | instid1(VALU_DEP_1)
	v_bfi_b32 v21, v21, 0, 0
	v_cmp_eq_u64_e64 s11, v[20:21], v[100:101]
	s_delay_alu instid0(VALU_DEP_3)
	v_mov_b64_e32 v[100:101], v[98:99]
	s_and_saveexec_b32 s44, s11
; %bb.2407:                             ;   in Loop: Header=BB4_1885 Depth=2
	v_bfe_u32 v20, v98, 20, 1
	v_mov_b32_e32 v21, v39
	s_delay_alu instid0(VALU_DEP_1) | instskip(NEXT) | instid1(VALU_DEP_1)
	v_add_nc_u64_e32 v[20:21], v[98:99], v[20:21]
	v_add_nc_u64_e32 v[100:101], -1, v[20:21]
; %bb.2408:                             ;   in Loop: Header=BB4_1885 Depth=2
	s_or_b32 exec_lo, exec_lo, s44
	v_dual_mov_b32 v99, v39 :: v_dual_add_nc_u32 v20, 0xffffff81, v97
	v_lshrrev_b32_e32 v21, 23, v98
	s_mov_b32 s11, exec_lo
                                        ; implicit-def: $vgpr30
	s_delay_alu instid0(VALU_DEP_2) | instskip(NEXT) | instid1(VALU_DEP_1)
	v_cndmask_b32_e64 v20, v20, 0xffffff82, vcc_lo
	v_add3_u32 v97, v113, v20, v21
	v_and_b32_e32 v20, 0xfffff, v100
	s_delay_alu instid0(VALU_DEP_1) | instskip(NEXT) | instid1(VALU_DEP_1)
	v_dual_add_nc_u32 v100, 6, v97 :: v_dual_add_nc_u32 v98, v20, v98
	v_cmpx_ne_u32_e32 0, v100
	s_xor_b32 s11, exec_lo, s11
; %bb.2409:                             ;   in Loop: Header=BB4_1885 Depth=2
	s_delay_alu instid0(VALU_DEP_2) | instskip(SKIP_1) | instid1(VALU_DEP_1)
	v_cmp_lt_u64_e32 vcc_lo, 0xffffff, v[98:99]
	v_add_nc_u32_e32 v20, 7, v97
	v_cndmask_b32_e32 v30, v100, v20, vcc_lo
	v_cndmask_b32_e64 v20, 0, 1, vcc_lo
	s_delay_alu instid0(VALU_DEP_1)
	v_lshrrev_b64 v[98:99], v20, v[98:99]
; %bb.2410:                             ;   in Loop: Header=BB4_1885 Depth=2
	s_and_not1_saveexec_b32 s11, s11
; %bb.2411:                             ;   in Loop: Header=BB4_1885 Depth=2
	s_delay_alu instid0(VALU_DEP_1)
	v_bfe_u32 v30, v98, 23, 1
; %bb.2412:                             ;   in Loop: Header=BB4_1885 Depth=2
	s_or_b32 exec_lo, exec_lo, s11
	s_delay_alu instid0(VALU_DEP_2) | instskip(NEXT) | instid1(VALU_DEP_2)
	v_lshrrev_b64 v[20:21], 20, v[98:99]
	v_cmp_gt_i32_e32 vcc_lo, 16, v30
	v_min_i32_e32 v97, 15, v30
	v_cmp_eq_u32_e64 s11, 0, v30
	s_delay_alu instid0(VALU_DEP_4) | instskip(NEXT) | instid1(VALU_DEP_3)
	v_cndmask_b32_e32 v21, 0, v21, vcc_lo
	v_dual_cndmask_b32 v20, 7, v20 :: v_dual_lshlrev_b32 v97, 3, v97
	s_delay_alu instid0(VALU_DEP_1) | instskip(NEXT) | instid1(VALU_DEP_2)
	v_and_b32_e32 v97, 0xf8, v97
	v_cmp_eq_u64_e32 vcc_lo, 0, v[20:21]
	s_delay_alu instid0(VALU_DEP_2)
	v_and_or_b32 v20, v20, 7, v97
	s_and_b32 s11, s11, vcc_lo
	s_delay_alu instid0(VALU_DEP_1) | instid1(SALU_CYCLE_1)
	v_cndmask_b32_e64 v20, v20, 0, s11
	s_delay_alu instid0(VALU_DEP_1)
	v_or_b32_e32 v100, v20, v3
.LBB4_2413:                             ;   in Loop: Header=BB4_1885 Depth=2
	s_or_b32 exec_lo, exec_lo, s43
                                        ; implicit-def: $vgpr3
.LBB4_2414:                             ;   in Loop: Header=BB4_1885 Depth=2
	s_and_not1_saveexec_b32 s11, s42
; %bb.2415:                             ;   in Loop: Header=BB4_1885 Depth=2
	v_or_b32_e32 v100, 0x7e, v3
; %bb.2416:                             ;   in Loop: Header=BB4_1885 Depth=2
	s_or_b32 exec_lo, exec_lo, s11
                                        ; implicit-def: $vgpr3
.LBB4_2417:                             ;   in Loop: Header=BB4_1885 Depth=2
	s_and_not1_saveexec_b32 s11, s12
; %bb.2418:                             ;   in Loop: Header=BB4_1885 Depth=2
	v_or_b32_e32 v100, 0x7f, v3
; %bb.2419:                             ;   in Loop: Header=BB4_1885 Depth=2
	s_or_b32 exec_lo, exec_lo, s11
	v_lshrrev_b16 v30, 8, v2
	v_mov_b32_e32 v3, 0
	s_mov_b32 s11, exec_lo
	s_delay_alu instid0(VALU_DEP_2)
	v_cmpx_ne_u16_e32 0, v30
	s_cbranch_execz .LBB4_2427
; %bb.2420:                             ;   in Loop: Header=BB4_1885 Depth=2
	v_bfrev_b32_e32 v3, 1
	s_mov_b32 s12, exec_lo
	v_cmpx_ne_u16_e32 0x80, v30
	s_cbranch_execz .LBB4_2426
; %bb.2421:                             ;   in Loop: Header=BB4_1885 Depth=2
	v_and_b32_e32 v97, 0xffff, v30
	v_mov_b32_e32 v3, 0x7f800001
	s_mov_b32 s42, exec_lo
	s_delay_alu instid0(VALU_DEP_2) | instskip(NEXT) | instid1(VALU_DEP_1)
	v_and_b32_e32 v30, 0x7f, v97
	v_cmpx_ne_u32_e32 0x7f, v30
	s_cbranch_execz .LBB4_2425
; %bb.2422:                             ;   in Loop: Header=BB4_1885 Depth=2
	v_dual_mov_b32 v99, v39 :: v_dual_bitop2_b32 v98, 7, v97 bitop3:0x40
	v_lshrrev_b32_e32 v3, 3, v30
	s_mov_b32 s43, exec_lo
	v_cmpx_gt_u32_e32 8, v30
; %bb.2423:                             ;   in Loop: Header=BB4_1885 Depth=2
	s_delay_alu instid0(VALU_DEP_3) | instskip(NEXT) | instid1(VALU_DEP_1)
	v_clz_i32_u32_e32 v3, v98
	v_min_u32_e32 v3, 32, v3
	s_delay_alu instid0(VALU_DEP_1) | instskip(NEXT) | instid1(VALU_DEP_1)
	v_subrev_nc_u32_e32 v20, 28, v3
	v_lshlrev_b64_e32 v[20:21], v20, v[98:99]
	s_delay_alu instid0(VALU_DEP_1)
	v_dual_sub_nc_u32 v3, 29, v3 :: v_dual_bitop2_b32 v98, 7, v20 bitop3:0x40
; %bb.2424:                             ;   in Loop: Header=BB4_1885 Depth=2
	s_or_b32 exec_lo, exec_lo, s43
	v_lshlrev_b32_e32 v2, 16, v2
	s_delay_alu instid0(VALU_DEP_2) | instskip(NEXT) | instid1(VALU_DEP_3)
	v_lshlrev_b32_e32 v20, 20, v98
	v_lshl_add_u32 v3, v3, 23, 0x3c000000
	s_delay_alu instid0(VALU_DEP_3) | instskip(NEXT) | instid1(VALU_DEP_1)
	v_and_b32_e32 v2, 0x80000000, v2
	v_or3_b32 v3, v20, v2, v3
.LBB4_2425:                             ;   in Loop: Header=BB4_1885 Depth=2
	s_or_b32 exec_lo, exec_lo, s42
.LBB4_2426:                             ;   in Loop: Header=BB4_1885 Depth=2
	s_delay_alu instid0(SALU_CYCLE_1)
	s_or_b32 exec_lo, exec_lo, s12
.LBB4_2427:                             ;   in Loop: Header=BB4_1885 Depth=2
	s_delay_alu instid0(SALU_CYCLE_1) | instskip(SKIP_3) | instid1(VALU_DEP_1)
	s_or_b32 exec_lo, exec_lo, s11
	v_lshrrev_b16 v2, 8, v96
	s_mov_b32 s12, 0
	s_mov_b32 s11, exec_lo
	v_cmpx_lt_i16_e32 0x7f, v2
	s_xor_b32 s11, exec_lo, s11
	s_cbranch_execnz .LBB4_2434
; %bb.2428:                             ;   in Loop: Header=BB4_1885 Depth=2
	s_or_saveexec_b32 s11, s11
	v_bfrev_b32_e32 v96, 1
	s_xor_b32 exec_lo, exec_lo, s11
	s_cbranch_execnz .LBB4_2437
.LBB4_2429:                             ;   in Loop: Header=BB4_1885 Depth=2
	s_or_b32 exec_lo, exec_lo, s11
	s_and_saveexec_b32 s11, s12
	s_cbranch_execnz .LBB4_2438
	s_branch .LBB4_2441
.LBB4_2430:                             ;   in Loop: Header=BB4_1885 Depth=2
	s_mov_b32 s11, -1
	s_mov_b32 s42, exec_lo
	v_cmpx_eq_u16_e32 0x80, v97
; %bb.2431:                             ;   in Loop: Header=BB4_1885 Depth=2
	s_xor_b32 s11, exec_lo, -1
; %bb.2432:                             ;   in Loop: Header=BB4_1885 Depth=2
	s_or_b32 exec_lo, exec_lo, s42
	s_delay_alu instid0(SALU_CYCLE_1)
	s_and_b32 s11, s11, exec_lo
                                        ; implicit-def: $vgpr97
	s_or_saveexec_b32 s12, s12
	v_bfrev_b32_e32 v30, 1
	s_xor_b32 exec_lo, exec_lo, s12
	s_cbranch_execz .LBB4_2401
.LBB4_2433:                             ;   in Loop: Header=BB4_1885 Depth=2
	v_cmp_ne_u16_e32 vcc_lo, 0, v97
	v_mov_b32_e32 v30, 0
	s_and_not1_b32 s11, s11, exec_lo
	s_and_b32 s42, vcc_lo, exec_lo
	s_delay_alu instid0(SALU_CYCLE_1)
	s_or_b32 s11, s11, s42
	s_or_b32 exec_lo, exec_lo, s12
	v_mov_b32_e32 v97, v39
	s_and_saveexec_b32 s12, s11
	s_cbranch_execnz .LBB4_2402
	s_branch .LBB4_2403
.LBB4_2434:                             ;   in Loop: Header=BB4_1885 Depth=2
	s_mov_b32 s12, -1
	s_mov_b32 s42, exec_lo
	v_cmpx_eq_u16_e32 0x80, v2
; %bb.2435:                             ;   in Loop: Header=BB4_1885 Depth=2
	s_xor_b32 s12, exec_lo, -1
; %bb.2436:                             ;   in Loop: Header=BB4_1885 Depth=2
	s_or_b32 exec_lo, exec_lo, s42
	s_delay_alu instid0(SALU_CYCLE_1)
	s_and_b32 s12, s12, exec_lo
	s_or_saveexec_b32 s11, s11
	v_bfrev_b32_e32 v96, 1
	s_xor_b32 exec_lo, exec_lo, s11
	s_cbranch_execz .LBB4_2429
.LBB4_2437:                             ;   in Loop: Header=BB4_1885 Depth=2
	v_cmp_ne_u16_e32 vcc_lo, 0, v2
	v_mov_b32_e32 v96, 0
	s_and_not1_b32 s12, s12, exec_lo
	s_and_b32 s42, vcc_lo, exec_lo
	s_delay_alu instid0(SALU_CYCLE_1)
	s_or_b32 s12, s12, s42
	s_or_b32 exec_lo, exec_lo, s11
	s_and_saveexec_b32 s11, s12
	s_cbranch_execz .LBB4_2441
.LBB4_2438:                             ;   in Loop: Header=BB4_1885 Depth=2
	v_and_b32_e32 v30, 0xffff, v2
	v_mov_b32_e32 v96, 0x7f800001
	s_mov_b32 s12, exec_lo
	s_delay_alu instid0(VALU_DEP_2) | instskip(NEXT) | instid1(VALU_DEP_1)
	v_and_b32_e32 v97, 0x7f, v30
	v_cmpx_ne_u32_e32 0x7f, v97
	s_cbranch_execz .LBB4_2440
; %bb.2439:                             ;   in Loop: Header=BB4_1885 Depth=2
	v_and_b32_e32 v96, 7, v30
	v_cmp_gt_u32_e32 vcc_lo, 8, v97
	s_delay_alu instid0(VALU_DEP_2) | instskip(NEXT) | instid1(VALU_DEP_1)
	v_clz_i32_u32_e32 v20, v96
	v_min_u32_e32 v98, 32, v20
	s_delay_alu instid0(VALU_DEP_1) | instskip(NEXT) | instid1(VALU_DEP_1)
	v_subrev_nc_u32_e32 v20, 28, v98
	v_lshlrev_b64_e32 v[20:21], v20, v[30:31]
	v_dual_lshrrev_b32 v21, 3, v97 :: v_dual_sub_nc_u32 v30, 29, v98
	s_delay_alu instid0(VALU_DEP_2) | instskip(NEXT) | instid1(VALU_DEP_1)
	v_dual_lshlrev_b32 v2, 24, v2 :: v_dual_bitop2_b32 v20, 7, v20 bitop3:0x40
	v_dual_cndmask_b32 v20, v96, v20 :: v_dual_cndmask_b32 v21, v21, v30
	s_delay_alu instid0(VALU_DEP_2) | instskip(NEXT) | instid1(VALU_DEP_2)
	v_and_b32_e32 v2, 0x80000000, v2
	v_lshlrev_b32_e32 v20, 20, v20
	s_delay_alu instid0(VALU_DEP_3) | instskip(NEXT) | instid1(VALU_DEP_1)
	v_lshl_add_u32 v21, v21, 23, 0x3c000000
	v_or3_b32 v96, v20, v2, v21
.LBB4_2440:                             ;   in Loop: Header=BB4_1885 Depth=2
	s_or_b32 exec_lo, exec_lo, s12
.LBB4_2441:                             ;   in Loop: Header=BB4_1885 Depth=2
	s_delay_alu instid0(SALU_CYCLE_1) | instskip(NEXT) | instid1(VALU_DEP_1)
	s_or_b32 exec_lo, exec_lo, s11
	v_add_f32_e32 v3, v3, v96
	v_mov_b32_e32 v21, v39
                                        ; implicit-def: $vgpr101
	s_mov_b32 s11, exec_lo
	s_delay_alu instid0(VALU_DEP_2) | instskip(SKIP_1) | instid1(VALU_DEP_2)
	v_and_b32_e32 v20, 0x7f800000, v3
	v_lshrrev_b32_e32 v2, 24, v3
	v_cmpx_ne_u64_e32 0x7f800000, v[20:21]
	s_xor_b32 s12, exec_lo, s11
	s_cbranch_execz .LBB4_2455
; %bb.2442:                             ;   in Loop: Header=BB4_1885 Depth=2
	v_and_b32_e32 v20, 0x7fffffff, v3
	v_mov_b32_e32 v21, v39
	v_and_b32_e32 v2, 0x80, v2
                                        ; implicit-def: $vgpr101
	s_mov_b32 s11, exec_lo
	s_delay_alu instid0(VALU_DEP_2)
	v_cmpx_gt_u64_e32 0x43e00001, v[20:21]
	s_xor_b32 s42, exec_lo, s11
	s_cbranch_execz .LBB4_2452
; %bb.2443:                             ;   in Loop: Header=BB4_1885 Depth=2
	v_mov_b32_e32 v101, 0
	s_mov_b32 s43, exec_lo
	v_cmpx_ne_u32_e32 0, v3
	s_cbranch_execz .LBB4_2451
; %bb.2444:                             ;   in Loop: Header=BB4_1885 Depth=2
	v_bfe_u32 v30, v3, 23, 8
	v_and_b32_e32 v3, 0x7fffff, v3
	s_delay_alu instid0(VALU_DEP_2) | instskip(SKIP_1) | instid1(VALU_DEP_3)
	v_dual_mov_b32 v97, v39 :: v_dual_sub_nc_u32 v20, 0x79, v30
	v_cmp_gt_u32_e32 vcc_lo, 0x7a, v30
	v_or_b32_e32 v96, 0x800000, v3
	s_delay_alu instid0(VALU_DEP_3) | instskip(SKIP_1) | instid1(VALU_DEP_2)
	v_cndmask_b32_e32 v20, 0, v20, vcc_lo
	v_cmp_eq_u32_e32 vcc_lo, 0, v30
	v_cndmask_b32_e64 v101, v20, 0x78, vcc_lo
	s_delay_alu instid0(VALU_DEP_1) | instskip(SKIP_1) | instid1(VALU_DEP_2)
	v_dual_cndmask_b32 v96, v96, v3, vcc_lo :: v_dual_add_nc_u32 v20, 20, v101
	v_add_nc_u32_e32 v98, 19, v101
	v_lshlrev_b64_e64 v[20:21], v20, -1
	s_delay_alu instid0(VALU_DEP_2) | instskip(NEXT) | instid1(VALU_DEP_2)
	v_lshlrev_b64_e64 v[98:99], v98, 1
	v_bfi_b32 v20, v20, 0, v96
	v_lshrrev_b64 v[96:97], v101, v[96:97]
	s_delay_alu instid0(VALU_DEP_4) | instskip(NEXT) | instid1(VALU_DEP_1)
	v_bfi_b32 v21, v21, 0, 0
	v_cmp_eq_u64_e64 s11, v[20:21], v[98:99]
	s_delay_alu instid0(VALU_DEP_3)
	v_mov_b64_e32 v[98:99], v[96:97]
	s_and_saveexec_b32 s44, s11
; %bb.2445:                             ;   in Loop: Header=BB4_1885 Depth=2
	v_bfe_u32 v20, v96, 20, 1
	v_mov_b32_e32 v21, v39
	s_delay_alu instid0(VALU_DEP_1) | instskip(NEXT) | instid1(VALU_DEP_1)
	v_add_nc_u64_e32 v[20:21], v[96:97], v[20:21]
	v_add_nc_u64_e32 v[98:99], -1, v[20:21]
; %bb.2446:                             ;   in Loop: Header=BB4_1885 Depth=2
	s_or_b32 exec_lo, exec_lo, s44
	v_add_nc_u32_e32 v3, 0xffffff81, v30
	v_dual_mov_b32 v97, v39 :: v_dual_lshrrev_b32 v20, 23, v96
	s_mov_b32 s11, exec_lo
	s_delay_alu instid0(VALU_DEP_2) | instskip(NEXT) | instid1(VALU_DEP_1)
	v_cndmask_b32_e64 v3, v3, 0xffffff82, vcc_lo
	v_add3_u32 v30, v101, v3, v20
	v_and_b32_e32 v3, 0xfffff, v98
	s_delay_alu instid0(VALU_DEP_1) | instskip(NEXT) | instid1(VALU_DEP_1)
	v_dual_add_nc_u32 v98, 6, v30 :: v_dual_add_nc_u32 v96, v3, v96
                                        ; implicit-def: $vgpr3
	v_cmpx_ne_u32_e32 0, v98
	s_xor_b32 s11, exec_lo, s11
; %bb.2447:                             ;   in Loop: Header=BB4_1885 Depth=2
	s_delay_alu instid0(VALU_DEP_2) | instskip(SKIP_2) | instid1(VALU_DEP_2)
	v_cmp_lt_u64_e32 vcc_lo, 0xffffff, v[96:97]
	v_add_nc_u32_e32 v3, 7, v30
	v_cndmask_b32_e64 v20, 0, 1, vcc_lo
	v_cndmask_b32_e32 v3, v98, v3, vcc_lo
	s_delay_alu instid0(VALU_DEP_2)
	v_lshrrev_b64 v[96:97], v20, v[96:97]
; %bb.2448:                             ;   in Loop: Header=BB4_1885 Depth=2
	s_and_not1_saveexec_b32 s11, s11
; %bb.2449:                             ;   in Loop: Header=BB4_1885 Depth=2
	s_delay_alu instid0(VALU_DEP_1)
	v_bfe_u32 v3, v96, 23, 1
; %bb.2450:                             ;   in Loop: Header=BB4_1885 Depth=2
	s_or_b32 exec_lo, exec_lo, s11
	s_delay_alu instid0(VALU_DEP_2) | instskip(NEXT) | instid1(VALU_DEP_2)
	v_lshrrev_b64 v[20:21], 20, v[96:97]
	v_cmp_gt_i32_e32 vcc_lo, 16, v3
	v_min_i32_e32 v30, 15, v3
	v_cmp_eq_u32_e64 s11, 0, v3
	s_delay_alu instid0(VALU_DEP_2) | instskip(SKIP_1) | instid1(VALU_DEP_2)
	v_dual_cndmask_b32 v21, 0, v21 :: v_dual_lshlrev_b32 v30, 3, v30
	v_cndmask_b32_e32 v20, 7, v20, vcc_lo
	v_and_b32_e32 v30, 0xf8, v30
	s_delay_alu instid0(VALU_DEP_2) | instskip(NEXT) | instid1(VALU_DEP_2)
	v_cmp_eq_u64_e32 vcc_lo, 0, v[20:21]
	v_and_or_b32 v3, v20, 7, v30
	s_and_b32 s11, s11, vcc_lo
	s_delay_alu instid0(VALU_DEP_1) | instid1(SALU_CYCLE_1)
	v_cndmask_b32_e64 v3, v3, 0, s11
	s_delay_alu instid0(VALU_DEP_1)
	v_or_b32_e32 v101, v3, v2
.LBB4_2451:                             ;   in Loop: Header=BB4_1885 Depth=2
	s_or_b32 exec_lo, exec_lo, s43
                                        ; implicit-def: $vgpr2
.LBB4_2452:                             ;   in Loop: Header=BB4_1885 Depth=2
	s_and_not1_saveexec_b32 s11, s42
; %bb.2453:                             ;   in Loop: Header=BB4_1885 Depth=2
	v_or_b32_e32 v101, 0x7e, v2
; %bb.2454:                             ;   in Loop: Header=BB4_1885 Depth=2
	s_or_b32 exec_lo, exec_lo, s11
                                        ; implicit-def: $vgpr2
.LBB4_2455:                             ;   in Loop: Header=BB4_1885 Depth=2
	s_and_not1_saveexec_b32 s11, s12
; %bb.2456:                             ;   in Loop: Header=BB4_1885 Depth=2
	v_or_b32_e32 v101, 0x7f, v2
; %bb.2457:                             ;   in Loop: Header=BB4_1885 Depth=2
	s_or_b32 exec_lo, exec_lo, s11
	v_dual_mov_b32 v2, 0 :: v_dual_lshrrev_b32 v3, 16, v38
	s_mov_b32 s11, exec_lo
	s_delay_alu instid0(VALU_DEP_1) | instskip(NEXT) | instid1(VALU_DEP_1)
	v_and_b32_e32 v30, 0xff, v3
	v_cmpx_ne_u16_e32 0, v30
	s_cbranch_execz .LBB4_2465
; %bb.2458:                             ;   in Loop: Header=BB4_1885 Depth=2
	v_bfrev_b32_e32 v2, 1
	s_mov_b32 s12, exec_lo
	v_cmpx_ne_u16_e32 0x80, v30
	s_cbranch_execz .LBB4_2464
; %bb.2459:                             ;   in Loop: Header=BB4_1885 Depth=2
	v_bfe_u32 v30, v38, 16, 7
	v_mov_b32_e32 v2, 0x7f800001
	s_mov_b32 s42, exec_lo
	s_delay_alu instid0(VALU_DEP_2)
	v_cmpx_ne_u32_e32 0x7f, v30
	s_cbranch_execz .LBB4_2463
; %bb.2460:                             ;   in Loop: Header=BB4_1885 Depth=2
	v_dual_mov_b32 v97, v39 :: v_dual_bitop2_b32 v96, 7, v3 bitop3:0x40
	v_lshrrev_b32_e32 v2, 3, v30
	s_mov_b32 s43, exec_lo
	v_cmpx_gt_u32_e32 8, v30
; %bb.2461:                             ;   in Loop: Header=BB4_1885 Depth=2
	s_delay_alu instid0(VALU_DEP_3) | instskip(NEXT) | instid1(VALU_DEP_1)
	v_clz_i32_u32_e32 v2, v96
	v_min_u32_e32 v2, 32, v2
	s_delay_alu instid0(VALU_DEP_1) | instskip(NEXT) | instid1(VALU_DEP_1)
	v_subrev_nc_u32_e32 v20, 28, v2
	v_lshlrev_b64_e32 v[20:21], v20, v[96:97]
	s_delay_alu instid0(VALU_DEP_1)
	v_dual_sub_nc_u32 v2, 29, v2 :: v_dual_bitop2_b32 v96, 7, v20 bitop3:0x40
; %bb.2462:                             ;   in Loop: Header=BB4_1885 Depth=2
	s_or_b32 exec_lo, exec_lo, s43
	s_delay_alu instid0(VALU_DEP_1) | instskip(NEXT) | instid1(VALU_DEP_2)
	v_dual_lshlrev_b32 v3, 24, v3 :: v_dual_lshlrev_b32 v20, 20, v96
	v_lshl_add_u32 v2, v2, 23, 0x3c000000
	s_delay_alu instid0(VALU_DEP_2) | instskip(NEXT) | instid1(VALU_DEP_1)
	v_and_b32_e32 v3, 0x80000000, v3
	v_or3_b32 v2, v20, v3, v2
.LBB4_2463:                             ;   in Loop: Header=BB4_1885 Depth=2
	s_or_b32 exec_lo, exec_lo, s42
.LBB4_2464:                             ;   in Loop: Header=BB4_1885 Depth=2
	s_delay_alu instid0(SALU_CYCLE_1)
	s_or_b32 exec_lo, exec_lo, s12
.LBB4_2465:                             ;   in Loop: Header=BB4_1885 Depth=2
	s_delay_alu instid0(SALU_CYCLE_1) | instskip(SKIP_3) | instid1(VALU_DEP_1)
	s_or_b32 exec_lo, exec_lo, s11
	v_lshrrev_b32_e32 v30, 16, v11
	s_mov_b32 s12, 0
	s_mov_b32 s11, exec_lo
	v_and_b32_e32 v96, 0xff, v30
	s_delay_alu instid0(VALU_DEP_1)
	v_cmpx_lt_i16_e32 0x7f, v96
	s_xor_b32 s11, exec_lo, s11
	s_cbranch_execnz .LBB4_2468
; %bb.2466:                             ;   in Loop: Header=BB4_1885 Depth=2
	s_or_saveexec_b32 s11, s11
	v_bfrev_b32_e32 v3, 1
	s_xor_b32 exec_lo, exec_lo, s11
	s_cbranch_execnz .LBB4_2471
.LBB4_2467:                             ;   in Loop: Header=BB4_1885 Depth=2
	s_or_b32 exec_lo, exec_lo, s11
	s_and_saveexec_b32 s11, s12
	s_cbranch_execnz .LBB4_2472
	s_branch .LBB4_2475
.LBB4_2468:                             ;   in Loop: Header=BB4_1885 Depth=2
	s_mov_b32 s12, -1
	s_mov_b32 s42, exec_lo
	v_cmpx_eq_u16_e32 0x80, v96
; %bb.2469:                             ;   in Loop: Header=BB4_1885 Depth=2
	s_xor_b32 s12, exec_lo, -1
; %bb.2470:                             ;   in Loop: Header=BB4_1885 Depth=2
	s_or_b32 exec_lo, exec_lo, s42
	s_delay_alu instid0(SALU_CYCLE_1)
	s_and_b32 s12, s12, exec_lo
                                        ; implicit-def: $vgpr96
	s_or_saveexec_b32 s11, s11
	v_bfrev_b32_e32 v3, 1
	s_xor_b32 exec_lo, exec_lo, s11
	s_cbranch_execz .LBB4_2467
.LBB4_2471:                             ;   in Loop: Header=BB4_1885 Depth=2
	v_cmp_ne_u16_e32 vcc_lo, 0, v96
	v_mov_b32_e32 v3, 0
	s_and_not1_b32 s12, s12, exec_lo
	s_and_b32 s42, vcc_lo, exec_lo
	s_delay_alu instid0(SALU_CYCLE_1)
	s_or_b32 s12, s12, s42
	s_or_b32 exec_lo, exec_lo, s11
	s_and_saveexec_b32 s11, s12
	s_cbranch_execz .LBB4_2475
.LBB4_2472:                             ;   in Loop: Header=BB4_1885 Depth=2
	v_and_b32_e32 v96, 0x7f, v30
	v_mov_b32_e32 v3, 0x7f800001
	s_mov_b32 s12, exec_lo
	s_delay_alu instid0(VALU_DEP_2)
	v_cmpx_ne_u32_e32 0x7f, v96
	s_cbranch_execz .LBB4_2474
; %bb.2473:                             ;   in Loop: Header=BB4_1885 Depth=2
	v_and_b32_e32 v3, 7, v30
	v_cmp_gt_u32_e32 vcc_lo, 8, v96
	s_delay_alu instid0(VALU_DEP_2) | instskip(NEXT) | instid1(VALU_DEP_1)
	v_clz_i32_u32_e32 v20, v3
	v_min_u32_e32 v97, 32, v20
	s_delay_alu instid0(VALU_DEP_1) | instskip(NEXT) | instid1(VALU_DEP_1)
	v_subrev_nc_u32_e32 v20, 28, v97
	v_lshlrev_b64_e32 v[20:21], v20, v[30:31]
	v_dual_lshrrev_b32 v21, 3, v96 :: v_dual_sub_nc_u32 v97, 29, v97
	s_delay_alu instid0(VALU_DEP_2) | instskip(NEXT) | instid1(VALU_DEP_1)
	v_dual_lshlrev_b32 v30, 24, v30 :: v_dual_bitop2_b32 v20, 7, v20 bitop3:0x40
	v_dual_cndmask_b32 v21, v21, v97, vcc_lo :: v_dual_cndmask_b32 v3, v3, v20, vcc_lo
	s_delay_alu instid0(VALU_DEP_2) | instskip(NEXT) | instid1(VALU_DEP_2)
	v_and_b32_e32 v20, 0x80000000, v30
	v_lshl_add_u32 v21, v21, 23, 0x3c000000
	s_delay_alu instid0(VALU_DEP_3) | instskip(NEXT) | instid1(VALU_DEP_1)
	v_lshlrev_b32_e32 v3, 20, v3
	v_or3_b32 v3, v3, v20, v21
.LBB4_2474:                             ;   in Loop: Header=BB4_1885 Depth=2
	s_or_b32 exec_lo, exec_lo, s12
.LBB4_2475:                             ;   in Loop: Header=BB4_1885 Depth=2
	s_delay_alu instid0(SALU_CYCLE_1) | instskip(NEXT) | instid1(VALU_DEP_1)
	s_or_b32 exec_lo, exec_lo, s11
	v_dual_add_f32 v3, v2, v3 :: v_dual_mov_b32 v21, v39
                                        ; implicit-def: $vgpr60
	s_mov_b32 s11, exec_lo
	s_delay_alu instid0(VALU_DEP_1) | instskip(SKIP_1) | instid1(VALU_DEP_2)
	v_and_b32_e32 v20, 0x7f800000, v3
	v_lshrrev_b32_e32 v2, 24, v3
	v_cmpx_ne_u64_e32 0x7f800000, v[20:21]
	s_xor_b32 s12, exec_lo, s11
	s_cbranch_execz .LBB4_2489
; %bb.2476:                             ;   in Loop: Header=BB4_1885 Depth=2
	v_and_b32_e32 v20, 0x7fffffff, v3
	v_mov_b32_e32 v21, v39
	v_and_b32_e32 v2, 0x80, v2
                                        ; implicit-def: $vgpr60
	s_mov_b32 s11, exec_lo
	s_delay_alu instid0(VALU_DEP_2)
	v_cmpx_gt_u64_e32 0x43e00001, v[20:21]
	s_xor_b32 s42, exec_lo, s11
	s_cbranch_execz .LBB4_2486
; %bb.2477:                             ;   in Loop: Header=BB4_1885 Depth=2
	v_mov_b32_e32 v60, 0
	s_mov_b32 s43, exec_lo
	v_cmpx_ne_u32_e32 0, v3
	s_cbranch_execz .LBB4_2485
; %bb.2478:                             ;   in Loop: Header=BB4_1885 Depth=2
	v_bfe_u32 v30, v3, 23, 8
	v_and_b32_e32 v3, 0x7fffff, v3
	s_delay_alu instid0(VALU_DEP_2) | instskip(SKIP_1) | instid1(VALU_DEP_3)
	v_dual_mov_b32 v97, v39 :: v_dual_sub_nc_u32 v20, 0x79, v30
	v_cmp_gt_u32_e32 vcc_lo, 0x7a, v30
	v_or_b32_e32 v96, 0x800000, v3
	s_delay_alu instid0(VALU_DEP_3) | instskip(SKIP_1) | instid1(VALU_DEP_2)
	v_cndmask_b32_e32 v20, 0, v20, vcc_lo
	v_cmp_eq_u32_e32 vcc_lo, 0, v30
	v_cndmask_b32_e64 v113, v20, 0x78, vcc_lo
	s_delay_alu instid0(VALU_DEP_1) | instskip(SKIP_1) | instid1(VALU_DEP_2)
	v_dual_cndmask_b32 v96, v96, v3, vcc_lo :: v_dual_add_nc_u32 v20, 20, v113
	v_add_nc_u32_e32 v98, 19, v113
	v_lshlrev_b64_e64 v[20:21], v20, -1
	s_delay_alu instid0(VALU_DEP_2) | instskip(NEXT) | instid1(VALU_DEP_2)
	v_lshlrev_b64_e64 v[98:99], v98, 1
	v_bfi_b32 v20, v20, 0, v96
	v_lshrrev_b64 v[96:97], v113, v[96:97]
	s_delay_alu instid0(VALU_DEP_4) | instskip(NEXT) | instid1(VALU_DEP_1)
	v_bfi_b32 v21, v21, 0, 0
	v_cmp_eq_u64_e64 s11, v[20:21], v[98:99]
	s_delay_alu instid0(VALU_DEP_3)
	v_mov_b64_e32 v[98:99], v[96:97]
	s_and_saveexec_b32 s44, s11
; %bb.2479:                             ;   in Loop: Header=BB4_1885 Depth=2
	v_bfe_u32 v20, v96, 20, 1
	v_mov_b32_e32 v21, v39
	s_delay_alu instid0(VALU_DEP_1) | instskip(NEXT) | instid1(VALU_DEP_1)
	v_add_nc_u64_e32 v[20:21], v[96:97], v[20:21]
	v_add_nc_u64_e32 v[98:99], -1, v[20:21]
; %bb.2480:                             ;   in Loop: Header=BB4_1885 Depth=2
	s_or_b32 exec_lo, exec_lo, s44
	v_add_nc_u32_e32 v3, 0xffffff81, v30
	v_dual_mov_b32 v97, v39 :: v_dual_lshrrev_b32 v20, 23, v96
	s_mov_b32 s11, exec_lo
	s_delay_alu instid0(VALU_DEP_2) | instskip(NEXT) | instid1(VALU_DEP_1)
	v_cndmask_b32_e64 v3, v3, 0xffffff82, vcc_lo
	v_add3_u32 v30, v113, v3, v20
	v_and_b32_e32 v3, 0xfffff, v98
	s_delay_alu instid0(VALU_DEP_1) | instskip(NEXT) | instid1(VALU_DEP_1)
	v_dual_add_nc_u32 v98, 6, v30 :: v_dual_add_nc_u32 v96, v3, v96
                                        ; implicit-def: $vgpr3
	v_cmpx_ne_u32_e32 0, v98
	s_xor_b32 s11, exec_lo, s11
; %bb.2481:                             ;   in Loop: Header=BB4_1885 Depth=2
	s_delay_alu instid0(VALU_DEP_2) | instskip(SKIP_2) | instid1(VALU_DEP_2)
	v_cmp_lt_u64_e32 vcc_lo, 0xffffff, v[96:97]
	v_add_nc_u32_e32 v3, 7, v30
	v_cndmask_b32_e64 v20, 0, 1, vcc_lo
	v_cndmask_b32_e32 v3, v98, v3, vcc_lo
	s_delay_alu instid0(VALU_DEP_2)
	v_lshrrev_b64 v[96:97], v20, v[96:97]
; %bb.2482:                             ;   in Loop: Header=BB4_1885 Depth=2
	s_and_not1_saveexec_b32 s11, s11
; %bb.2483:                             ;   in Loop: Header=BB4_1885 Depth=2
	s_delay_alu instid0(VALU_DEP_1)
	v_bfe_u32 v3, v96, 23, 1
; %bb.2484:                             ;   in Loop: Header=BB4_1885 Depth=2
	s_or_b32 exec_lo, exec_lo, s11
	s_delay_alu instid0(VALU_DEP_2) | instskip(NEXT) | instid1(VALU_DEP_2)
	v_lshrrev_b64 v[20:21], 20, v[96:97]
	v_cmp_gt_i32_e32 vcc_lo, 16, v3
	v_min_i32_e32 v30, 15, v3
	v_cmp_eq_u32_e64 s11, 0, v3
	s_delay_alu instid0(VALU_DEP_2) | instskip(SKIP_1) | instid1(VALU_DEP_2)
	v_dual_cndmask_b32 v21, 0, v21 :: v_dual_lshlrev_b32 v30, 3, v30
	v_cndmask_b32_e32 v20, 7, v20, vcc_lo
	v_and_b32_e32 v30, 0xf8, v30
	s_delay_alu instid0(VALU_DEP_2) | instskip(NEXT) | instid1(VALU_DEP_2)
	v_cmp_eq_u64_e32 vcc_lo, 0, v[20:21]
	v_and_or_b32 v3, v20, 7, v30
	s_and_b32 s11, s11, vcc_lo
	s_delay_alu instid0(VALU_DEP_1) | instid1(SALU_CYCLE_1)
	v_cndmask_b32_e64 v3, v3, 0, s11
	s_delay_alu instid0(VALU_DEP_1)
	v_or_b32_e32 v60, v3, v2
.LBB4_2485:                             ;   in Loop: Header=BB4_1885 Depth=2
	s_or_b32 exec_lo, exec_lo, s43
                                        ; implicit-def: $vgpr2
.LBB4_2486:                             ;   in Loop: Header=BB4_1885 Depth=2
	s_and_not1_saveexec_b32 s11, s42
; %bb.2487:                             ;   in Loop: Header=BB4_1885 Depth=2
	v_or_b32_e32 v60, 0x7e, v2
; %bb.2488:                             ;   in Loop: Header=BB4_1885 Depth=2
	s_or_b32 exec_lo, exec_lo, s11
                                        ; implicit-def: $vgpr2
.LBB4_2489:                             ;   in Loop: Header=BB4_1885 Depth=2
	s_and_not1_saveexec_b32 s11, s12
; %bb.2490:                             ;   in Loop: Header=BB4_1885 Depth=2
	v_or_b32_e32 v60, 0x7f, v2
; %bb.2491:                             ;   in Loop: Header=BB4_1885 Depth=2
	s_or_b32 exec_lo, exec_lo, s11
	v_mov_b32_e32 v2, 0
	s_mov_b32 s11, exec_lo
	v_cmpx_lt_u32_e32 0xffffff, v38
	s_cbranch_execz .LBB4_2499
; %bb.2492:                             ;   in Loop: Header=BB4_1885 Depth=2
	v_lshrrev_b32_e32 v3, 24, v38
	v_bfrev_b32_e32 v2, 1
	s_mov_b32 s12, exec_lo
	s_delay_alu instid0(VALU_DEP_2)
	v_cmpx_ne_u32_e32 0x80, v3
	s_cbranch_execz .LBB4_2498
; %bb.2493:                             ;   in Loop: Header=BB4_1885 Depth=2
	v_bfe_u32 v30, v38, 24, 7
	v_mov_b32_e32 v2, 0x7f800001
	s_mov_b32 s42, exec_lo
	s_delay_alu instid0(VALU_DEP_2)
	v_cmpx_ne_u32_e32 0x7f, v30
	s_cbranch_execz .LBB4_2497
; %bb.2494:                             ;   in Loop: Header=BB4_1885 Depth=2
	v_dual_lshrrev_b32 v2, 3, v30 :: v_dual_bitop2_b32 v38, 7, v3 bitop3:0x40
	s_mov_b32 s43, exec_lo
	s_delay_alu instid0(VALU_DEP_1)
	v_mov_b64_e32 v[96:97], v[38:39]
	v_cmpx_gt_u32_e32 8, v30
; %bb.2495:                             ;   in Loop: Header=BB4_1885 Depth=2
	v_clz_i32_u32_e32 v2, v38
	s_delay_alu instid0(VALU_DEP_1) | instskip(NEXT) | instid1(VALU_DEP_1)
	v_min_u32_e32 v2, 32, v2
	v_subrev_nc_u32_e32 v20, 28, v2
	s_delay_alu instid0(VALU_DEP_1) | instskip(NEXT) | instid1(VALU_DEP_1)
	v_lshlrev_b64_e32 v[20:21], v20, v[38:39]
	v_dual_sub_nc_u32 v2, 29, v2 :: v_dual_bitop2_b32 v96, 7, v20 bitop3:0x40
; %bb.2496:                             ;   in Loop: Header=BB4_1885 Depth=2
	s_or_b32 exec_lo, exec_lo, s43
	s_delay_alu instid0(VALU_DEP_1) | instskip(NEXT) | instid1(VALU_DEP_2)
	v_dual_lshlrev_b32 v3, 24, v3 :: v_dual_lshlrev_b32 v20, 20, v96
	v_lshl_add_u32 v2, v2, 23, 0x3c000000
	s_delay_alu instid0(VALU_DEP_2) | instskip(NEXT) | instid1(VALU_DEP_1)
	v_and_b32_e32 v3, 0x80000000, v3
	v_or3_b32 v2, v20, v3, v2
.LBB4_2497:                             ;   in Loop: Header=BB4_1885 Depth=2
	s_or_b32 exec_lo, exec_lo, s42
.LBB4_2498:                             ;   in Loop: Header=BB4_1885 Depth=2
	s_delay_alu instid0(SALU_CYCLE_1)
	s_or_b32 exec_lo, exec_lo, s12
.LBB4_2499:                             ;   in Loop: Header=BB4_1885 Depth=2
	s_delay_alu instid0(SALU_CYCLE_1) | instskip(SKIP_3) | instid1(VALU_DEP_3)
	s_or_b32 exec_lo, exec_lo, s11
	v_lshrrev_b32_e32 v30, 24, v11
	v_bfe_u32 v3, v11, 24, 7
	v_cmp_gt_u64_e64 s12, s[16:17], v[10:11]
	v_cmp_eq_u32_e64 s11, 0x80, v30
	s_delay_alu instid0(VALU_DEP_3) | instskip(NEXT) | instid1(VALU_DEP_2)
	v_cmp_eq_u32_e32 vcc_lo, 0x7f, v3
	v_cndmask_b32_e64 v20, 0x7f800001, v118, s11
	s_or_b32 s11, s11, vcc_lo
	s_delay_alu instid0(VALU_DEP_1) | instskip(SKIP_1) | instid1(SALU_CYCLE_1)
	v_cndmask_b32_e64 v10, v20, 0, s12
	s_nor_b32 s12, s12, s11
	s_and_saveexec_b32 s11, s12
	s_cbranch_execz .LBB4_2501
; %bb.2500:                             ;   in Loop: Header=BB4_1885 Depth=2
	v_and_b32_e32 v20, 7, v30
	v_cmp_gt_u32_e32 vcc_lo, 8, v3
	s_delay_alu instid0(VALU_DEP_2) | instskip(NEXT) | instid1(VALU_DEP_1)
	v_clz_i32_u32_e32 v10, v20
	v_min_u32_e32 v21, 32, v10
	s_delay_alu instid0(VALU_DEP_1) | instskip(NEXT) | instid1(VALU_DEP_1)
	v_subrev_nc_u32_e32 v10, 28, v21
	v_lshlrev_b64_e32 v[10:11], v10, v[30:31]
	v_dual_lshrrev_b32 v11, 3, v3 :: v_dual_sub_nc_u32 v21, 29, v21
	s_delay_alu instid0(VALU_DEP_2) | instskip(NEXT) | instid1(VALU_DEP_2)
	v_and_b32_e32 v3, 7, v10
	v_dual_cndmask_b32 v11, v11, v21 :: v_dual_lshlrev_b32 v10, 24, v30
	s_delay_alu instid0(VALU_DEP_2) | instskip(NEXT) | instid1(VALU_DEP_2)
	v_cndmask_b32_e32 v3, v20, v3, vcc_lo
	v_and_b32_e32 v10, 0x80000000, v10
	s_delay_alu instid0(VALU_DEP_3) | instskip(NEXT) | instid1(VALU_DEP_3)
	v_lshl_add_u32 v11, v11, 23, 0x3c000000
	v_lshlrev_b32_e32 v3, 20, v3
	s_delay_alu instid0(VALU_DEP_1)
	v_or3_b32 v10, v3, v10, v11
.LBB4_2501:                             ;   in Loop: Header=BB4_1885 Depth=2
	s_or_b32 exec_lo, exec_lo, s11
	s_delay_alu instid0(VALU_DEP_1) | instskip(SKIP_1) | instid1(VALU_DEP_1)
	v_add_f32_e32 v3, v2, v10
                                        ; implicit-def: $vgpr30
	s_mov_b32 s11, exec_lo
	v_and_b32_e32 v38, 0x7f800000, v3
	v_lshrrev_b32_e32 v2, 24, v3
	s_delay_alu instid0(VALU_DEP_2)
	v_cmpx_ne_u64_e32 0x7f800000, v[38:39]
	s_xor_b32 s12, exec_lo, s11
	s_cbranch_execz .LBB4_2515
; %bb.2502:                             ;   in Loop: Header=BB4_1885 Depth=2
	v_and_b32_e32 v38, 0x7fffffff, v3
	v_and_b32_e32 v2, 0x80, v2
                                        ; implicit-def: $vgpr30
	s_mov_b32 s11, exec_lo
	s_delay_alu instid0(VALU_DEP_2)
	v_cmpx_gt_u64_e32 0x43e00001, v[38:39]
	s_xor_b32 s42, exec_lo, s11
	s_cbranch_execz .LBB4_2512
; %bb.2503:                             ;   in Loop: Header=BB4_1885 Depth=2
	v_mov_b32_e32 v30, 0
	s_mov_b32 s43, exec_lo
	v_cmpx_ne_u32_e32 0, v3
	s_cbranch_execz .LBB4_2511
; %bb.2504:                             ;   in Loop: Header=BB4_1885 Depth=2
	v_bfe_u32 v30, v3, 23, 8
	v_and_b32_e32 v3, 0x7fffff, v3
	s_delay_alu instid0(VALU_DEP_2) | instskip(SKIP_1) | instid1(VALU_DEP_3)
	v_sub_nc_u32_e32 v10, 0x79, v30
	v_cmp_gt_u32_e32 vcc_lo, 0x7a, v30
	v_or_b32_e32 v20, 0x800000, v3
	s_delay_alu instid0(VALU_DEP_3) | instskip(SKIP_1) | instid1(VALU_DEP_3)
	v_cndmask_b32_e32 v10, 0, v10, vcc_lo
	v_cmp_eq_u32_e32 vcc_lo, 0, v30
	v_cndmask_b32_e32 v38, v20, v3, vcc_lo
	s_delay_alu instid0(VALU_DEP_3) | instskip(NEXT) | instid1(VALU_DEP_1)
	v_cndmask_b32_e64 v98, v10, 0x78, vcc_lo
	v_dual_add_nc_u32 v10, 20, v98 :: v_dual_add_nc_u32 v21, 19, v98
	s_delay_alu instid0(VALU_DEP_1) | instskip(NEXT) | instid1(VALU_DEP_2)
	v_lshlrev_b64_e64 v[10:11], v10, -1
	v_lshlrev_b64_e64 v[20:21], v21, 1
	s_delay_alu instid0(VALU_DEP_2) | instskip(NEXT) | instid1(VALU_DEP_3)
	v_bfi_b32 v97, v11, 0, 0
	v_bfi_b32 v96, v10, 0, v38
	v_lshrrev_b64 v[10:11], v98, v[38:39]
	s_delay_alu instid0(VALU_DEP_2) | instskip(NEXT) | instid1(VALU_DEP_2)
	v_cmp_eq_u64_e64 s11, v[96:97], v[20:21]
	v_mov_b64_e32 v[96:97], v[10:11]
	s_and_saveexec_b32 s44, s11
; %bb.2505:                             ;   in Loop: Header=BB4_1885 Depth=2
	v_bfe_u32 v38, v10, 20, 1
	s_delay_alu instid0(VALU_DEP_1) | instskip(NEXT) | instid1(VALU_DEP_1)
	v_add_nc_u64_e32 v[20:21], v[10:11], v[38:39]
	v_add_nc_u64_e32 v[96:97], -1, v[20:21]
; %bb.2506:                             ;   in Loop: Header=BB4_1885 Depth=2
	s_or_b32 exec_lo, exec_lo, s44
	v_add_nc_u32_e32 v3, 0xffffff81, v30
	v_lshrrev_b32_e32 v11, 23, v10
	s_mov_b32 s11, exec_lo
	s_delay_alu instid0(VALU_DEP_2) | instskip(NEXT) | instid1(VALU_DEP_1)
	v_cndmask_b32_e64 v3, v3, 0xffffff82, vcc_lo
	v_add3_u32 v30, v98, v3, v11
	v_and_b32_e32 v3, 0xfffff, v96
	s_delay_alu instid0(VALU_DEP_2) | instskip(NEXT) | instid1(VALU_DEP_2)
	v_add_nc_u32_e32 v96, 6, v30
	v_add_nc_u32_e32 v38, v3, v10
                                        ; implicit-def: $vgpr10_vgpr11
                                        ; implicit-def: $vgpr3
	s_delay_alu instid0(VALU_DEP_2)
	v_cmpx_ne_u32_e32 0, v96
	s_xor_b32 s11, exec_lo, s11
; %bb.2507:                             ;   in Loop: Header=BB4_1885 Depth=2
	s_delay_alu instid0(VALU_DEP_2) | instskip(SKIP_2) | instid1(VALU_DEP_2)
	v_cmp_lt_u64_e32 vcc_lo, 0xffffff, v[38:39]
	v_add_nc_u32_e32 v3, 7, v30
	v_cndmask_b32_e64 v10, 0, 1, vcc_lo
	v_cndmask_b32_e32 v3, v96, v3, vcc_lo
	s_delay_alu instid0(VALU_DEP_2)
	v_lshrrev_b64 v[10:11], v10, v[38:39]
; %bb.2508:                             ;   in Loop: Header=BB4_1885 Depth=2
	s_and_not1_saveexec_b32 s11, s11
; %bb.2509:                             ;   in Loop: Header=BB4_1885 Depth=2
	v_mov_b64_e32 v[10:11], v[38:39]
	v_bfe_u32 v3, v38, 23, 1
; %bb.2510:                             ;   in Loop: Header=BB4_1885 Depth=2
	s_or_b32 exec_lo, exec_lo, s11
	s_delay_alu instid0(VALU_DEP_2) | instskip(NEXT) | instid1(VALU_DEP_2)
	v_lshrrev_b64 v[10:11], 20, v[10:11]
	v_cmp_gt_i32_e32 vcc_lo, 16, v3
	v_min_i32_e32 v20, 15, v3
	v_cmp_eq_u32_e64 s11, 0, v3
	s_delay_alu instid0(VALU_DEP_2) | instskip(SKIP_1) | instid1(VALU_DEP_2)
	v_dual_cndmask_b32 v10, 7, v10, vcc_lo :: v_dual_lshlrev_b32 v20, 3, v20
	v_cndmask_b32_e32 v11, 0, v11, vcc_lo
	v_and_b32_e32 v20, 0xf8, v20
	s_delay_alu instid0(VALU_DEP_2) | instskip(NEXT) | instid1(VALU_DEP_2)
	v_cmp_eq_u64_e32 vcc_lo, 0, v[10:11]
	v_and_or_b32 v3, v10, 7, v20
	s_and_b32 s11, s11, vcc_lo
	s_delay_alu instid0(VALU_DEP_1) | instid1(SALU_CYCLE_1)
	v_cndmask_b32_e64 v3, v3, 0, s11
	s_delay_alu instid0(VALU_DEP_1)
	v_or_b32_e32 v30, v3, v2
.LBB4_2511:                             ;   in Loop: Header=BB4_1885 Depth=2
	s_or_b32 exec_lo, exec_lo, s43
                                        ; implicit-def: $vgpr2
.LBB4_2512:                             ;   in Loop: Header=BB4_1885 Depth=2
	s_and_not1_saveexec_b32 s11, s42
; %bb.2513:                             ;   in Loop: Header=BB4_1885 Depth=2
	v_or_b32_e32 v30, 0x7e, v2
; %bb.2514:                             ;   in Loop: Header=BB4_1885 Depth=2
	s_or_b32 exec_lo, exec_lo, s11
                                        ; implicit-def: $vgpr2
.LBB4_2515:                             ;   in Loop: Header=BB4_1885 Depth=2
	s_and_not1_saveexec_b32 s11, s12
; %bb.2516:                             ;   in Loop: Header=BB4_1885 Depth=2
	v_or_b32_e32 v30, 0x7f, v2
; %bb.2517:                             ;   in Loop: Header=BB4_1885 Depth=2
	s_or_b32 exec_lo, exec_lo, s11
	v_lshl_or_b32 v2, v47, 8, v44
	v_dual_lshlrev_b32 v3, 16, v58 :: v_dual_lshlrev_b32 v10, 24, v59
	s_mov_b32 s11, exec_lo
	s_delay_alu instid0(VALU_DEP_1)
	v_or3_b32 v38, v3, v10, v2
	v_mov_b32_e32 v3, 0
	v_cmpx_ne_u32_e32 0, v44
	s_cbranch_execz .LBB4_2523
; %bb.2518:                             ;   in Loop: Header=BB4_1885 Depth=2
	v_bfrev_b32_e32 v3, 1
	s_mov_b32 s12, exec_lo
	v_cmpx_ne_u32_e32 0x80, v44
	s_cbranch_execz .LBB4_2522
; %bb.2519:                             ;   in Loop: Header=BB4_1885 Depth=2
	v_and_b32_e32 v10, 0x7f, v44
	v_mov_b32_e32 v3, 0x7f800001
	s_mov_b32 s42, exec_lo
	s_delay_alu instid0(VALU_DEP_2)
	v_cmpx_ne_u32_e32 0x7f, v10
	s_cbranch_execz .LBB4_2521
; %bb.2520:                             ;   in Loop: Header=BB4_1885 Depth=2
	v_dual_lshrrev_b32 v11, 3, v10 :: v_dual_bitop2_b32 v3, 7, v44 bitop3:0x40
	v_cmp_gt_u32_e32 vcc_lo, 8, v10
	s_delay_alu instid0(VALU_DEP_2) | instskip(NEXT) | instid1(VALU_DEP_1)
	v_clz_i32_u32_e32 v3, v3
	v_min_u32_e32 v3, 32, v3
	s_delay_alu instid0(VALU_DEP_1) | instskip(NEXT) | instid1(VALU_DEP_1)
	v_subrev_nc_u32_e32 v20, 28, v3
	v_dual_cndmask_b32 v10, 0, v20 :: v_dual_sub_nc_u32 v3, 29, v3
	s_delay_alu instid0(VALU_DEP_1) | instskip(NEXT) | instid1(VALU_DEP_2)
	v_cndmask_b32_e32 v3, v11, v3, vcc_lo
	v_lshlrev_b64_e32 v[10:11], v10, v[38:39]
	v_lshlrev_b32_e32 v11, 24, v38
	s_delay_alu instid0(VALU_DEP_3) | instskip(NEXT) | instid1(VALU_DEP_2)
	v_lshl_add_u32 v3, v3, 23, 0x3c000000
	v_and_b32_e32 v11, 0x80000000, v11
	s_delay_alu instid0(VALU_DEP_4) | instskip(NEXT) | instid1(VALU_DEP_1)
	v_lshlrev_b32_e32 v10, 20, v10
	v_and_b32_e32 v10, 0x700000, v10
	s_delay_alu instid0(VALU_DEP_1)
	v_or3_b32 v3, v10, v11, v3
.LBB4_2521:                             ;   in Loop: Header=BB4_1885 Depth=2
	s_or_b32 exec_lo, exec_lo, s42
.LBB4_2522:                             ;   in Loop: Header=BB4_1885 Depth=2
	s_delay_alu instid0(SALU_CYCLE_1)
	s_or_b32 exec_lo, exec_lo, s12
.LBB4_2523:                             ;   in Loop: Header=BB4_1885 Depth=2
	s_delay_alu instid0(SALU_CYCLE_1) | instskip(SKIP_3) | instid1(VALU_DEP_1)
	s_or_b32 exec_lo, exec_lo, s11
	v_and_b32_e32 v11, 0xff, v12
	s_mov_b32 s11, 0
	s_mov_b32 s12, exec_lo
	v_cmpx_lt_i16_e32 0x7f, v11
	s_xor_b32 s12, exec_lo, s12
	s_cbranch_execnz .LBB4_2554
; %bb.2524:                             ;   in Loop: Header=BB4_1885 Depth=2
	s_or_saveexec_b32 s12, s12
	v_bfrev_b32_e32 v10, 1
	s_xor_b32 exec_lo, exec_lo, s12
	s_cbranch_execnz .LBB4_2557
.LBB4_2525:                             ;   in Loop: Header=BB4_1885 Depth=2
	s_or_b32 exec_lo, exec_lo, s12
	s_and_saveexec_b32 s12, s11
	s_cbranch_execz .LBB4_2527
.LBB4_2526:                             ;   in Loop: Header=BB4_1885 Depth=2
	v_and_b32_e32 v10, 7, v12
	v_and_b32_e32 v20, 0x7f, v12
	v_bfe_u32 v11, v12, 3, 4
	s_delay_alu instid0(VALU_DEP_3) | instskip(NEXT) | instid1(VALU_DEP_3)
	v_clz_i32_u32_e32 v10, v10
	v_cmp_gt_u32_e32 vcc_lo, 8, v20
	s_delay_alu instid0(VALU_DEP_2) | instskip(NEXT) | instid1(VALU_DEP_1)
	v_min_u32_e32 v10, 32, v10
	v_subrev_nc_u32_e32 v21, 28, v10
	v_sub_nc_u32_e32 v10, 29, v10
	s_delay_alu instid0(VALU_DEP_1) | instskip(SKIP_1) | instid1(VALU_DEP_2)
	v_dual_cndmask_b32 v96, v11, v10, vcc_lo :: v_dual_cndmask_b32 v10, 0, v21, vcc_lo
	v_cmp_ne_u32_e32 vcc_lo, 0x7f, v20
	v_lshl_add_u32 v21, v96, 23, 0x3c000000
	s_delay_alu instid0(VALU_DEP_3) | instskip(SKIP_1) | instid1(VALU_DEP_1)
	v_lshlrev_b64_e32 v[10:11], v10, v[12:13]
	v_lshlrev_b32_e32 v11, 24, v12
	v_and_b32_e32 v11, 0x80000000, v11
	s_delay_alu instid0(VALU_DEP_3) | instskip(NEXT) | instid1(VALU_DEP_1)
	v_lshlrev_b32_e32 v10, 20, v10
	v_and_b32_e32 v10, 0x700000, v10
	s_delay_alu instid0(VALU_DEP_1) | instskip(NEXT) | instid1(VALU_DEP_1)
	v_or3_b32 v10, v10, v11, v21
	v_cndmask_b32_e32 v10, 0x7f800001, v10, vcc_lo
.LBB4_2527:                             ;   in Loop: Header=BB4_1885 Depth=2
	s_or_b32 exec_lo, exec_lo, s12
	s_delay_alu instid0(VALU_DEP_1) | instskip(SKIP_2) | instid1(VALU_DEP_2)
	v_add_f32_e32 v10, v3, v10
	v_mov_b32_e32 v21, v39
                                        ; implicit-def: $vgpr44
	s_mov_b32 s11, exec_lo
	v_and_b32_e32 v20, 0x7f800000, v10
	v_lshrrev_b32_e32 v3, 24, v10
	s_delay_alu instid0(VALU_DEP_2)
	v_cmpx_ne_u64_e32 0x7f800000, v[20:21]
	s_xor_b32 s12, exec_lo, s11
	s_cbranch_execz .LBB4_2541
; %bb.2528:                             ;   in Loop: Header=BB4_1885 Depth=2
	v_and_b32_e32 v20, 0x7fffffff, v10
	v_mov_b32_e32 v21, v39
	v_and_b32_e32 v3, 0x80, v3
                                        ; implicit-def: $vgpr44
	s_mov_b32 s11, exec_lo
	s_delay_alu instid0(VALU_DEP_2)
	v_cmpx_gt_u64_e32 0x43e00001, v[20:21]
	s_xor_b32 s42, exec_lo, s11
	s_cbranch_execz .LBB4_2538
; %bb.2529:                             ;   in Loop: Header=BB4_1885 Depth=2
	v_mov_b32_e32 v44, 0
	s_mov_b32 s43, exec_lo
	v_cmpx_ne_u32_e32 0, v10
	s_cbranch_execz .LBB4_2537
; %bb.2530:                             ;   in Loop: Header=BB4_1885 Depth=2
	v_bfe_u32 v98, v10, 23, 8
	v_and_b32_e32 v20, 0x7fffff, v10
	s_delay_alu instid0(VALU_DEP_2) | instskip(NEXT) | instid1(VALU_DEP_2)
	v_cmp_gt_u32_e32 vcc_lo, 0x7a, v98
	v_or_b32_e32 v21, 0x800000, v20
	v_sub_nc_u32_e32 v11, 0x79, v98
	s_delay_alu instid0(VALU_DEP_1) | instskip(SKIP_1) | instid1(VALU_DEP_4)
	v_cndmask_b32_e32 v11, 0, v11, vcc_lo
	v_cmp_eq_u32_e32 vcc_lo, 0, v98
	v_dual_cndmask_b32 v20, v21, v20 :: v_dual_mov_b32 v21, v39
	s_delay_alu instid0(VALU_DEP_3) | instskip(NEXT) | instid1(VALU_DEP_1)
	v_cndmask_b32_e64 v99, v11, 0x78, vcc_lo
	v_dual_add_nc_u32 v10, 20, v99 :: v_dual_add_nc_u32 v96, 19, v99
	s_delay_alu instid0(VALU_DEP_1) | instskip(NEXT) | instid1(VALU_DEP_2)
	v_lshlrev_b64_e64 v[10:11], v10, -1
	v_lshlrev_b64_e64 v[96:97], v96, 1
	s_delay_alu instid0(VALU_DEP_2) | instskip(NEXT) | instid1(VALU_DEP_3)
	v_bfi_b32 v59, v11, 0, 0
	v_bfi_b32 v58, v10, 0, v20
	v_lshrrev_b64 v[10:11], v99, v[20:21]
	s_delay_alu instid0(VALU_DEP_2) | instskip(NEXT) | instid1(VALU_DEP_2)
	v_cmp_eq_u64_e64 s11, v[58:59], v[96:97]
	v_mov_b64_e32 v[96:97], v[10:11]
	s_and_saveexec_b32 s44, s11
; %bb.2531:                             ;   in Loop: Header=BB4_1885 Depth=2
	v_bfe_u32 v20, v10, 20, 1
	v_mov_b32_e32 v21, v39
	s_delay_alu instid0(VALU_DEP_1) | instskip(NEXT) | instid1(VALU_DEP_1)
	v_add_nc_u64_e32 v[20:21], v[10:11], v[20:21]
	v_add_nc_u64_e32 v[96:97], -1, v[20:21]
; %bb.2532:                             ;   in Loop: Header=BB4_1885 Depth=2
	s_or_b32 exec_lo, exec_lo, s44
	v_add_nc_u32_e32 v11, 0xffffff81, v98
	v_lshrrev_b32_e32 v20, 23, v10
	s_mov_b32 s11, exec_lo
	s_delay_alu instid0(VALU_DEP_2) | instskip(NEXT) | instid1(VALU_DEP_1)
	v_cndmask_b32_e64 v11, v11, 0xffffff82, vcc_lo
	v_add3_u32 v97, v99, v11, v20
	v_and_b32_e32 v11, 0xfffff, v96
                                        ; implicit-def: $vgpr96
	s_delay_alu instid0(VALU_DEP_1) | instskip(SKIP_1) | instid1(VALU_DEP_2)
	v_dual_add_nc_u32 v98, 6, v97 :: v_dual_add_nc_u32 v10, v11, v10
	v_mov_b32_e32 v11, v39
	v_cmpx_ne_u32_e32 0, v98
	s_xor_b32 s11, exec_lo, s11
; %bb.2533:                             ;   in Loop: Header=BB4_1885 Depth=2
	s_delay_alu instid0(VALU_DEP_2) | instskip(SKIP_1) | instid1(VALU_DEP_1)
	v_cmp_lt_u64_e32 vcc_lo, 0xffffff, v[10:11]
	v_add_nc_u32_e32 v20, 7, v97
	v_cndmask_b32_e32 v96, v98, v20, vcc_lo
	v_cndmask_b32_e64 v20, 0, 1, vcc_lo
	s_delay_alu instid0(VALU_DEP_1)
	v_lshrrev_b64 v[10:11], v20, v[10:11]
; %bb.2534:                             ;   in Loop: Header=BB4_1885 Depth=2
	s_and_not1_saveexec_b32 s11, s11
; %bb.2535:                             ;   in Loop: Header=BB4_1885 Depth=2
	s_delay_alu instid0(VALU_DEP_1)
	v_bfe_u32 v96, v10, 23, 1
; %bb.2536:                             ;   in Loop: Header=BB4_1885 Depth=2
	s_or_b32 exec_lo, exec_lo, s11
	s_delay_alu instid0(VALU_DEP_2) | instskip(NEXT) | instid1(VALU_DEP_2)
	v_lshrrev_b64 v[10:11], 20, v[10:11]
	v_cmp_gt_i32_e32 vcc_lo, 16, v96
	v_min_i32_e32 v20, 15, v96
	v_cmp_eq_u32_e64 s11, 0, v96
	s_delay_alu instid0(VALU_DEP_2) | instskip(SKIP_1) | instid1(VALU_DEP_2)
	v_dual_cndmask_b32 v11, 0, v11 :: v_dual_lshlrev_b32 v20, 3, v20
	v_cndmask_b32_e32 v10, 7, v10, vcc_lo
	v_and_b32_e32 v20, 0xf8, v20
	s_delay_alu instid0(VALU_DEP_2) | instskip(NEXT) | instid1(VALU_DEP_2)
	v_cmp_eq_u64_e32 vcc_lo, 0, v[10:11]
	v_and_or_b32 v10, v10, 7, v20
	s_and_b32 s11, s11, vcc_lo
	s_delay_alu instid0(VALU_DEP_1) | instid1(SALU_CYCLE_1)
	v_cndmask_b32_e64 v10, v10, 0, s11
	s_delay_alu instid0(VALU_DEP_1)
	v_or_b32_e32 v44, v10, v3
.LBB4_2537:                             ;   in Loop: Header=BB4_1885 Depth=2
	s_or_b32 exec_lo, exec_lo, s43
                                        ; implicit-def: $vgpr3
.LBB4_2538:                             ;   in Loop: Header=BB4_1885 Depth=2
	s_and_not1_saveexec_b32 s11, s42
; %bb.2539:                             ;   in Loop: Header=BB4_1885 Depth=2
	v_or_b32_e32 v44, 0x7e, v3
; %bb.2540:                             ;   in Loop: Header=BB4_1885 Depth=2
	s_or_b32 exec_lo, exec_lo, s11
                                        ; implicit-def: $vgpr3
.LBB4_2541:                             ;   in Loop: Header=BB4_1885 Depth=2
	s_and_not1_saveexec_b32 s11, s12
; %bb.2542:                             ;   in Loop: Header=BB4_1885 Depth=2
	v_or_b32_e32 v44, 0x7f, v3
; %bb.2543:                             ;   in Loop: Header=BB4_1885 Depth=2
	s_or_b32 exec_lo, exec_lo, s11
	v_lshrrev_b16 v10, 8, v2
	v_mov_b32_e32 v3, 0
	s_mov_b32 s11, exec_lo
	s_delay_alu instid0(VALU_DEP_2)
	v_cmpx_ne_u16_e32 0, v10
	s_cbranch_execz .LBB4_2551
; %bb.2544:                             ;   in Loop: Header=BB4_1885 Depth=2
	v_bfrev_b32_e32 v3, 1
	s_mov_b32 s12, exec_lo
	v_cmpx_ne_u16_e32 0x80, v10
	s_cbranch_execz .LBB4_2550
; %bb.2545:                             ;   in Loop: Header=BB4_1885 Depth=2
	v_and_b32_e32 v10, 0xffff, v10
	v_mov_b32_e32 v3, 0x7f800001
	s_mov_b32 s42, exec_lo
	s_delay_alu instid0(VALU_DEP_2) | instskip(NEXT) | instid1(VALU_DEP_1)
	v_and_b32_e32 v96, 0x7f, v10
	v_cmpx_ne_u32_e32 0x7f, v96
	s_cbranch_execz .LBB4_2549
; %bb.2546:                             ;   in Loop: Header=BB4_1885 Depth=2
	v_dual_mov_b32 v11, v39 :: v_dual_bitop2_b32 v10, 7, v10 bitop3:0x40
	v_lshrrev_b32_e32 v3, 3, v96
	s_mov_b32 s43, exec_lo
	v_cmpx_gt_u32_e32 8, v96
; %bb.2547:                             ;   in Loop: Header=BB4_1885 Depth=2
	s_delay_alu instid0(VALU_DEP_3) | instskip(NEXT) | instid1(VALU_DEP_1)
	v_clz_i32_u32_e32 v3, v10
	v_min_u32_e32 v3, 32, v3
	s_delay_alu instid0(VALU_DEP_1) | instskip(NEXT) | instid1(VALU_DEP_1)
	v_subrev_nc_u32_e32 v20, 28, v3
	v_lshlrev_b64_e32 v[10:11], v20, v[10:11]
	s_delay_alu instid0(VALU_DEP_1)
	v_dual_sub_nc_u32 v3, 29, v3 :: v_dual_bitop2_b32 v10, 7, v10 bitop3:0x40
; %bb.2548:                             ;   in Loop: Header=BB4_1885 Depth=2
	s_or_b32 exec_lo, exec_lo, s43
	v_lshlrev_b32_e32 v2, 16, v2
	s_delay_alu instid0(VALU_DEP_2) | instskip(NEXT) | instid1(VALU_DEP_3)
	v_lshlrev_b32_e32 v10, 20, v10
	v_lshl_add_u32 v3, v3, 23, 0x3c000000
	s_delay_alu instid0(VALU_DEP_3) | instskip(NEXT) | instid1(VALU_DEP_1)
	v_and_b32_e32 v2, 0x80000000, v2
	v_or3_b32 v3, v10, v2, v3
.LBB4_2549:                             ;   in Loop: Header=BB4_1885 Depth=2
	s_or_b32 exec_lo, exec_lo, s42
.LBB4_2550:                             ;   in Loop: Header=BB4_1885 Depth=2
	s_delay_alu instid0(SALU_CYCLE_1)
	s_or_b32 exec_lo, exec_lo, s12
.LBB4_2551:                             ;   in Loop: Header=BB4_1885 Depth=2
	s_delay_alu instid0(SALU_CYCLE_1) | instskip(SKIP_3) | instid1(VALU_DEP_1)
	s_or_b32 exec_lo, exec_lo, s11
	v_lshrrev_b16 v2, 8, v12
	s_mov_b32 s12, 0
	s_mov_b32 s11, exec_lo
	v_cmpx_lt_i16_e32 0x7f, v2
	s_xor_b32 s11, exec_lo, s11
	s_cbranch_execnz .LBB4_2558
; %bb.2552:                             ;   in Loop: Header=BB4_1885 Depth=2
	s_or_saveexec_b32 s11, s11
	v_bfrev_b32_e32 v11, 1
	s_xor_b32 exec_lo, exec_lo, s11
	s_cbranch_execnz .LBB4_2561
.LBB4_2553:                             ;   in Loop: Header=BB4_1885 Depth=2
	s_or_b32 exec_lo, exec_lo, s11
	s_and_saveexec_b32 s11, s12
	s_cbranch_execnz .LBB4_2562
	s_branch .LBB4_2565
.LBB4_2554:                             ;   in Loop: Header=BB4_1885 Depth=2
	s_mov_b32 s11, -1
	s_mov_b32 s42, exec_lo
	v_cmpx_eq_u16_e32 0x80, v11
; %bb.2555:                             ;   in Loop: Header=BB4_1885 Depth=2
	s_xor_b32 s11, exec_lo, -1
; %bb.2556:                             ;   in Loop: Header=BB4_1885 Depth=2
	s_or_b32 exec_lo, exec_lo, s42
	s_delay_alu instid0(SALU_CYCLE_1)
	s_and_b32 s11, s11, exec_lo
                                        ; implicit-def: $vgpr11
	s_or_saveexec_b32 s12, s12
	v_bfrev_b32_e32 v10, 1
	s_xor_b32 exec_lo, exec_lo, s12
	s_cbranch_execz .LBB4_2525
.LBB4_2557:                             ;   in Loop: Header=BB4_1885 Depth=2
	v_cmp_ne_u16_e32 vcc_lo, 0, v11
	v_mov_b32_e32 v10, 0
	s_and_not1_b32 s11, s11, exec_lo
	s_and_b32 s42, vcc_lo, exec_lo
	s_delay_alu instid0(SALU_CYCLE_1)
	s_or_b32 s11, s11, s42
	s_or_b32 exec_lo, exec_lo, s12
	s_and_saveexec_b32 s12, s11
	s_cbranch_execnz .LBB4_2526
	s_branch .LBB4_2527
.LBB4_2558:                             ;   in Loop: Header=BB4_1885 Depth=2
	s_mov_b32 s12, -1
	s_mov_b32 s42, exec_lo
	v_cmpx_eq_u16_e32 0x80, v2
; %bb.2559:                             ;   in Loop: Header=BB4_1885 Depth=2
	s_xor_b32 s12, exec_lo, -1
; %bb.2560:                             ;   in Loop: Header=BB4_1885 Depth=2
	s_or_b32 exec_lo, exec_lo, s42
	s_delay_alu instid0(SALU_CYCLE_1)
	s_and_b32 s12, s12, exec_lo
	s_or_saveexec_b32 s11, s11
	v_bfrev_b32_e32 v11, 1
	s_xor_b32 exec_lo, exec_lo, s11
	s_cbranch_execz .LBB4_2553
.LBB4_2561:                             ;   in Loop: Header=BB4_1885 Depth=2
	v_cmp_ne_u16_e32 vcc_lo, 0, v2
	v_mov_b32_e32 v11, 0
	s_and_not1_b32 s12, s12, exec_lo
	s_and_b32 s42, vcc_lo, exec_lo
	s_delay_alu instid0(SALU_CYCLE_1)
	s_or_b32 s12, s12, s42
	s_or_b32 exec_lo, exec_lo, s11
	s_and_saveexec_b32 s11, s12
	s_cbranch_execz .LBB4_2565
.LBB4_2562:                             ;   in Loop: Header=BB4_1885 Depth=2
	v_and_b32_e32 v10, 0xffff, v2
	v_mov_b32_e32 v11, 0x7f800001
	s_mov_b32 s12, exec_lo
	s_delay_alu instid0(VALU_DEP_2) | instskip(NEXT) | instid1(VALU_DEP_1)
	v_and_b32_e32 v96, 0x7f, v10
	v_cmpx_ne_u32_e32 0x7f, v96
	s_cbranch_execz .LBB4_2564
; %bb.2563:                             ;   in Loop: Header=BB4_1885 Depth=2
	v_and_b32_e32 v20, 7, v10
	v_cmp_gt_u32_e32 vcc_lo, 8, v96
	s_delay_alu instid0(VALU_DEP_2) | instskip(NEXT) | instid1(VALU_DEP_1)
	v_clz_i32_u32_e32 v11, v20
	v_min_u32_e32 v21, 32, v11
	s_delay_alu instid0(VALU_DEP_1) | instskip(NEXT) | instid1(VALU_DEP_1)
	v_subrev_nc_u32_e32 v11, 28, v21
	v_lshlrev_b64_e32 v[10:11], v11, v[10:11]
	v_dual_lshrrev_b32 v11, 3, v96 :: v_dual_sub_nc_u32 v21, 29, v21
	s_delay_alu instid0(VALU_DEP_2) | instskip(NEXT) | instid1(VALU_DEP_2)
	v_and_b32_e32 v10, 7, v10
	v_dual_cndmask_b32 v11, v11, v21 :: v_dual_lshlrev_b32 v2, 24, v2
	s_delay_alu instid0(VALU_DEP_2) | instskip(NEXT) | instid1(VALU_DEP_2)
	v_cndmask_b32_e32 v10, v20, v10, vcc_lo
	v_and_b32_e32 v2, 0x80000000, v2
	s_delay_alu instid0(VALU_DEP_3) | instskip(NEXT) | instid1(VALU_DEP_3)
	v_lshl_add_u32 v11, v11, 23, 0x3c000000
	v_lshlrev_b32_e32 v10, 20, v10
	s_delay_alu instid0(VALU_DEP_1)
	v_or3_b32 v11, v10, v2, v11
.LBB4_2564:                             ;   in Loop: Header=BB4_1885 Depth=2
	s_or_b32 exec_lo, exec_lo, s12
.LBB4_2565:                             ;   in Loop: Header=BB4_1885 Depth=2
	s_delay_alu instid0(SALU_CYCLE_1) | instskip(NEXT) | instid1(VALU_DEP_1)
	s_or_b32 exec_lo, exec_lo, s11
	v_add_f32_e32 v3, v3, v11
	v_mov_b32_e32 v11, v39
                                        ; implicit-def: $vgpr47
	s_mov_b32 s11, exec_lo
	s_delay_alu instid0(VALU_DEP_2) | instskip(SKIP_1) | instid1(VALU_DEP_2)
	v_and_b32_e32 v10, 0x7f800000, v3
	v_lshrrev_b32_e32 v2, 24, v3
	v_cmpx_ne_u64_e32 0x7f800000, v[10:11]
	s_xor_b32 s12, exec_lo, s11
	s_cbranch_execz .LBB4_2579
; %bb.2566:                             ;   in Loop: Header=BB4_1885 Depth=2
	v_and_b32_e32 v10, 0x7fffffff, v3
	v_mov_b32_e32 v11, v39
	v_and_b32_e32 v2, 0x80, v2
                                        ; implicit-def: $vgpr47
	s_mov_b32 s11, exec_lo
	s_delay_alu instid0(VALU_DEP_2)
	v_cmpx_gt_u64_e32 0x43e00001, v[10:11]
	s_xor_b32 s42, exec_lo, s11
	s_cbranch_execz .LBB4_2576
; %bb.2567:                             ;   in Loop: Header=BB4_1885 Depth=2
	v_mov_b32_e32 v47, 0
	s_mov_b32 s43, exec_lo
	v_cmpx_ne_u32_e32 0, v3
	s_cbranch_execz .LBB4_2575
; %bb.2568:                             ;   in Loop: Header=BB4_1885 Depth=2
	v_bfe_u32 v98, v3, 23, 8
	v_and_b32_e32 v3, 0x7fffff, v3
	s_delay_alu instid0(VALU_DEP_2) | instskip(SKIP_1) | instid1(VALU_DEP_3)
	v_dual_mov_b32 v21, v39 :: v_dual_sub_nc_u32 v10, 0x79, v98
	v_cmp_gt_u32_e32 vcc_lo, 0x7a, v98
	v_or_b32_e32 v20, 0x800000, v3
	s_delay_alu instid0(VALU_DEP_3) | instskip(SKIP_1) | instid1(VALU_DEP_2)
	v_cndmask_b32_e32 v10, 0, v10, vcc_lo
	v_cmp_eq_u32_e32 vcc_lo, 0, v98
	v_cndmask_b32_e64 v99, v10, 0x78, vcc_lo
	s_delay_alu instid0(VALU_DEP_4) | instskip(NEXT) | instid1(VALU_DEP_2)
	v_cndmask_b32_e32 v20, v20, v3, vcc_lo
	v_dual_add_nc_u32 v10, 20, v99 :: v_dual_add_nc_u32 v96, 19, v99
	s_delay_alu instid0(VALU_DEP_1) | instskip(NEXT) | instid1(VALU_DEP_2)
	v_lshlrev_b64_e64 v[10:11], v10, -1
	v_lshlrev_b64_e64 v[96:97], v96, 1
	s_delay_alu instid0(VALU_DEP_2) | instskip(NEXT) | instid1(VALU_DEP_3)
	v_bfi_b32 v59, v11, 0, 0
	v_bfi_b32 v58, v10, 0, v20
	v_lshrrev_b64 v[10:11], v99, v[20:21]
	s_delay_alu instid0(VALU_DEP_2) | instskip(NEXT) | instid1(VALU_DEP_2)
	v_cmp_eq_u64_e64 s11, v[58:59], v[96:97]
	v_mov_b64_e32 v[96:97], v[10:11]
	s_and_saveexec_b32 s44, s11
; %bb.2569:                             ;   in Loop: Header=BB4_1885 Depth=2
	v_bfe_u32 v20, v10, 20, 1
	v_mov_b32_e32 v21, v39
	s_delay_alu instid0(VALU_DEP_1) | instskip(NEXT) | instid1(VALU_DEP_1)
	v_add_nc_u64_e32 v[20:21], v[10:11], v[20:21]
	v_add_nc_u64_e32 v[96:97], -1, v[20:21]
; %bb.2570:                             ;   in Loop: Header=BB4_1885 Depth=2
	s_or_b32 exec_lo, exec_lo, s44
	v_add_nc_u32_e32 v3, 0xffffff81, v98
	v_lshrrev_b32_e32 v11, 23, v10
	s_mov_b32 s11, exec_lo
	s_delay_alu instid0(VALU_DEP_2) | instskip(NEXT) | instid1(VALU_DEP_1)
	v_cndmask_b32_e64 v3, v3, 0xffffff82, vcc_lo
	v_add3_u32 v97, v99, v3, v11
	v_and_b32_e32 v3, 0xfffff, v96
	s_delay_alu instid0(VALU_DEP_2) | instskip(NEXT) | instid1(VALU_DEP_2)
	v_dual_mov_b32 v11, v39 :: v_dual_add_nc_u32 v96, 6, v97
	v_add_nc_u32_e32 v10, v3, v10
                                        ; implicit-def: $vgpr3
	s_delay_alu instid0(VALU_DEP_2)
	v_cmpx_ne_u32_e32 0, v96
	s_xor_b32 s11, exec_lo, s11
; %bb.2571:                             ;   in Loop: Header=BB4_1885 Depth=2
	s_delay_alu instid0(VALU_DEP_2) | instskip(SKIP_2) | instid1(VALU_DEP_2)
	v_cmp_lt_u64_e32 vcc_lo, 0xffffff, v[10:11]
	v_add_nc_u32_e32 v3, 7, v97
	v_cndmask_b32_e64 v20, 0, 1, vcc_lo
	v_cndmask_b32_e32 v3, v96, v3, vcc_lo
	s_delay_alu instid0(VALU_DEP_2)
	v_lshrrev_b64 v[10:11], v20, v[10:11]
; %bb.2572:                             ;   in Loop: Header=BB4_1885 Depth=2
	s_and_not1_saveexec_b32 s11, s11
; %bb.2573:                             ;   in Loop: Header=BB4_1885 Depth=2
	s_delay_alu instid0(VALU_DEP_1)
	v_bfe_u32 v3, v10, 23, 1
; %bb.2574:                             ;   in Loop: Header=BB4_1885 Depth=2
	s_or_b32 exec_lo, exec_lo, s11
	s_delay_alu instid0(VALU_DEP_2) | instskip(NEXT) | instid1(VALU_DEP_2)
	v_lshrrev_b64 v[10:11], 20, v[10:11]
	v_cmp_gt_i32_e32 vcc_lo, 16, v3
	v_min_i32_e32 v20, 15, v3
	v_cmp_eq_u32_e64 s11, 0, v3
	s_delay_alu instid0(VALU_DEP_2) | instskip(SKIP_1) | instid1(VALU_DEP_2)
	v_dual_cndmask_b32 v10, 7, v10, vcc_lo :: v_dual_lshlrev_b32 v20, 3, v20
	v_cndmask_b32_e32 v11, 0, v11, vcc_lo
	v_and_b32_e32 v20, 0xf8, v20
	s_delay_alu instid0(VALU_DEP_2) | instskip(NEXT) | instid1(VALU_DEP_2)
	v_cmp_eq_u64_e32 vcc_lo, 0, v[10:11]
	v_and_or_b32 v3, v10, 7, v20
	s_and_b32 s11, s11, vcc_lo
	s_delay_alu instid0(VALU_DEP_1) | instid1(SALU_CYCLE_1)
	v_cndmask_b32_e64 v3, v3, 0, s11
	s_delay_alu instid0(VALU_DEP_1)
	v_or_b32_e32 v47, v3, v2
.LBB4_2575:                             ;   in Loop: Header=BB4_1885 Depth=2
	s_or_b32 exec_lo, exec_lo, s43
                                        ; implicit-def: $vgpr2
.LBB4_2576:                             ;   in Loop: Header=BB4_1885 Depth=2
	s_and_not1_saveexec_b32 s11, s42
; %bb.2577:                             ;   in Loop: Header=BB4_1885 Depth=2
	v_or_b32_e32 v47, 0x7e, v2
; %bb.2578:                             ;   in Loop: Header=BB4_1885 Depth=2
	s_or_b32 exec_lo, exec_lo, s11
                                        ; implicit-def: $vgpr2
.LBB4_2579:                             ;   in Loop: Header=BB4_1885 Depth=2
	s_and_not1_saveexec_b32 s11, s12
; %bb.2580:                             ;   in Loop: Header=BB4_1885 Depth=2
	v_or_b32_e32 v47, 0x7f, v2
; %bb.2581:                             ;   in Loop: Header=BB4_1885 Depth=2
	s_or_b32 exec_lo, exec_lo, s11
	v_dual_mov_b32 v2, 0 :: v_dual_lshrrev_b32 v3, 16, v38
	s_mov_b32 s11, exec_lo
	s_delay_alu instid0(VALU_DEP_1) | instskip(NEXT) | instid1(VALU_DEP_1)
	v_and_b32_e32 v10, 0xff, v3
	v_cmpx_ne_u16_e32 0, v10
	s_cbranch_execz .LBB4_2589
; %bb.2582:                             ;   in Loop: Header=BB4_1885 Depth=2
	v_bfrev_b32_e32 v2, 1
	s_mov_b32 s12, exec_lo
	v_cmpx_ne_u16_e32 0x80, v10
	s_cbranch_execz .LBB4_2588
; %bb.2583:                             ;   in Loop: Header=BB4_1885 Depth=2
	v_bfe_u32 v96, v38, 16, 7
	v_mov_b32_e32 v2, 0x7f800001
	s_mov_b32 s42, exec_lo
	s_delay_alu instid0(VALU_DEP_2)
	v_cmpx_ne_u32_e32 0x7f, v96
	s_cbranch_execz .LBB4_2587
; %bb.2584:                             ;   in Loop: Header=BB4_1885 Depth=2
	v_dual_mov_b32 v11, v39 :: v_dual_bitop2_b32 v10, 7, v3 bitop3:0x40
	v_lshrrev_b32_e32 v2, 3, v96
	s_mov_b32 s43, exec_lo
	v_cmpx_gt_u32_e32 8, v96
; %bb.2585:                             ;   in Loop: Header=BB4_1885 Depth=2
	s_delay_alu instid0(VALU_DEP_3) | instskip(NEXT) | instid1(VALU_DEP_1)
	v_clz_i32_u32_e32 v2, v10
	v_min_u32_e32 v2, 32, v2
	s_delay_alu instid0(VALU_DEP_1) | instskip(SKIP_1) | instid1(VALU_DEP_2)
	v_subrev_nc_u32_e32 v20, 28, v2
	v_sub_nc_u32_e32 v2, 29, v2
	v_lshlrev_b64_e32 v[10:11], v20, v[10:11]
	s_delay_alu instid0(VALU_DEP_1)
	v_and_b32_e32 v10, 7, v10
; %bb.2586:                             ;   in Loop: Header=BB4_1885 Depth=2
	s_or_b32 exec_lo, exec_lo, s43
	s_delay_alu instid0(VALU_DEP_1) | instskip(SKIP_1) | instid1(VALU_DEP_2)
	v_dual_lshlrev_b32 v3, 24, v3 :: v_dual_lshlrev_b32 v10, 20, v10
	v_lshl_add_u32 v2, v2, 23, 0x3c000000
	v_and_b32_e32 v3, 0x80000000, v3
	s_delay_alu instid0(VALU_DEP_1)
	v_or3_b32 v2, v10, v3, v2
.LBB4_2587:                             ;   in Loop: Header=BB4_1885 Depth=2
	s_or_b32 exec_lo, exec_lo, s42
.LBB4_2588:                             ;   in Loop: Header=BB4_1885 Depth=2
	s_delay_alu instid0(SALU_CYCLE_1)
	s_or_b32 exec_lo, exec_lo, s12
.LBB4_2589:                             ;   in Loop: Header=BB4_1885 Depth=2
	s_delay_alu instid0(SALU_CYCLE_1) | instskip(SKIP_3) | instid1(VALU_DEP_1)
	s_or_b32 exec_lo, exec_lo, s11
	v_lshrrev_b32_e32 v10, 16, v12
	s_mov_b32 s12, 0
	s_mov_b32 s11, exec_lo
	v_and_b32_e32 v11, 0xff, v10
	s_delay_alu instid0(VALU_DEP_1)
	v_cmpx_lt_i16_e32 0x7f, v11
	s_xor_b32 s11, exec_lo, s11
	s_cbranch_execnz .LBB4_2592
; %bb.2590:                             ;   in Loop: Header=BB4_1885 Depth=2
	s_or_saveexec_b32 s11, s11
	v_bfrev_b32_e32 v3, 1
	s_xor_b32 exec_lo, exec_lo, s11
	s_cbranch_execnz .LBB4_2595
.LBB4_2591:                             ;   in Loop: Header=BB4_1885 Depth=2
	s_or_b32 exec_lo, exec_lo, s11
	s_and_saveexec_b32 s11, s12
	s_cbranch_execnz .LBB4_2596
	s_branch .LBB4_2599
.LBB4_2592:                             ;   in Loop: Header=BB4_1885 Depth=2
	s_mov_b32 s12, -1
	s_mov_b32 s42, exec_lo
	v_cmpx_eq_u16_e32 0x80, v11
; %bb.2593:                             ;   in Loop: Header=BB4_1885 Depth=2
	s_xor_b32 s12, exec_lo, -1
; %bb.2594:                             ;   in Loop: Header=BB4_1885 Depth=2
	s_or_b32 exec_lo, exec_lo, s42
	s_delay_alu instid0(SALU_CYCLE_1)
	s_and_b32 s12, s12, exec_lo
                                        ; implicit-def: $vgpr11
	s_or_saveexec_b32 s11, s11
	v_bfrev_b32_e32 v3, 1
	s_xor_b32 exec_lo, exec_lo, s11
	s_cbranch_execz .LBB4_2591
.LBB4_2595:                             ;   in Loop: Header=BB4_1885 Depth=2
	v_cmp_ne_u16_e32 vcc_lo, 0, v11
	v_mov_b32_e32 v3, 0
	s_and_not1_b32 s12, s12, exec_lo
	s_and_b32 s42, vcc_lo, exec_lo
	s_delay_alu instid0(SALU_CYCLE_1)
	s_or_b32 s12, s12, s42
	s_or_b32 exec_lo, exec_lo, s11
	s_and_saveexec_b32 s11, s12
	s_cbranch_execz .LBB4_2599
.LBB4_2596:                             ;   in Loop: Header=BB4_1885 Depth=2
	v_and_b32_e32 v11, 0x7f, v10
	v_mov_b32_e32 v3, 0x7f800001
	s_mov_b32 s12, exec_lo
	s_delay_alu instid0(VALU_DEP_2)
	v_cmpx_ne_u32_e32 0x7f, v11
	s_cbranch_execz .LBB4_2598
; %bb.2597:                             ;   in Loop: Header=BB4_1885 Depth=2
	v_and_b32_e32 v3, 7, v10
	v_cmp_gt_u32_e32 vcc_lo, 8, v11
	s_delay_alu instid0(VALU_DEP_2) | instskip(NEXT) | instid1(VALU_DEP_1)
	v_clz_i32_u32_e32 v20, v3
	v_min_u32_e32 v96, 32, v20
	s_delay_alu instid0(VALU_DEP_1) | instskip(SKIP_1) | instid1(VALU_DEP_2)
	v_subrev_nc_u32_e32 v20, 28, v96
	v_sub_nc_u32_e32 v96, 29, v96
	v_lshlrev_b64_e32 v[20:21], v20, v[10:11]
	v_dual_lshrrev_b32 v21, 3, v11 :: v_dual_lshlrev_b32 v10, 24, v10
	s_delay_alu instid0(VALU_DEP_1) | instskip(NEXT) | instid1(VALU_DEP_3)
	v_and_b32_e32 v10, 0x80000000, v10
	v_and_b32_e32 v11, 7, v20
	s_delay_alu instid0(VALU_DEP_1) | instskip(NEXT) | instid1(VALU_DEP_1)
	v_dual_cndmask_b32 v20, v21, v96 :: v_dual_cndmask_b32 v3, v3, v11
	v_lshl_add_u32 v11, v20, 23, 0x3c000000
	s_delay_alu instid0(VALU_DEP_2) | instskip(NEXT) | instid1(VALU_DEP_1)
	v_lshlrev_b32_e32 v3, 20, v3
	v_or3_b32 v3, v3, v10, v11
.LBB4_2598:                             ;   in Loop: Header=BB4_1885 Depth=2
	s_or_b32 exec_lo, exec_lo, s12
.LBB4_2599:                             ;   in Loop: Header=BB4_1885 Depth=2
	s_delay_alu instid0(SALU_CYCLE_1) | instskip(NEXT) | instid1(VALU_DEP_1)
	s_or_b32 exec_lo, exec_lo, s11
	v_dual_add_f32 v3, v2, v3 :: v_dual_mov_b32 v11, v39
                                        ; implicit-def: $vgpr58
	s_mov_b32 s11, exec_lo
	s_delay_alu instid0(VALU_DEP_1) | instskip(SKIP_1) | instid1(VALU_DEP_2)
	v_and_b32_e32 v10, 0x7f800000, v3
	v_lshrrev_b32_e32 v2, 24, v3
	v_cmpx_ne_u64_e32 0x7f800000, v[10:11]
	s_xor_b32 s12, exec_lo, s11
	s_cbranch_execz .LBB4_2613
; %bb.2600:                             ;   in Loop: Header=BB4_1885 Depth=2
	v_and_b32_e32 v10, 0x7fffffff, v3
	v_mov_b32_e32 v11, v39
	v_and_b32_e32 v2, 0x80, v2
                                        ; implicit-def: $vgpr58
	s_mov_b32 s11, exec_lo
	s_delay_alu instid0(VALU_DEP_2)
	v_cmpx_gt_u64_e32 0x43e00001, v[10:11]
	s_xor_b32 s42, exec_lo, s11
	s_cbranch_execz .LBB4_2610
; %bb.2601:                             ;   in Loop: Header=BB4_1885 Depth=2
	v_mov_b32_e32 v58, 0
	s_mov_b32 s43, exec_lo
	v_cmpx_ne_u32_e32 0, v3
	s_cbranch_execz .LBB4_2609
; %bb.2602:                             ;   in Loop: Header=BB4_1885 Depth=2
	v_bfe_u32 v98, v3, 23, 8
	v_and_b32_e32 v3, 0x7fffff, v3
	s_delay_alu instid0(VALU_DEP_2) | instskip(SKIP_1) | instid1(VALU_DEP_3)
	v_dual_mov_b32 v21, v39 :: v_dual_sub_nc_u32 v10, 0x79, v98
	v_cmp_gt_u32_e32 vcc_lo, 0x7a, v98
	v_or_b32_e32 v20, 0x800000, v3
	s_delay_alu instid0(VALU_DEP_3) | instskip(SKIP_1) | instid1(VALU_DEP_2)
	v_cndmask_b32_e32 v10, 0, v10, vcc_lo
	v_cmp_eq_u32_e32 vcc_lo, 0, v98
	v_cndmask_b32_e64 v99, v10, 0x78, vcc_lo
	s_delay_alu instid0(VALU_DEP_4) | instskip(NEXT) | instid1(VALU_DEP_2)
	v_cndmask_b32_e32 v20, v20, v3, vcc_lo
	v_dual_add_nc_u32 v10, 20, v99 :: v_dual_add_nc_u32 v96, 19, v99
	s_delay_alu instid0(VALU_DEP_1) | instskip(NEXT) | instid1(VALU_DEP_2)
	v_lshlrev_b64_e64 v[10:11], v10, -1
	v_lshlrev_b64_e64 v[96:97], v96, 1
	s_delay_alu instid0(VALU_DEP_2) | instskip(NEXT) | instid1(VALU_DEP_3)
	v_bfi_b32 v59, v11, 0, 0
	v_bfi_b32 v58, v10, 0, v20
	v_lshrrev_b64 v[10:11], v99, v[20:21]
	s_delay_alu instid0(VALU_DEP_2) | instskip(NEXT) | instid1(VALU_DEP_2)
	v_cmp_eq_u64_e64 s11, v[58:59], v[96:97]
	v_mov_b64_e32 v[96:97], v[10:11]
	s_and_saveexec_b32 s44, s11
; %bb.2603:                             ;   in Loop: Header=BB4_1885 Depth=2
	v_bfe_u32 v20, v10, 20, 1
	v_mov_b32_e32 v21, v39
	s_delay_alu instid0(VALU_DEP_1) | instskip(NEXT) | instid1(VALU_DEP_1)
	v_add_nc_u64_e32 v[20:21], v[10:11], v[20:21]
	v_add_nc_u64_e32 v[96:97], -1, v[20:21]
; %bb.2604:                             ;   in Loop: Header=BB4_1885 Depth=2
	s_or_b32 exec_lo, exec_lo, s44
	v_add_nc_u32_e32 v3, 0xffffff81, v98
	v_lshrrev_b32_e32 v11, 23, v10
	s_mov_b32 s11, exec_lo
	s_delay_alu instid0(VALU_DEP_2) | instskip(NEXT) | instid1(VALU_DEP_1)
	v_cndmask_b32_e64 v3, v3, 0xffffff82, vcc_lo
	v_add3_u32 v97, v99, v3, v11
	v_and_b32_e32 v3, 0xfffff, v96
	s_delay_alu instid0(VALU_DEP_2) | instskip(NEXT) | instid1(VALU_DEP_2)
	v_dual_mov_b32 v11, v39 :: v_dual_add_nc_u32 v96, 6, v97
	v_add_nc_u32_e32 v10, v3, v10
                                        ; implicit-def: $vgpr3
	s_delay_alu instid0(VALU_DEP_2)
	v_cmpx_ne_u32_e32 0, v96
	s_xor_b32 s11, exec_lo, s11
; %bb.2605:                             ;   in Loop: Header=BB4_1885 Depth=2
	s_delay_alu instid0(VALU_DEP_2) | instskip(SKIP_2) | instid1(VALU_DEP_2)
	v_cmp_lt_u64_e32 vcc_lo, 0xffffff, v[10:11]
	v_add_nc_u32_e32 v3, 7, v97
	v_cndmask_b32_e64 v20, 0, 1, vcc_lo
	v_cndmask_b32_e32 v3, v96, v3, vcc_lo
	s_delay_alu instid0(VALU_DEP_2)
	v_lshrrev_b64 v[10:11], v20, v[10:11]
; %bb.2606:                             ;   in Loop: Header=BB4_1885 Depth=2
	s_and_not1_saveexec_b32 s11, s11
; %bb.2607:                             ;   in Loop: Header=BB4_1885 Depth=2
	s_delay_alu instid0(VALU_DEP_1)
	v_bfe_u32 v3, v10, 23, 1
; %bb.2608:                             ;   in Loop: Header=BB4_1885 Depth=2
	s_or_b32 exec_lo, exec_lo, s11
	s_delay_alu instid0(VALU_DEP_2) | instskip(NEXT) | instid1(VALU_DEP_2)
	v_lshrrev_b64 v[10:11], 20, v[10:11]
	v_cmp_gt_i32_e32 vcc_lo, 16, v3
	v_min_i32_e32 v20, 15, v3
	v_cmp_eq_u32_e64 s11, 0, v3
	s_delay_alu instid0(VALU_DEP_2) | instskip(SKIP_1) | instid1(VALU_DEP_2)
	v_dual_cndmask_b32 v10, 7, v10, vcc_lo :: v_dual_lshlrev_b32 v20, 3, v20
	v_cndmask_b32_e32 v11, 0, v11, vcc_lo
	v_and_b32_e32 v20, 0xf8, v20
	s_delay_alu instid0(VALU_DEP_2) | instskip(NEXT) | instid1(VALU_DEP_2)
	v_cmp_eq_u64_e32 vcc_lo, 0, v[10:11]
	v_and_or_b32 v3, v10, 7, v20
	s_and_b32 s11, s11, vcc_lo
	s_delay_alu instid0(VALU_DEP_1) | instid1(SALU_CYCLE_1)
	v_cndmask_b32_e64 v3, v3, 0, s11
	s_delay_alu instid0(VALU_DEP_1)
	v_or_b32_e32 v58, v3, v2
.LBB4_2609:                             ;   in Loop: Header=BB4_1885 Depth=2
	s_or_b32 exec_lo, exec_lo, s43
                                        ; implicit-def: $vgpr2
.LBB4_2610:                             ;   in Loop: Header=BB4_1885 Depth=2
	s_and_not1_saveexec_b32 s11, s42
; %bb.2611:                             ;   in Loop: Header=BB4_1885 Depth=2
	v_or_b32_e32 v58, 0x7e, v2
; %bb.2612:                             ;   in Loop: Header=BB4_1885 Depth=2
	s_or_b32 exec_lo, exec_lo, s11
                                        ; implicit-def: $vgpr2
.LBB4_2613:                             ;   in Loop: Header=BB4_1885 Depth=2
	s_and_not1_saveexec_b32 s11, s12
; %bb.2614:                             ;   in Loop: Header=BB4_1885 Depth=2
	v_or_b32_e32 v58, 0x7f, v2
; %bb.2615:                             ;   in Loop: Header=BB4_1885 Depth=2
	s_or_b32 exec_lo, exec_lo, s11
	v_mov_b32_e32 v2, 0
	s_mov_b32 s11, exec_lo
	v_cmpx_lt_u32_e32 0xffffff, v38
	s_cbranch_execz .LBB4_2623
; %bb.2616:                             ;   in Loop: Header=BB4_1885 Depth=2
	v_lshrrev_b32_e32 v3, 24, v38
	v_bfrev_b32_e32 v2, 1
	s_mov_b32 s12, exec_lo
	s_delay_alu instid0(VALU_DEP_2)
	v_cmpx_ne_u32_e32 0x80, v3
	s_cbranch_execz .LBB4_2622
; %bb.2617:                             ;   in Loop: Header=BB4_1885 Depth=2
	v_bfe_u32 v10, v38, 24, 7
	v_mov_b32_e32 v2, 0x7f800001
	s_mov_b32 s42, exec_lo
	s_delay_alu instid0(VALU_DEP_2)
	v_cmpx_ne_u32_e32 0x7f, v10
	s_cbranch_execz .LBB4_2621
; %bb.2618:                             ;   in Loop: Header=BB4_1885 Depth=2
	v_dual_lshrrev_b32 v2, 3, v10 :: v_dual_bitop2_b32 v38, 7, v3 bitop3:0x40
	v_cmp_gt_u32_e32 vcc_lo, 8, v10
	s_delay_alu instid0(VALU_DEP_2)
	v_mov_b64_e32 v[10:11], v[38:39]
	s_and_saveexec_b32 s43, vcc_lo
; %bb.2619:                             ;   in Loop: Header=BB4_1885 Depth=2
	v_clz_i32_u32_e32 v2, v38
	s_delay_alu instid0(VALU_DEP_1) | instskip(NEXT) | instid1(VALU_DEP_1)
	v_min_u32_e32 v2, 32, v2
	v_subrev_nc_u32_e32 v10, 28, v2
	v_sub_nc_u32_e32 v2, 29, v2
	s_delay_alu instid0(VALU_DEP_2) | instskip(NEXT) | instid1(VALU_DEP_1)
	v_lshlrev_b64_e32 v[10:11], v10, v[38:39]
	v_and_b32_e32 v10, 7, v10
; %bb.2620:                             ;   in Loop: Header=BB4_1885 Depth=2
	s_or_b32 exec_lo, exec_lo, s43
	s_delay_alu instid0(VALU_DEP_1) | instskip(SKIP_1) | instid1(VALU_DEP_2)
	v_dual_lshlrev_b32 v3, 24, v3 :: v_dual_lshlrev_b32 v10, 20, v10
	v_lshl_add_u32 v2, v2, 23, 0x3c000000
	v_and_b32_e32 v3, 0x80000000, v3
	s_delay_alu instid0(VALU_DEP_1)
	v_or3_b32 v2, v10, v3, v2
.LBB4_2621:                             ;   in Loop: Header=BB4_1885 Depth=2
	s_or_b32 exec_lo, exec_lo, s42
.LBB4_2622:                             ;   in Loop: Header=BB4_1885 Depth=2
	s_delay_alu instid0(SALU_CYCLE_1)
	s_or_b32 exec_lo, exec_lo, s12
.LBB4_2623:                             ;   in Loop: Header=BB4_1885 Depth=2
	s_delay_alu instid0(SALU_CYCLE_1) | instskip(SKIP_3) | instid1(VALU_DEP_3)
	s_or_b32 exec_lo, exec_lo, s11
	v_lshrrev_b32_e32 v10, 24, v12
	v_bfe_u32 v3, v12, 24, 7
	v_cmp_gt_u32_e64 s12, 0x1000000, v12
	v_cmp_eq_u32_e32 vcc_lo, 0x80, v10
	s_delay_alu instid0(VALU_DEP_3) | instskip(SKIP_2) | instid1(VALU_DEP_1)
	v_cmp_eq_u32_e64 s11, 0x7f, v3
	v_cndmask_b32_e32 v11, 0x7f800001, v118, vcc_lo
	s_or_b32 s11, vcc_lo, s11
	v_cndmask_b32_e64 v11, v11, 0, s12
	s_nor_b32 s12, s12, s11
	s_delay_alu instid0(SALU_CYCLE_1)
	s_and_saveexec_b32 s11, s12
	s_cbranch_execz .LBB4_2625
; %bb.2624:                             ;   in Loop: Header=BB4_1885 Depth=2
	v_and_b32_e32 v11, 7, v10
	v_cmp_gt_u32_e32 vcc_lo, 8, v3
	s_delay_alu instid0(VALU_DEP_2) | instskip(NEXT) | instid1(VALU_DEP_1)
	v_clz_i32_u32_e32 v20, v11
	v_min_u32_e32 v38, 32, v20
	s_delay_alu instid0(VALU_DEP_1) | instskip(NEXT) | instid1(VALU_DEP_1)
	v_subrev_nc_u32_e32 v20, 28, v38
	v_lshlrev_b64_e32 v[20:21], v20, v[10:11]
	v_dual_lshrrev_b32 v21, 3, v3 :: v_dual_sub_nc_u32 v38, 29, v38
	s_delay_alu instid0(VALU_DEP_2) | instskip(NEXT) | instid1(VALU_DEP_1)
	v_dual_lshlrev_b32 v10, 24, v10 :: v_dual_bitop2_b32 v3, 7, v20 bitop3:0x40
	v_dual_cndmask_b32 v3, v11, v3 :: v_dual_cndmask_b32 v20, v21, v38
	s_delay_alu instid0(VALU_DEP_2) | instskip(NEXT) | instid1(VALU_DEP_2)
	v_and_b32_e32 v10, 0x80000000, v10
	v_lshlrev_b32_e32 v3, 20, v3
	s_delay_alu instid0(VALU_DEP_3) | instskip(NEXT) | instid1(VALU_DEP_1)
	v_lshl_add_u32 v11, v20, 23, 0x3c000000
	v_or3_b32 v11, v3, v10, v11
.LBB4_2625:                             ;   in Loop: Header=BB4_1885 Depth=2
	s_or_b32 exec_lo, exec_lo, s11
	s_delay_alu instid0(VALU_DEP_1) | instskip(SKIP_1) | instid1(VALU_DEP_1)
	v_add_f32_e32 v3, v2, v11
                                        ; implicit-def: $vgpr59
	s_mov_b32 s11, exec_lo
	v_and_b32_e32 v38, 0x7f800000, v3
	v_lshrrev_b32_e32 v2, 24, v3
	s_delay_alu instid0(VALU_DEP_2)
	v_cmpx_ne_u64_e32 0x7f800000, v[38:39]
	s_xor_b32 s12, exec_lo, s11
	s_cbranch_execz .LBB4_2639
; %bb.2626:                             ;   in Loop: Header=BB4_1885 Depth=2
	v_and_b32_e32 v38, 0x7fffffff, v3
	v_and_b32_e32 v2, 0x80, v2
                                        ; implicit-def: $vgpr59
	s_mov_b32 s11, exec_lo
	s_delay_alu instid0(VALU_DEP_2)
	v_cmpx_gt_u64_e32 0x43e00001, v[38:39]
	s_xor_b32 s42, exec_lo, s11
	s_cbranch_execz .LBB4_2636
; %bb.2627:                             ;   in Loop: Header=BB4_1885 Depth=2
	v_mov_b32_e32 v59, 0
	s_mov_b32 s43, exec_lo
	v_cmpx_ne_u32_e32 0, v3
	s_cbranch_execz .LBB4_2635
; %bb.2628:                             ;   in Loop: Header=BB4_1885 Depth=2
	v_bfe_u32 v98, v3, 23, 8
	v_and_b32_e32 v3, 0x7fffff, v3
	s_delay_alu instid0(VALU_DEP_2) | instskip(SKIP_1) | instid1(VALU_DEP_3)
	v_sub_nc_u32_e32 v10, 0x79, v98
	v_cmp_gt_u32_e32 vcc_lo, 0x7a, v98
	v_or_b32_e32 v20, 0x800000, v3
	s_delay_alu instid0(VALU_DEP_3) | instskip(SKIP_1) | instid1(VALU_DEP_2)
	v_cndmask_b32_e32 v10, 0, v10, vcc_lo
	v_cmp_eq_u32_e32 vcc_lo, 0, v98
	v_cndmask_b32_e64 v99, v10, 0x78, vcc_lo
	s_delay_alu instid0(VALU_DEP_4) | instskip(NEXT) | instid1(VALU_DEP_2)
	v_cndmask_b32_e32 v38, v20, v3, vcc_lo
	v_dual_add_nc_u32 v10, 20, v99 :: v_dual_add_nc_u32 v21, 19, v99
	s_delay_alu instid0(VALU_DEP_1) | instskip(NEXT) | instid1(VALU_DEP_2)
	v_lshlrev_b64_e64 v[10:11], v10, -1
	v_lshlrev_b64_e64 v[20:21], v21, 1
	s_delay_alu instid0(VALU_DEP_2) | instskip(NEXT) | instid1(VALU_DEP_3)
	v_bfi_b32 v97, v11, 0, 0
	v_bfi_b32 v96, v10, 0, v38
	v_lshrrev_b64 v[10:11], v99, v[38:39]
	s_delay_alu instid0(VALU_DEP_2) | instskip(NEXT) | instid1(VALU_DEP_2)
	v_cmp_eq_u64_e64 s11, v[96:97], v[20:21]
	v_mov_b64_e32 v[96:97], v[10:11]
	s_and_saveexec_b32 s44, s11
; %bb.2629:                             ;   in Loop: Header=BB4_1885 Depth=2
	v_bfe_u32 v38, v10, 20, 1
	s_delay_alu instid0(VALU_DEP_1) | instskip(NEXT) | instid1(VALU_DEP_1)
	v_add_nc_u64_e32 v[20:21], v[10:11], v[38:39]
	v_add_nc_u64_e32 v[96:97], -1, v[20:21]
; %bb.2630:                             ;   in Loop: Header=BB4_1885 Depth=2
	s_or_b32 exec_lo, exec_lo, s44
	v_add_nc_u32_e32 v3, 0xffffff81, v98
	v_lshrrev_b32_e32 v11, 23, v10
	s_mov_b32 s11, exec_lo
	s_delay_alu instid0(VALU_DEP_2) | instskip(NEXT) | instid1(VALU_DEP_1)
	v_cndmask_b32_e64 v3, v3, 0xffffff82, vcc_lo
	v_add3_u32 v97, v99, v3, v11
	v_and_b32_e32 v3, 0xfffff, v96
	s_delay_alu instid0(VALU_DEP_1) | instskip(NEXT) | instid1(VALU_DEP_1)
	v_dual_add_nc_u32 v96, 6, v97 :: v_dual_add_nc_u32 v38, v3, v10
                                        ; implicit-def: $vgpr10_vgpr11
                                        ; implicit-def: $vgpr3
	v_cmpx_ne_u32_e32 0, v96
	s_xor_b32 s11, exec_lo, s11
; %bb.2631:                             ;   in Loop: Header=BB4_1885 Depth=2
	s_delay_alu instid0(VALU_DEP_2) | instskip(SKIP_2) | instid1(VALU_DEP_2)
	v_cmp_lt_u64_e32 vcc_lo, 0xffffff, v[38:39]
	v_add_nc_u32_e32 v3, 7, v97
	v_cndmask_b32_e64 v10, 0, 1, vcc_lo
	v_cndmask_b32_e32 v3, v96, v3, vcc_lo
	s_delay_alu instid0(VALU_DEP_2)
	v_lshrrev_b64 v[10:11], v10, v[38:39]
; %bb.2632:                             ;   in Loop: Header=BB4_1885 Depth=2
	s_and_not1_saveexec_b32 s11, s11
; %bb.2633:                             ;   in Loop: Header=BB4_1885 Depth=2
	v_mov_b64_e32 v[10:11], v[38:39]
	v_bfe_u32 v3, v38, 23, 1
; %bb.2634:                             ;   in Loop: Header=BB4_1885 Depth=2
	s_or_b32 exec_lo, exec_lo, s11
	s_delay_alu instid0(VALU_DEP_2) | instskip(NEXT) | instid1(VALU_DEP_2)
	v_lshrrev_b64 v[10:11], 20, v[10:11]
	v_cmp_gt_i32_e32 vcc_lo, 16, v3
	v_min_i32_e32 v20, 15, v3
	v_cmp_eq_u32_e64 s11, 0, v3
	s_delay_alu instid0(VALU_DEP_2) | instskip(SKIP_1) | instid1(VALU_DEP_2)
	v_dual_cndmask_b32 v10, 7, v10, vcc_lo :: v_dual_lshlrev_b32 v20, 3, v20
	v_cndmask_b32_e32 v11, 0, v11, vcc_lo
	v_and_b32_e32 v20, 0xf8, v20
	s_delay_alu instid0(VALU_DEP_2) | instskip(NEXT) | instid1(VALU_DEP_2)
	v_cmp_eq_u64_e32 vcc_lo, 0, v[10:11]
	v_and_or_b32 v3, v10, 7, v20
	s_and_b32 s11, s11, vcc_lo
	s_delay_alu instid0(VALU_DEP_1) | instid1(SALU_CYCLE_1)
	v_cndmask_b32_e64 v3, v3, 0, s11
	s_delay_alu instid0(VALU_DEP_1)
	v_or_b32_e32 v59, v3, v2
.LBB4_2635:                             ;   in Loop: Header=BB4_1885 Depth=2
	s_or_b32 exec_lo, exec_lo, s43
                                        ; implicit-def: $vgpr2
.LBB4_2636:                             ;   in Loop: Header=BB4_1885 Depth=2
	s_and_not1_saveexec_b32 s11, s42
; %bb.2637:                             ;   in Loop: Header=BB4_1885 Depth=2
	v_or_b32_e32 v59, 0x7e, v2
; %bb.2638:                             ;   in Loop: Header=BB4_1885 Depth=2
	s_or_b32 exec_lo, exec_lo, s11
                                        ; implicit-def: $vgpr2
.LBB4_2639:                             ;   in Loop: Header=BB4_1885 Depth=2
	s_and_not1_saveexec_b32 s11, s12
; %bb.2640:                             ;   in Loop: Header=BB4_1885 Depth=2
	v_or_b32_e32 v59, 0x7f, v2
; %bb.2641:                             ;   in Loop: Header=BB4_1885 Depth=2
	s_or_b32 exec_lo, exec_lo, s11
	v_dual_lshlrev_b32 v3, 24, v57 :: v_dual_lshlrev_b32 v10, 16, v46
	v_lshl_or_b32 v2, v43, 8, v41
	s_mov_b32 s11, exec_lo
	s_delay_alu instid0(VALU_DEP_1)
	v_or3_b32 v38, v10, v3, v2
	v_mov_b32_e32 v3, 0
	v_cmpx_ne_u32_e32 0, v41
	s_cbranch_execz .LBB4_2647
; %bb.2642:                             ;   in Loop: Header=BB4_1885 Depth=2
	v_bfrev_b32_e32 v3, 1
	s_mov_b32 s12, exec_lo
	v_cmpx_ne_u32_e32 0x80, v41
	s_cbranch_execz .LBB4_2646
; %bb.2643:                             ;   in Loop: Header=BB4_1885 Depth=2
	v_and_b32_e32 v10, 0x7f, v41
	v_mov_b32_e32 v3, 0x7f800001
	s_mov_b32 s42, exec_lo
	s_delay_alu instid0(VALU_DEP_2)
	v_cmpx_ne_u32_e32 0x7f, v10
	s_cbranch_execz .LBB4_2645
; %bb.2644:                             ;   in Loop: Header=BB4_1885 Depth=2
	v_dual_lshrrev_b32 v11, 3, v10 :: v_dual_bitop2_b32 v3, 7, v41 bitop3:0x40
	v_cmp_gt_u32_e32 vcc_lo, 8, v10
	s_delay_alu instid0(VALU_DEP_2) | instskip(NEXT) | instid1(VALU_DEP_1)
	v_clz_i32_u32_e32 v3, v3
	v_min_u32_e32 v3, 32, v3
	s_delay_alu instid0(VALU_DEP_1) | instskip(NEXT) | instid1(VALU_DEP_1)
	v_subrev_nc_u32_e32 v20, 28, v3
	v_dual_cndmask_b32 v10, 0, v20 :: v_dual_sub_nc_u32 v3, 29, v3
	s_delay_alu instid0(VALU_DEP_1) | instskip(NEXT) | instid1(VALU_DEP_2)
	v_cndmask_b32_e32 v3, v11, v3, vcc_lo
	v_lshlrev_b64_e32 v[10:11], v10, v[38:39]
	v_lshlrev_b32_e32 v11, 24, v38
	s_delay_alu instid0(VALU_DEP_3) | instskip(NEXT) | instid1(VALU_DEP_2)
	v_lshl_add_u32 v3, v3, 23, 0x3c000000
	v_and_b32_e32 v11, 0x80000000, v11
	s_delay_alu instid0(VALU_DEP_4) | instskip(NEXT) | instid1(VALU_DEP_1)
	v_lshlrev_b32_e32 v10, 20, v10
	v_and_b32_e32 v10, 0x700000, v10
	s_delay_alu instid0(VALU_DEP_1)
	v_or3_b32 v3, v10, v11, v3
.LBB4_2645:                             ;   in Loop: Header=BB4_1885 Depth=2
	s_or_b32 exec_lo, exec_lo, s42
.LBB4_2646:                             ;   in Loop: Header=BB4_1885 Depth=2
	s_delay_alu instid0(SALU_CYCLE_1)
	s_or_b32 exec_lo, exec_lo, s12
.LBB4_2647:                             ;   in Loop: Header=BB4_1885 Depth=2
	s_delay_alu instid0(SALU_CYCLE_1) | instskip(SKIP_4) | instid1(VALU_DEP_2)
	s_or_b32 exec_lo, exec_lo, s11
	v_and_b32_e32 v11, 0xff, v13
	v_mov_b32_e32 v10, v13
	s_mov_b32 s11, 0
	s_mov_b32 s12, exec_lo
	v_cmpx_lt_i16_e32 0x7f, v11
	s_xor_b32 s12, exec_lo, s12
	s_cbranch_execnz .LBB4_2678
; %bb.2648:                             ;   in Loop: Header=BB4_1885 Depth=2
	s_or_saveexec_b32 s12, s12
	v_bfrev_b32_e32 v96, 1
	s_xor_b32 exec_lo, exec_lo, s12
	s_cbranch_execnz .LBB4_2681
.LBB4_2649:                             ;   in Loop: Header=BB4_1885 Depth=2
	s_or_b32 exec_lo, exec_lo, s12
	v_mov_b32_e32 v11, v39
	s_and_saveexec_b32 s12, s11
	s_cbranch_execz .LBB4_2651
.LBB4_2650:                             ;   in Loop: Header=BB4_1885 Depth=2
	v_and_b32_e32 v20, 7, v13
	v_and_b32_e32 v96, 0x7f, v13
	v_bfe_u32 v21, v13, 3, 4
	s_delay_alu instid0(VALU_DEP_3) | instskip(NEXT) | instid1(VALU_DEP_3)
	v_clz_i32_u32_e32 v20, v20
	v_cmp_gt_u32_e32 vcc_lo, 8, v96
	s_delay_alu instid0(VALU_DEP_2) | instskip(NEXT) | instid1(VALU_DEP_1)
	v_min_u32_e32 v20, 32, v20
	v_subrev_nc_u32_e32 v97, 28, v20
	v_sub_nc_u32_e32 v20, 29, v20
	s_delay_alu instid0(VALU_DEP_1) | instskip(SKIP_1) | instid1(VALU_DEP_2)
	v_dual_cndmask_b32 v98, v21, v20, vcc_lo :: v_dual_cndmask_b32 v20, 0, v97, vcc_lo
	v_cmp_ne_u32_e32 vcc_lo, 0x7f, v96
	v_lshlrev_b64_e32 v[20:21], v20, v[10:11]
	v_lshlrev_b32_e32 v11, 24, v10
	s_delay_alu instid0(VALU_DEP_4) | instskip(NEXT) | instid1(VALU_DEP_2)
	v_lshl_add_u32 v21, v98, 23, 0x3c000000
	v_and_b32_e32 v11, 0x80000000, v11
	s_delay_alu instid0(VALU_DEP_4) | instskip(NEXT) | instid1(VALU_DEP_1)
	v_lshlrev_b32_e32 v20, 20, v20
	v_and_b32_e32 v20, 0x700000, v20
	s_delay_alu instid0(VALU_DEP_1) | instskip(NEXT) | instid1(VALU_DEP_1)
	v_or3_b32 v11, v20, v11, v21
	v_cndmask_b32_e32 v96, 0x7f800001, v11, vcc_lo
.LBB4_2651:                             ;   in Loop: Header=BB4_1885 Depth=2
	s_or_b32 exec_lo, exec_lo, s12
	s_delay_alu instid0(VALU_DEP_1) | instskip(SKIP_2) | instid1(VALU_DEP_2)
	v_add_f32_e32 v11, v3, v96
	v_mov_b32_e32 v21, v39
                                        ; implicit-def: $vgpr98
	s_mov_b32 s11, exec_lo
	v_and_b32_e32 v20, 0x7f800000, v11
	v_lshrrev_b32_e32 v3, 24, v11
	s_delay_alu instid0(VALU_DEP_2)
	v_cmpx_ne_u64_e32 0x7f800000, v[20:21]
	s_xor_b32 s12, exec_lo, s11
	s_cbranch_execz .LBB4_2665
; %bb.2652:                             ;   in Loop: Header=BB4_1885 Depth=2
	v_and_b32_e32 v20, 0x7fffffff, v11
	v_mov_b32_e32 v21, v39
	v_and_b32_e32 v3, 0x80, v3
                                        ; implicit-def: $vgpr98
	s_mov_b32 s11, exec_lo
	s_delay_alu instid0(VALU_DEP_2)
	v_cmpx_gt_u64_e32 0x43e00001, v[20:21]
	s_xor_b32 s42, exec_lo, s11
	s_cbranch_execz .LBB4_2662
; %bb.2653:                             ;   in Loop: Header=BB4_1885 Depth=2
	v_mov_b32_e32 v98, 0
	s_mov_b32 s43, exec_lo
	v_cmpx_ne_u32_e32 0, v11
	s_cbranch_execz .LBB4_2661
; %bb.2654:                             ;   in Loop: Header=BB4_1885 Depth=2
	v_bfe_u32 v113, v11, 23, 8
	v_and_b32_e32 v11, 0x7fffff, v11
	s_delay_alu instid0(VALU_DEP_2) | instskip(SKIP_1) | instid1(VALU_DEP_3)
	v_dual_mov_b32 v97, v39 :: v_dual_sub_nc_u32 v20, 0x79, v113
	v_cmp_gt_u32_e32 vcc_lo, 0x7a, v113
	v_or_b32_e32 v96, 0x800000, v11
	s_delay_alu instid0(VALU_DEP_3) | instskip(SKIP_1) | instid1(VALU_DEP_2)
	v_cndmask_b32_e32 v20, 0, v20, vcc_lo
	v_cmp_eq_u32_e32 vcc_lo, 0, v113
	v_cndmask_b32_e64 v41, v20, 0x78, vcc_lo
	s_delay_alu instid0(VALU_DEP_1) | instskip(SKIP_1) | instid1(VALU_DEP_2)
	v_dual_cndmask_b32 v96, v96, v11, vcc_lo :: v_dual_add_nc_u32 v20, 20, v41
	v_add_nc_u32_e32 v98, 19, v41
	v_lshlrev_b64_e64 v[20:21], v20, -1
	s_delay_alu instid0(VALU_DEP_2) | instskip(NEXT) | instid1(VALU_DEP_2)
	v_lshlrev_b64_e64 v[98:99], v98, 1
	v_bfi_b32 v20, v20, 0, v96
	v_lshrrev_b64 v[96:97], v41, v[96:97]
	s_delay_alu instid0(VALU_DEP_4) | instskip(NEXT) | instid1(VALU_DEP_1)
	v_bfi_b32 v21, v21, 0, 0
	v_cmp_eq_u64_e64 s11, v[20:21], v[98:99]
	s_delay_alu instid0(VALU_DEP_3)
	v_mov_b64_e32 v[98:99], v[96:97]
	s_and_saveexec_b32 s44, s11
; %bb.2655:                             ;   in Loop: Header=BB4_1885 Depth=2
	v_bfe_u32 v20, v96, 20, 1
	v_mov_b32_e32 v21, v39
	s_delay_alu instid0(VALU_DEP_1) | instskip(NEXT) | instid1(VALU_DEP_1)
	v_add_nc_u64_e32 v[20:21], v[96:97], v[20:21]
	v_add_nc_u64_e32 v[98:99], -1, v[20:21]
; %bb.2656:                             ;   in Loop: Header=BB4_1885 Depth=2
	s_or_b32 exec_lo, exec_lo, s44
	v_add_nc_u32_e32 v11, 0xffffff81, v113
	v_dual_mov_b32 v97, v39 :: v_dual_lshrrev_b32 v20, 23, v96
	s_mov_b32 s11, exec_lo
	s_delay_alu instid0(VALU_DEP_2) | instskip(NEXT) | instid1(VALU_DEP_1)
	v_cndmask_b32_e64 v11, v11, 0xffffff82, vcc_lo
	v_add3_u32 v99, v41, v11, v20
	v_and_b32_e32 v11, 0xfffff, v98
	s_delay_alu instid0(VALU_DEP_1) | instskip(NEXT) | instid1(VALU_DEP_1)
	v_dual_add_nc_u32 v98, 6, v99 :: v_dual_add_nc_u32 v96, v11, v96
                                        ; implicit-def: $vgpr11
	v_cmpx_ne_u32_e32 0, v98
	s_xor_b32 s11, exec_lo, s11
; %bb.2657:                             ;   in Loop: Header=BB4_1885 Depth=2
	s_delay_alu instid0(VALU_DEP_2) | instskip(SKIP_2) | instid1(VALU_DEP_2)
	v_cmp_lt_u64_e32 vcc_lo, 0xffffff, v[96:97]
	v_add_nc_u32_e32 v11, 7, v99
	v_cndmask_b32_e64 v20, 0, 1, vcc_lo
	v_cndmask_b32_e32 v11, v98, v11, vcc_lo
	s_delay_alu instid0(VALU_DEP_2)
	v_lshrrev_b64 v[96:97], v20, v[96:97]
; %bb.2658:                             ;   in Loop: Header=BB4_1885 Depth=2
	s_and_not1_saveexec_b32 s11, s11
; %bb.2659:                             ;   in Loop: Header=BB4_1885 Depth=2
	s_delay_alu instid0(VALU_DEP_1)
	v_bfe_u32 v11, v96, 23, 1
; %bb.2660:                             ;   in Loop: Header=BB4_1885 Depth=2
	s_or_b32 exec_lo, exec_lo, s11
	s_delay_alu instid0(VALU_DEP_2) | instskip(NEXT) | instid1(VALU_DEP_2)
	v_lshrrev_b64 v[20:21], 20, v[96:97]
	v_cmp_gt_i32_e32 vcc_lo, 16, v11
	v_min_i32_e32 v96, 15, v11
	v_cmp_eq_u32_e64 s11, 0, v11
	s_delay_alu instid0(VALU_DEP_2) | instskip(SKIP_1) | instid1(VALU_DEP_2)
	v_dual_cndmask_b32 v21, 0, v21 :: v_dual_lshlrev_b32 v96, 3, v96
	v_cndmask_b32_e32 v20, 7, v20, vcc_lo
	v_and_b32_e32 v96, 0xf8, v96
	s_delay_alu instid0(VALU_DEP_2) | instskip(NEXT) | instid1(VALU_DEP_2)
	v_cmp_eq_u64_e32 vcc_lo, 0, v[20:21]
	v_and_or_b32 v11, v20, 7, v96
	s_and_b32 s11, s11, vcc_lo
	s_delay_alu instid0(VALU_DEP_1) | instid1(SALU_CYCLE_1)
	v_cndmask_b32_e64 v11, v11, 0, s11
	s_delay_alu instid0(VALU_DEP_1)
	v_or_b32_e32 v98, v11, v3
.LBB4_2661:                             ;   in Loop: Header=BB4_1885 Depth=2
	s_or_b32 exec_lo, exec_lo, s43
                                        ; implicit-def: $vgpr3
.LBB4_2662:                             ;   in Loop: Header=BB4_1885 Depth=2
	s_and_not1_saveexec_b32 s11, s42
; %bb.2663:                             ;   in Loop: Header=BB4_1885 Depth=2
	v_or_b32_e32 v98, 0x7e, v3
; %bb.2664:                             ;   in Loop: Header=BB4_1885 Depth=2
	s_or_b32 exec_lo, exec_lo, s11
                                        ; implicit-def: $vgpr3
.LBB4_2665:                             ;   in Loop: Header=BB4_1885 Depth=2
	s_and_not1_saveexec_b32 s11, s12
; %bb.2666:                             ;   in Loop: Header=BB4_1885 Depth=2
	v_or_b32_e32 v98, 0x7f, v3
; %bb.2667:                             ;   in Loop: Header=BB4_1885 Depth=2
	s_or_b32 exec_lo, exec_lo, s11
	v_lshrrev_b16 v11, 8, v2
	v_mov_b32_e32 v3, 0
	s_mov_b32 s11, exec_lo
	s_delay_alu instid0(VALU_DEP_2)
	v_cmpx_ne_u16_e32 0, v11
	s_cbranch_execz .LBB4_2675
; %bb.2668:                             ;   in Loop: Header=BB4_1885 Depth=2
	v_bfrev_b32_e32 v3, 1
	s_mov_b32 s12, exec_lo
	v_cmpx_ne_u16_e32 0x80, v11
	s_cbranch_execz .LBB4_2674
; %bb.2669:                             ;   in Loop: Header=BB4_1885 Depth=2
	v_and_b32_e32 v96, 0xffff, v11
	v_mov_b32_e32 v3, 0x7f800001
	s_mov_b32 s42, exec_lo
	s_delay_alu instid0(VALU_DEP_2) | instskip(NEXT) | instid1(VALU_DEP_1)
	v_and_b32_e32 v11, 0x7f, v96
	v_cmpx_ne_u32_e32 0x7f, v11
	s_cbranch_execz .LBB4_2673
; %bb.2670:                             ;   in Loop: Header=BB4_1885 Depth=2
	v_dual_mov_b32 v97, v39 :: v_dual_bitop2_b32 v96, 7, v96 bitop3:0x40
	v_lshrrev_b32_e32 v3, 3, v11
	s_mov_b32 s43, exec_lo
	v_cmpx_gt_u32_e32 8, v11
; %bb.2671:                             ;   in Loop: Header=BB4_1885 Depth=2
	s_delay_alu instid0(VALU_DEP_3) | instskip(NEXT) | instid1(VALU_DEP_1)
	v_clz_i32_u32_e32 v3, v96
	v_min_u32_e32 v3, 32, v3
	s_delay_alu instid0(VALU_DEP_1) | instskip(NEXT) | instid1(VALU_DEP_1)
	v_subrev_nc_u32_e32 v11, 28, v3
	v_lshlrev_b64_e32 v[20:21], v11, v[96:97]
	s_delay_alu instid0(VALU_DEP_1)
	v_dual_sub_nc_u32 v3, 29, v3 :: v_dual_bitop2_b32 v96, 7, v20 bitop3:0x40
; %bb.2672:                             ;   in Loop: Header=BB4_1885 Depth=2
	s_or_b32 exec_lo, exec_lo, s43
	s_delay_alu instid0(VALU_DEP_1) | instskip(NEXT) | instid1(VALU_DEP_2)
	v_dual_lshlrev_b32 v2, 16, v2 :: v_dual_lshlrev_b32 v11, 20, v96
	v_lshl_add_u32 v3, v3, 23, 0x3c000000
	s_delay_alu instid0(VALU_DEP_2) | instskip(NEXT) | instid1(VALU_DEP_1)
	v_and_b32_e32 v2, 0x80000000, v2
	v_or3_b32 v3, v11, v2, v3
.LBB4_2673:                             ;   in Loop: Header=BB4_1885 Depth=2
	s_or_b32 exec_lo, exec_lo, s42
.LBB4_2674:                             ;   in Loop: Header=BB4_1885 Depth=2
	s_delay_alu instid0(SALU_CYCLE_1)
	s_or_b32 exec_lo, exec_lo, s12
.LBB4_2675:                             ;   in Loop: Header=BB4_1885 Depth=2
	s_delay_alu instid0(SALU_CYCLE_1) | instskip(SKIP_3) | instid1(VALU_DEP_1)
	s_or_b32 exec_lo, exec_lo, s11
	v_lshrrev_b16 v2, 8, v10
	s_mov_b32 s12, 0
	s_mov_b32 s11, exec_lo
	v_cmpx_lt_i16_e32 0x7f, v2
	s_xor_b32 s11, exec_lo, s11
	s_cbranch_execnz .LBB4_2682
; %bb.2676:                             ;   in Loop: Header=BB4_1885 Depth=2
	s_or_saveexec_b32 s11, s11
	v_bfrev_b32_e32 v11, 1
	s_xor_b32 exec_lo, exec_lo, s11
	s_cbranch_execnz .LBB4_2685
.LBB4_2677:                             ;   in Loop: Header=BB4_1885 Depth=2
	s_or_b32 exec_lo, exec_lo, s11
	s_and_saveexec_b32 s11, s12
	s_cbranch_execnz .LBB4_2686
	s_branch .LBB4_2689
.LBB4_2678:                             ;   in Loop: Header=BB4_1885 Depth=2
	s_mov_b32 s11, -1
	s_mov_b32 s42, exec_lo
	v_cmpx_eq_u16_e32 0x80, v11
; %bb.2679:                             ;   in Loop: Header=BB4_1885 Depth=2
	s_xor_b32 s11, exec_lo, -1
; %bb.2680:                             ;   in Loop: Header=BB4_1885 Depth=2
	s_or_b32 exec_lo, exec_lo, s42
	s_delay_alu instid0(SALU_CYCLE_1)
	s_and_b32 s11, s11, exec_lo
                                        ; implicit-def: $vgpr11
	s_or_saveexec_b32 s12, s12
	v_bfrev_b32_e32 v96, 1
	s_xor_b32 exec_lo, exec_lo, s12
	s_cbranch_execz .LBB4_2649
.LBB4_2681:                             ;   in Loop: Header=BB4_1885 Depth=2
	v_cmp_ne_u16_e32 vcc_lo, 0, v11
	v_mov_b32_e32 v96, 0
	s_and_not1_b32 s11, s11, exec_lo
	s_and_b32 s42, vcc_lo, exec_lo
	s_delay_alu instid0(SALU_CYCLE_1)
	s_or_b32 s11, s11, s42
	s_or_b32 exec_lo, exec_lo, s12
	v_mov_b32_e32 v11, v39
	s_and_saveexec_b32 s12, s11
	s_cbranch_execnz .LBB4_2650
	s_branch .LBB4_2651
.LBB4_2682:                             ;   in Loop: Header=BB4_1885 Depth=2
	s_mov_b32 s12, -1
	s_mov_b32 s42, exec_lo
	v_cmpx_eq_u16_e32 0x80, v2
; %bb.2683:                             ;   in Loop: Header=BB4_1885 Depth=2
	s_xor_b32 s12, exec_lo, -1
; %bb.2684:                             ;   in Loop: Header=BB4_1885 Depth=2
	s_or_b32 exec_lo, exec_lo, s42
	s_delay_alu instid0(SALU_CYCLE_1)
	s_and_b32 s12, s12, exec_lo
	s_or_saveexec_b32 s11, s11
	v_bfrev_b32_e32 v11, 1
	s_xor_b32 exec_lo, exec_lo, s11
	s_cbranch_execz .LBB4_2677
.LBB4_2685:                             ;   in Loop: Header=BB4_1885 Depth=2
	v_cmp_ne_u16_e32 vcc_lo, 0, v2
	v_mov_b32_e32 v11, 0
	s_and_not1_b32 s12, s12, exec_lo
	s_and_b32 s42, vcc_lo, exec_lo
	s_delay_alu instid0(SALU_CYCLE_1)
	s_or_b32 s12, s12, s42
	s_or_b32 exec_lo, exec_lo, s11
	s_and_saveexec_b32 s11, s12
	s_cbranch_execz .LBB4_2689
.LBB4_2686:                             ;   in Loop: Header=BB4_1885 Depth=2
	v_and_b32_e32 v10, 0xffff, v2
	v_mov_b32_e32 v11, 0x7f800001
	s_mov_b32 s12, exec_lo
	s_delay_alu instid0(VALU_DEP_2) | instskip(NEXT) | instid1(VALU_DEP_1)
	v_and_b32_e32 v96, 0x7f, v10
	v_cmpx_ne_u32_e32 0x7f, v96
	s_cbranch_execz .LBB4_2688
; %bb.2687:                             ;   in Loop: Header=BB4_1885 Depth=2
	v_and_b32_e32 v20, 7, v10
	v_cmp_gt_u32_e32 vcc_lo, 8, v96
	s_delay_alu instid0(VALU_DEP_2) | instskip(NEXT) | instid1(VALU_DEP_1)
	v_clz_i32_u32_e32 v11, v20
	v_min_u32_e32 v21, 32, v11
	s_delay_alu instid0(VALU_DEP_1) | instskip(NEXT) | instid1(VALU_DEP_1)
	v_subrev_nc_u32_e32 v11, 28, v21
	v_lshlrev_b64_e32 v[10:11], v11, v[10:11]
	v_dual_lshrrev_b32 v11, 3, v96 :: v_dual_sub_nc_u32 v21, 29, v21
	s_delay_alu instid0(VALU_DEP_2) | instskip(NEXT) | instid1(VALU_DEP_2)
	v_and_b32_e32 v10, 7, v10
	v_dual_cndmask_b32 v11, v11, v21 :: v_dual_lshlrev_b32 v2, 24, v2
	s_delay_alu instid0(VALU_DEP_2) | instskip(NEXT) | instid1(VALU_DEP_2)
	v_cndmask_b32_e32 v10, v20, v10, vcc_lo
	v_and_b32_e32 v2, 0x80000000, v2
	s_delay_alu instid0(VALU_DEP_3) | instskip(NEXT) | instid1(VALU_DEP_3)
	v_lshl_add_u32 v11, v11, 23, 0x3c000000
	v_lshlrev_b32_e32 v10, 20, v10
	s_delay_alu instid0(VALU_DEP_1)
	v_or3_b32 v11, v10, v2, v11
.LBB4_2688:                             ;   in Loop: Header=BB4_1885 Depth=2
	s_or_b32 exec_lo, exec_lo, s12
.LBB4_2689:                             ;   in Loop: Header=BB4_1885 Depth=2
	s_delay_alu instid0(SALU_CYCLE_1) | instskip(NEXT) | instid1(VALU_DEP_1)
	s_or_b32 exec_lo, exec_lo, s11
	v_add_f32_e32 v10, v3, v11
	v_mov_b32_e32 v3, v39
	s_delay_alu instid0(VALU_DEP_2) | instskip(NEXT) | instid1(VALU_DEP_1)
	v_and_b32_e32 v2, 0x7f800000, v10
	v_cmp_ne_u64_e32 vcc_lo, 0x7f800000, v[2:3]
	v_lshrrev_b32_e32 v3, 24, v10
                                        ; implicit-def: $vgpr2
	s_and_saveexec_b32 s11, vcc_lo
	s_delay_alu instid0(SALU_CYCLE_1)
	s_xor_b32 s12, exec_lo, s11
	s_cbranch_execz .LBB4_2703
; %bb.2690:                             ;   in Loop: Header=BB4_1885 Depth=2
	v_and_b32_e32 v20, 0x7fffffff, v10
	v_mov_b32_e32 v21, v39
	v_and_b32_e32 v3, 0x80, v3
                                        ; implicit-def: $vgpr2
	s_mov_b32 s11, exec_lo
	s_delay_alu instid0(VALU_DEP_2)
	v_cmpx_gt_u64_e32 0x43e00001, v[20:21]
	s_xor_b32 s42, exec_lo, s11
	s_cbranch_execz .LBB4_2700
; %bb.2691:                             ;   in Loop: Header=BB4_1885 Depth=2
	v_mov_b32_e32 v2, 0
	s_mov_b32 s43, exec_lo
	v_cmpx_ne_u32_e32 0, v10
	s_cbranch_execz .LBB4_2699
; %bb.2692:                             ;   in Loop: Header=BB4_1885 Depth=2
	v_bfe_u32 v2, v10, 23, 8
	v_and_b32_e32 v20, 0x7fffff, v10
	s_delay_alu instid0(VALU_DEP_2) | instskip(NEXT) | instid1(VALU_DEP_2)
	v_cmp_gt_u32_e32 vcc_lo, 0x7a, v2
	v_or_b32_e32 v21, 0x800000, v20
	v_sub_nc_u32_e32 v11, 0x79, v2
	s_delay_alu instid0(VALU_DEP_1) | instskip(SKIP_1) | instid1(VALU_DEP_4)
	v_cndmask_b32_e32 v11, 0, v11, vcc_lo
	v_cmp_eq_u32_e32 vcc_lo, 0, v2
	v_dual_cndmask_b32 v20, v21, v20 :: v_dual_mov_b32 v21, v39
	s_delay_alu instid0(VALU_DEP_3) | instskip(NEXT) | instid1(VALU_DEP_1)
	v_cndmask_b32_e64 v99, v11, 0x78, vcc_lo
	v_dual_add_nc_u32 v10, 20, v99 :: v_dual_add_nc_u32 v96, 19, v99
	s_delay_alu instid0(VALU_DEP_1) | instskip(NEXT) | instid1(VALU_DEP_2)
	v_lshlrev_b64_e64 v[10:11], v10, -1
	v_lshlrev_b64_e64 v[96:97], v96, 1
	s_delay_alu instid0(VALU_DEP_2) | instskip(NEXT) | instid1(VALU_DEP_3)
	v_bfi_b32 v63, v11, 0, 0
	v_bfi_b32 v62, v10, 0, v20
	v_lshrrev_b64 v[10:11], v99, v[20:21]
	s_delay_alu instid0(VALU_DEP_2) | instskip(NEXT) | instid1(VALU_DEP_2)
	v_cmp_eq_u64_e64 s11, v[62:63], v[96:97]
	v_mov_b64_e32 v[96:97], v[10:11]
	s_and_saveexec_b32 s44, s11
; %bb.2693:                             ;   in Loop: Header=BB4_1885 Depth=2
	v_bfe_u32 v20, v10, 20, 1
	v_mov_b32_e32 v21, v39
	s_delay_alu instid0(VALU_DEP_1) | instskip(NEXT) | instid1(VALU_DEP_1)
	v_add_nc_u64_e32 v[20:21], v[10:11], v[20:21]
	v_add_nc_u64_e32 v[96:97], -1, v[20:21]
; %bb.2694:                             ;   in Loop: Header=BB4_1885 Depth=2
	s_or_b32 exec_lo, exec_lo, s44
	v_add_nc_u32_e32 v2, 0xffffff81, v2
	v_lshrrev_b32_e32 v11, 23, v10
	s_mov_b32 s11, exec_lo
	s_delay_alu instid0(VALU_DEP_2) | instskip(NEXT) | instid1(VALU_DEP_1)
	v_cndmask_b32_e64 v2, v2, 0xffffff82, vcc_lo
	v_add3_u32 v97, v99, v2, v11
	v_and_b32_e32 v2, 0xfffff, v96
	s_delay_alu instid0(VALU_DEP_2) | instskip(NEXT) | instid1(VALU_DEP_2)
	v_dual_mov_b32 v11, v39 :: v_dual_add_nc_u32 v96, 6, v97
	v_add_nc_u32_e32 v10, v2, v10
                                        ; implicit-def: $vgpr2
	s_delay_alu instid0(VALU_DEP_2)
	v_cmpx_ne_u32_e32 0, v96
	s_xor_b32 s11, exec_lo, s11
; %bb.2695:                             ;   in Loop: Header=BB4_1885 Depth=2
	s_delay_alu instid0(VALU_DEP_2) | instskip(SKIP_2) | instid1(VALU_DEP_2)
	v_cmp_lt_u64_e32 vcc_lo, 0xffffff, v[10:11]
	v_add_nc_u32_e32 v2, 7, v97
	v_cndmask_b32_e64 v20, 0, 1, vcc_lo
	v_cndmask_b32_e32 v2, v96, v2, vcc_lo
	s_delay_alu instid0(VALU_DEP_2)
	v_lshrrev_b64 v[10:11], v20, v[10:11]
; %bb.2696:                             ;   in Loop: Header=BB4_1885 Depth=2
	s_and_not1_saveexec_b32 s11, s11
; %bb.2697:                             ;   in Loop: Header=BB4_1885 Depth=2
	s_delay_alu instid0(VALU_DEP_1)
	v_bfe_u32 v2, v10, 23, 1
; %bb.2698:                             ;   in Loop: Header=BB4_1885 Depth=2
	s_or_b32 exec_lo, exec_lo, s11
	s_delay_alu instid0(VALU_DEP_2) | instskip(NEXT) | instid1(VALU_DEP_2)
	v_lshrrev_b64 v[10:11], 20, v[10:11]
	v_cmp_gt_i32_e32 vcc_lo, 16, v2
	v_min_i32_e32 v20, 15, v2
	v_cmp_eq_u32_e64 s11, 0, v2
	s_delay_alu instid0(VALU_DEP_2) | instskip(SKIP_1) | instid1(VALU_DEP_2)
	v_dual_cndmask_b32 v11, 0, v11 :: v_dual_lshlrev_b32 v20, 3, v20
	v_cndmask_b32_e32 v10, 7, v10, vcc_lo
	v_and_b32_e32 v20, 0xf8, v20
	s_delay_alu instid0(VALU_DEP_2) | instskip(NEXT) | instid1(VALU_DEP_2)
	v_cmp_eq_u64_e32 vcc_lo, 0, v[10:11]
	v_and_or_b32 v2, v10, 7, v20
	s_and_b32 s11, s11, vcc_lo
	s_delay_alu instid0(VALU_DEP_1) | instid1(SALU_CYCLE_1)
	v_cndmask_b32_e64 v2, v2, 0, s11
	s_delay_alu instid0(VALU_DEP_1)
	v_or_b32_e32 v2, v2, v3
.LBB4_2699:                             ;   in Loop: Header=BB4_1885 Depth=2
	s_or_b32 exec_lo, exec_lo, s43
                                        ; implicit-def: $vgpr3
.LBB4_2700:                             ;   in Loop: Header=BB4_1885 Depth=2
	s_and_not1_saveexec_b32 s11, s42
; %bb.2701:                             ;   in Loop: Header=BB4_1885 Depth=2
	v_or_b32_e32 v2, 0x7e, v3
; %bb.2702:                             ;   in Loop: Header=BB4_1885 Depth=2
	s_or_b32 exec_lo, exec_lo, s11
                                        ; implicit-def: $vgpr3
.LBB4_2703:                             ;   in Loop: Header=BB4_1885 Depth=2
	s_and_not1_saveexec_b32 s11, s12
; %bb.2704:                             ;   in Loop: Header=BB4_1885 Depth=2
	v_or_b32_e32 v2, 0x7f, v3
; %bb.2705:                             ;   in Loop: Header=BB4_1885 Depth=2
	s_or_b32 exec_lo, exec_lo, s11
	v_dual_mov_b32 v3, 0 :: v_dual_lshrrev_b32 v96, 16, v38
	s_mov_b32 s11, exec_lo
	s_delay_alu instid0(VALU_DEP_1) | instskip(NEXT) | instid1(VALU_DEP_1)
	v_and_b32_e32 v10, 0xff, v96
	v_cmpx_ne_u16_e32 0, v10
	s_cbranch_execz .LBB4_2713
; %bb.2706:                             ;   in Loop: Header=BB4_1885 Depth=2
	v_bfrev_b32_e32 v3, 1
	s_mov_b32 s12, exec_lo
	v_cmpx_ne_u16_e32 0x80, v10
	s_cbranch_execz .LBB4_2712
; %bb.2707:                             ;   in Loop: Header=BB4_1885 Depth=2
	v_bfe_u32 v97, v38, 16, 7
	v_mov_b32_e32 v3, 0x7f800001
	s_mov_b32 s42, exec_lo
	s_delay_alu instid0(VALU_DEP_2)
	v_cmpx_ne_u32_e32 0x7f, v97
	s_cbranch_execz .LBB4_2711
; %bb.2708:                             ;   in Loop: Header=BB4_1885 Depth=2
	v_dual_mov_b32 v11, v39 :: v_dual_bitop2_b32 v10, 7, v96 bitop3:0x40
	v_lshrrev_b32_e32 v3, 3, v97
	s_mov_b32 s43, exec_lo
	v_cmpx_gt_u32_e32 8, v97
; %bb.2709:                             ;   in Loop: Header=BB4_1885 Depth=2
	s_delay_alu instid0(VALU_DEP_3) | instskip(NEXT) | instid1(VALU_DEP_1)
	v_clz_i32_u32_e32 v3, v10
	v_min_u32_e32 v3, 32, v3
	s_delay_alu instid0(VALU_DEP_1) | instskip(NEXT) | instid1(VALU_DEP_1)
	v_subrev_nc_u32_e32 v20, 28, v3
	v_lshlrev_b64_e32 v[10:11], v20, v[10:11]
	s_delay_alu instid0(VALU_DEP_1)
	v_dual_sub_nc_u32 v3, 29, v3 :: v_dual_bitop2_b32 v10, 7, v10 bitop3:0x40
; %bb.2710:                             ;   in Loop: Header=BB4_1885 Depth=2
	s_or_b32 exec_lo, exec_lo, s43
	s_delay_alu instid0(VALU_DEP_1) | instskip(NEXT) | instid1(VALU_DEP_2)
	v_dual_lshlrev_b32 v11, 24, v96 :: v_dual_lshlrev_b32 v10, 20, v10
	v_lshl_add_u32 v3, v3, 23, 0x3c000000
	s_delay_alu instid0(VALU_DEP_2) | instskip(NEXT) | instid1(VALU_DEP_1)
	v_and_b32_e32 v11, 0x80000000, v11
	v_or3_b32 v3, v10, v11, v3
.LBB4_2711:                             ;   in Loop: Header=BB4_1885 Depth=2
	s_or_b32 exec_lo, exec_lo, s42
.LBB4_2712:                             ;   in Loop: Header=BB4_1885 Depth=2
	s_delay_alu instid0(SALU_CYCLE_1)
	s_or_b32 exec_lo, exec_lo, s12
.LBB4_2713:                             ;   in Loop: Header=BB4_1885 Depth=2
	s_delay_alu instid0(SALU_CYCLE_1) | instskip(SKIP_3) | instid1(VALU_DEP_1)
	s_or_b32 exec_lo, exec_lo, s11
	v_lshrrev_b32_e32 v10, 16, v13
	s_mov_b32 s12, 0
	s_mov_b32 s11, exec_lo
	v_and_b32_e32 v96, 0xff, v10
	s_delay_alu instid0(VALU_DEP_1)
	v_cmpx_lt_i16_e32 0x7f, v96
	s_xor_b32 s11, exec_lo, s11
	s_cbranch_execnz .LBB4_2716
; %bb.2714:                             ;   in Loop: Header=BB4_1885 Depth=2
	s_or_saveexec_b32 s11, s11
	v_bfrev_b32_e32 v11, 1
	s_xor_b32 exec_lo, exec_lo, s11
	s_cbranch_execnz .LBB4_2719
.LBB4_2715:                             ;   in Loop: Header=BB4_1885 Depth=2
	s_or_b32 exec_lo, exec_lo, s11
	s_and_saveexec_b32 s11, s12
	s_cbranch_execnz .LBB4_2720
	s_branch .LBB4_2723
.LBB4_2716:                             ;   in Loop: Header=BB4_1885 Depth=2
	s_mov_b32 s12, -1
	s_mov_b32 s42, exec_lo
	v_cmpx_eq_u16_e32 0x80, v96
; %bb.2717:                             ;   in Loop: Header=BB4_1885 Depth=2
	s_xor_b32 s12, exec_lo, -1
; %bb.2718:                             ;   in Loop: Header=BB4_1885 Depth=2
	s_or_b32 exec_lo, exec_lo, s42
	s_delay_alu instid0(SALU_CYCLE_1)
	s_and_b32 s12, s12, exec_lo
                                        ; implicit-def: $vgpr96
	s_or_saveexec_b32 s11, s11
	v_bfrev_b32_e32 v11, 1
	s_xor_b32 exec_lo, exec_lo, s11
	s_cbranch_execz .LBB4_2715
.LBB4_2719:                             ;   in Loop: Header=BB4_1885 Depth=2
	v_cmp_ne_u16_e32 vcc_lo, 0, v96
	v_mov_b32_e32 v11, 0
	s_and_not1_b32 s12, s12, exec_lo
	s_and_b32 s42, vcc_lo, exec_lo
	s_delay_alu instid0(SALU_CYCLE_1)
	s_or_b32 s12, s12, s42
	s_or_b32 exec_lo, exec_lo, s11
	s_and_saveexec_b32 s11, s12
	s_cbranch_execz .LBB4_2723
.LBB4_2720:                             ;   in Loop: Header=BB4_1885 Depth=2
	v_and_b32_e32 v96, 0x7f, v10
	v_mov_b32_e32 v11, 0x7f800001
	s_mov_b32 s12, exec_lo
	s_delay_alu instid0(VALU_DEP_2)
	v_cmpx_ne_u32_e32 0x7f, v96
	s_cbranch_execz .LBB4_2722
; %bb.2721:                             ;   in Loop: Header=BB4_1885 Depth=2
	v_and_b32_e32 v11, 7, v10
	v_cmp_gt_u32_e32 vcc_lo, 8, v96
	s_delay_alu instid0(VALU_DEP_2) | instskip(NEXT) | instid1(VALU_DEP_1)
	v_clz_i32_u32_e32 v20, v11
	v_min_u32_e32 v97, 32, v20
	s_delay_alu instid0(VALU_DEP_1) | instskip(NEXT) | instid1(VALU_DEP_1)
	v_subrev_nc_u32_e32 v20, 28, v97
	v_lshlrev_b64_e32 v[20:21], v20, v[10:11]
	v_dual_lshrrev_b32 v21, 3, v96 :: v_dual_sub_nc_u32 v97, 29, v97
	s_delay_alu instid0(VALU_DEP_2) | instskip(NEXT) | instid1(VALU_DEP_1)
	v_dual_lshlrev_b32 v10, 24, v10 :: v_dual_bitop2_b32 v20, 7, v20 bitop3:0x40
	v_dual_cndmask_b32 v21, v21, v97, vcc_lo :: v_dual_cndmask_b32 v11, v11, v20, vcc_lo
	s_delay_alu instid0(VALU_DEP_2) | instskip(NEXT) | instid1(VALU_DEP_2)
	v_and_b32_e32 v10, 0x80000000, v10
	v_lshl_add_u32 v20, v21, 23, 0x3c000000
	s_delay_alu instid0(VALU_DEP_3) | instskip(NEXT) | instid1(VALU_DEP_1)
	v_lshlrev_b32_e32 v11, 20, v11
	v_or3_b32 v11, v11, v10, v20
.LBB4_2722:                             ;   in Loop: Header=BB4_1885 Depth=2
	s_or_b32 exec_lo, exec_lo, s12
.LBB4_2723:                             ;   in Loop: Header=BB4_1885 Depth=2
	s_delay_alu instid0(SALU_CYCLE_1) | instskip(NEXT) | instid1(VALU_DEP_1)
	s_or_b32 exec_lo, exec_lo, s11
	v_add_f32_e32 v10, v3, v11
	v_mov_b32_e32 v21, v39
                                        ; implicit-def: $vgpr3
	s_mov_b32 s11, exec_lo
	s_delay_alu instid0(VALU_DEP_2) | instskip(SKIP_1) | instid1(VALU_DEP_2)
	v_and_b32_e32 v20, 0x7f800000, v10
	v_lshrrev_b32_e32 v11, 24, v10
	v_cmpx_ne_u64_e32 0x7f800000, v[20:21]
	s_xor_b32 s12, exec_lo, s11
	s_cbranch_execz .LBB4_2737
; %bb.2724:                             ;   in Loop: Header=BB4_1885 Depth=2
	v_and_b32_e32 v20, 0x7fffffff, v10
	v_mov_b32_e32 v21, v39
	v_and_b32_e32 v99, 0x80, v11
                                        ; implicit-def: $vgpr3
	s_mov_b32 s11, exec_lo
	s_delay_alu instid0(VALU_DEP_2)
	v_cmpx_gt_u64_e32 0x43e00001, v[20:21]
	s_xor_b32 s42, exec_lo, s11
	s_cbranch_execz .LBB4_2734
; %bb.2725:                             ;   in Loop: Header=BB4_1885 Depth=2
	v_mov_b32_e32 v3, 0
	s_mov_b32 s43, exec_lo
	v_cmpx_ne_u32_e32 0, v10
	s_cbranch_execz .LBB4_2733
; %bb.2726:                             ;   in Loop: Header=BB4_1885 Depth=2
	v_bfe_u32 v3, v10, 23, 8
	v_and_b32_e32 v20, 0x7fffff, v10
	s_delay_alu instid0(VALU_DEP_2) | instskip(NEXT) | instid1(VALU_DEP_2)
	v_cmp_gt_u32_e32 vcc_lo, 0x7a, v3
	v_or_b32_e32 v21, 0x800000, v20
	v_sub_nc_u32_e32 v11, 0x79, v3
	s_delay_alu instid0(VALU_DEP_1) | instskip(SKIP_1) | instid1(VALU_DEP_2)
	v_cndmask_b32_e32 v11, 0, v11, vcc_lo
	v_cmp_eq_u32_e32 vcc_lo, 0, v3
	v_cndmask_b32_e64 v113, v11, 0x78, vcc_lo
	v_dual_cndmask_b32 v20, v21, v20 :: v_dual_mov_b32 v21, v39
	s_delay_alu instid0(VALU_DEP_2) | instskip(NEXT) | instid1(VALU_DEP_1)
	v_dual_add_nc_u32 v96, 19, v113 :: v_dual_add_nc_u32 v10, 20, v113
	v_lshlrev_b64_e64 v[96:97], v96, 1
	s_delay_alu instid0(VALU_DEP_2) | instskip(NEXT) | instid1(VALU_DEP_1)
	v_lshlrev_b64_e64 v[10:11], v10, -1
	v_bfi_b32 v63, v11, 0, 0
	s_delay_alu instid0(VALU_DEP_2) | instskip(SKIP_1) | instid1(VALU_DEP_2)
	v_bfi_b32 v62, v10, 0, v20
	v_lshrrev_b64 v[10:11], v113, v[20:21]
	v_cmp_eq_u64_e64 s11, v[62:63], v[96:97]
	s_delay_alu instid0(VALU_DEP_2)
	v_mov_b64_e32 v[96:97], v[10:11]
	s_and_saveexec_b32 s44, s11
; %bb.2727:                             ;   in Loop: Header=BB4_1885 Depth=2
	v_bfe_u32 v20, v10, 20, 1
	v_mov_b32_e32 v21, v39
	s_delay_alu instid0(VALU_DEP_1) | instskip(NEXT) | instid1(VALU_DEP_1)
	v_add_nc_u64_e32 v[20:21], v[10:11], v[20:21]
	v_add_nc_u64_e32 v[96:97], -1, v[20:21]
; %bb.2728:                             ;   in Loop: Header=BB4_1885 Depth=2
	s_or_b32 exec_lo, exec_lo, s44
	v_add_nc_u32_e32 v3, 0xffffff81, v3
	v_lshrrev_b32_e32 v11, 23, v10
	s_mov_b32 s11, exec_lo
	s_delay_alu instid0(VALU_DEP_2) | instskip(NEXT) | instid1(VALU_DEP_1)
	v_cndmask_b32_e64 v3, v3, 0xffffff82, vcc_lo
	v_add3_u32 v97, v113, v3, v11
	v_and_b32_e32 v3, 0xfffff, v96
	s_delay_alu instid0(VALU_DEP_2) | instskip(NEXT) | instid1(VALU_DEP_2)
	v_dual_mov_b32 v11, v39 :: v_dual_add_nc_u32 v96, 6, v97
	v_add_nc_u32_e32 v10, v3, v10
                                        ; implicit-def: $vgpr3
	s_delay_alu instid0(VALU_DEP_2)
	v_cmpx_ne_u32_e32 0, v96
	s_xor_b32 s11, exec_lo, s11
; %bb.2729:                             ;   in Loop: Header=BB4_1885 Depth=2
	s_delay_alu instid0(VALU_DEP_2) | instskip(SKIP_2) | instid1(VALU_DEP_2)
	v_cmp_lt_u64_e32 vcc_lo, 0xffffff, v[10:11]
	v_add_nc_u32_e32 v3, 7, v97
	v_cndmask_b32_e64 v20, 0, 1, vcc_lo
	v_cndmask_b32_e32 v3, v96, v3, vcc_lo
	s_delay_alu instid0(VALU_DEP_2)
	v_lshrrev_b64 v[10:11], v20, v[10:11]
; %bb.2730:                             ;   in Loop: Header=BB4_1885 Depth=2
	s_and_not1_saveexec_b32 s11, s11
; %bb.2731:                             ;   in Loop: Header=BB4_1885 Depth=2
	s_delay_alu instid0(VALU_DEP_1)
	v_bfe_u32 v3, v10, 23, 1
; %bb.2732:                             ;   in Loop: Header=BB4_1885 Depth=2
	s_or_b32 exec_lo, exec_lo, s11
	s_delay_alu instid0(VALU_DEP_2) | instskip(NEXT) | instid1(VALU_DEP_2)
	v_lshrrev_b64 v[10:11], 20, v[10:11]
	v_cmp_gt_i32_e32 vcc_lo, 16, v3
	v_min_i32_e32 v20, 15, v3
	v_cmp_eq_u32_e64 s11, 0, v3
	s_delay_alu instid0(VALU_DEP_2) | instskip(SKIP_1) | instid1(VALU_DEP_2)
	v_dual_cndmask_b32 v10, 7, v10, vcc_lo :: v_dual_lshlrev_b32 v20, 3, v20
	v_cndmask_b32_e32 v11, 0, v11, vcc_lo
	v_and_b32_e32 v20, 0xf8, v20
	s_delay_alu instid0(VALU_DEP_2) | instskip(NEXT) | instid1(VALU_DEP_2)
	v_cmp_eq_u64_e32 vcc_lo, 0, v[10:11]
	v_and_or_b32 v3, v10, 7, v20
	s_and_b32 s11, s11, vcc_lo
	s_delay_alu instid0(VALU_DEP_1) | instid1(SALU_CYCLE_1)
	v_cndmask_b32_e64 v3, v3, 0, s11
	s_delay_alu instid0(VALU_DEP_1)
	v_or_b32_e32 v3, v3, v99
.LBB4_2733:                             ;   in Loop: Header=BB4_1885 Depth=2
	s_or_b32 exec_lo, exec_lo, s43
                                        ; implicit-def: $vgpr99
.LBB4_2734:                             ;   in Loop: Header=BB4_1885 Depth=2
	s_and_not1_saveexec_b32 s11, s42
; %bb.2735:                             ;   in Loop: Header=BB4_1885 Depth=2
	v_or_b32_e32 v3, 0x7e, v99
; %bb.2736:                             ;   in Loop: Header=BB4_1885 Depth=2
	s_or_b32 exec_lo, exec_lo, s11
                                        ; implicit-def: $vgpr11
.LBB4_2737:                             ;   in Loop: Header=BB4_1885 Depth=2
	s_and_not1_saveexec_b32 s11, s12
; %bb.2738:                             ;   in Loop: Header=BB4_1885 Depth=2
	v_or_b32_e32 v3, 0x7f, v11
; %bb.2739:                             ;   in Loop: Header=BB4_1885 Depth=2
	s_or_b32 exec_lo, exec_lo, s11
	v_mov_b32_e32 v11, 0
	s_mov_b32 s11, exec_lo
	v_cmpx_lt_u32_e32 0xffffff, v38
	s_cbranch_execz .LBB4_2747
; %bb.2740:                             ;   in Loop: Header=BB4_1885 Depth=2
	v_lshrrev_b32_e32 v96, 24, v38
	v_bfrev_b32_e32 v11, 1
	s_mov_b32 s12, exec_lo
	s_delay_alu instid0(VALU_DEP_2)
	v_cmpx_ne_u32_e32 0x80, v96
	s_cbranch_execz .LBB4_2746
; %bb.2741:                             ;   in Loop: Header=BB4_1885 Depth=2
	v_bfe_u32 v10, v38, 24, 7
	v_mov_b32_e32 v11, 0x7f800001
	s_mov_b32 s42, exec_lo
	s_delay_alu instid0(VALU_DEP_2)
	v_cmpx_ne_u32_e32 0x7f, v10
	s_cbranch_execz .LBB4_2745
; %bb.2742:                             ;   in Loop: Header=BB4_1885 Depth=2
	v_dual_lshrrev_b32 v97, 3, v10 :: v_dual_bitop2_b32 v38, 7, v96 bitop3:0x40
	v_cmp_gt_u32_e32 vcc_lo, 8, v10
	s_delay_alu instid0(VALU_DEP_2)
	v_mov_b64_e32 v[10:11], v[38:39]
	s_and_saveexec_b32 s43, vcc_lo
; %bb.2743:                             ;   in Loop: Header=BB4_1885 Depth=2
	v_clz_i32_u32_e32 v10, v38
	s_delay_alu instid0(VALU_DEP_1) | instskip(NEXT) | instid1(VALU_DEP_1)
	v_min_u32_e32 v20, 32, v10
	v_subrev_nc_u32_e32 v10, 28, v20
	s_delay_alu instid0(VALU_DEP_1) | instskip(NEXT) | instid1(VALU_DEP_1)
	v_lshlrev_b64_e32 v[10:11], v10, v[38:39]
	v_dual_sub_nc_u32 v97, 29, v20 :: v_dual_bitop2_b32 v10, 7, v10 bitop3:0x40
; %bb.2744:                             ;   in Loop: Header=BB4_1885 Depth=2
	s_or_b32 exec_lo, exec_lo, s43
	s_delay_alu instid0(VALU_DEP_1) | instskip(NEXT) | instid1(VALU_DEP_2)
	v_dual_lshlrev_b32 v11, 24, v96 :: v_dual_lshlrev_b32 v10, 20, v10
	v_lshl_add_u32 v20, v97, 23, 0x3c000000
	s_delay_alu instid0(VALU_DEP_2) | instskip(NEXT) | instid1(VALU_DEP_1)
	v_and_b32_e32 v11, 0x80000000, v11
	v_or3_b32 v11, v10, v11, v20
.LBB4_2745:                             ;   in Loop: Header=BB4_1885 Depth=2
	s_or_b32 exec_lo, exec_lo, s42
.LBB4_2746:                             ;   in Loop: Header=BB4_1885 Depth=2
	s_delay_alu instid0(SALU_CYCLE_1)
	s_or_b32 exec_lo, exec_lo, s12
.LBB4_2747:                             ;   in Loop: Header=BB4_1885 Depth=2
	s_delay_alu instid0(SALU_CYCLE_1) | instskip(SKIP_3) | instid1(VALU_DEP_3)
	s_or_b32 exec_lo, exec_lo, s11
	v_lshrrev_b32_e32 v10, 24, v13
	v_bfe_u32 v38, v13, 24, 7
	v_cmp_gt_u64_e64 s12, s[16:17], v[12:13]
	v_cmp_eq_u32_e64 s11, 0x80, v10
	s_delay_alu instid0(VALU_DEP_3) | instskip(NEXT) | instid1(VALU_DEP_2)
	v_cmp_eq_u32_e32 vcc_lo, 0x7f, v38
	v_cndmask_b32_e64 v20, 0x7f800001, v118, s11
	s_or_b32 s11, s11, vcc_lo
	s_delay_alu instid0(VALU_DEP_1) | instskip(SKIP_1) | instid1(SALU_CYCLE_1)
	v_cndmask_b32_e64 v12, v20, 0, s12
	s_nor_b32 s12, s12, s11
	s_and_saveexec_b32 s11, s12
	s_cbranch_execz .LBB4_2749
; %bb.2748:                             ;   in Loop: Header=BB4_1885 Depth=2
	v_and_b32_e32 v20, 7, v10
	v_cmp_gt_u32_e32 vcc_lo, 8, v38
	s_delay_alu instid0(VALU_DEP_2) | instskip(NEXT) | instid1(VALU_DEP_1)
	v_clz_i32_u32_e32 v12, v20
	v_min_u32_e32 v21, 32, v12
	s_delay_alu instid0(VALU_DEP_1) | instskip(SKIP_1) | instid1(VALU_DEP_2)
	v_subrev_nc_u32_e32 v12, 28, v21
	v_sub_nc_u32_e32 v21, 29, v21
	v_lshlrev_b64_e32 v[12:13], v12, v[10:11]
	s_delay_alu instid0(VALU_DEP_1) | instskip(NEXT) | instid1(VALU_DEP_1)
	v_dual_lshrrev_b32 v13, 3, v38 :: v_dual_bitop2_b32 v12, 7, v12 bitop3:0x40
	v_dual_cndmask_b32 v13, v13, v21 :: v_dual_lshlrev_b32 v10, 24, v10
	s_delay_alu instid0(VALU_DEP_2) | instskip(NEXT) | instid1(VALU_DEP_2)
	v_cndmask_b32_e32 v12, v20, v12, vcc_lo
	v_and_b32_e32 v10, 0x80000000, v10
	s_delay_alu instid0(VALU_DEP_3) | instskip(NEXT) | instid1(VALU_DEP_3)
	v_lshl_add_u32 v13, v13, 23, 0x3c000000
	v_lshlrev_b32_e32 v12, 20, v12
	s_delay_alu instid0(VALU_DEP_1)
	v_or3_b32 v12, v12, v10, v13
.LBB4_2749:                             ;   in Loop: Header=BB4_1885 Depth=2
	s_or_b32 exec_lo, exec_lo, s11
	s_delay_alu instid0(VALU_DEP_1) | instskip(SKIP_1) | instid1(VALU_DEP_1)
	v_add_f32_e32 v11, v11, v12
                                        ; implicit-def: $vgpr10
	s_mov_b32 s11, exec_lo
	v_and_b32_e32 v38, 0x7f800000, v11
	v_lshrrev_b32_e32 v12, 24, v11
	s_delay_alu instid0(VALU_DEP_2)
	v_cmpx_ne_u64_e32 0x7f800000, v[38:39]
	s_xor_b32 s12, exec_lo, s11
	s_cbranch_execz .LBB4_2763
; %bb.2750:                             ;   in Loop: Header=BB4_1885 Depth=2
	v_and_b32_e32 v38, 0x7fffffff, v11
	v_and_b32_e32 v96, 0x80, v12
                                        ; implicit-def: $vgpr10
	s_mov_b32 s11, exec_lo
	s_delay_alu instid0(VALU_DEP_2)
	v_cmpx_gt_u64_e32 0x43e00001, v[38:39]
	s_xor_b32 s42, exec_lo, s11
	s_cbranch_execz .LBB4_2760
; %bb.2751:                             ;   in Loop: Header=BB4_1885 Depth=2
	v_mov_b32_e32 v10, 0
	s_mov_b32 s43, exec_lo
	v_cmpx_ne_u32_e32 0, v11
	s_cbranch_execz .LBB4_2759
; %bb.2752:                             ;   in Loop: Header=BB4_1885 Depth=2
	v_bfe_u32 v97, v11, 23, 8
	v_and_b32_e32 v12, 0x7fffff, v11
	s_delay_alu instid0(VALU_DEP_2) | instskip(SKIP_1) | instid1(VALU_DEP_3)
	v_sub_nc_u32_e32 v10, 0x79, v97
	v_cmp_gt_u32_e32 vcc_lo, 0x7a, v97
	v_or_b32_e32 v13, 0x800000, v12
	s_delay_alu instid0(VALU_DEP_3) | instskip(SKIP_1) | instid1(VALU_DEP_2)
	v_cndmask_b32_e32 v10, 0, v10, vcc_lo
	v_cmp_eq_u32_e32 vcc_lo, 0, v97
	v_cndmask_b32_e64 v99, v10, 0x78, vcc_lo
	s_delay_alu instid0(VALU_DEP_1) | instskip(SKIP_1) | instid1(VALU_DEP_2)
	v_dual_cndmask_b32 v38, v13, v12, vcc_lo :: v_dual_add_nc_u32 v10, 20, v99
	v_add_nc_u32_e32 v20, 19, v99
	v_lshlrev_b64_e64 v[10:11], v10, -1
	s_delay_alu instid0(VALU_DEP_2) | instskip(NEXT) | instid1(VALU_DEP_2)
	v_lshlrev_b64_e64 v[12:13], v20, 1
	v_bfi_b32 v21, v11, 0, 0
	s_delay_alu instid0(VALU_DEP_3) | instskip(SKIP_1) | instid1(VALU_DEP_2)
	v_bfi_b32 v20, v10, 0, v38
	v_lshrrev_b64 v[10:11], v99, v[38:39]
	v_cmp_eq_u64_e64 s11, v[20:21], v[12:13]
	s_delay_alu instid0(VALU_DEP_2)
	v_mov_b64_e32 v[12:13], v[10:11]
	s_and_saveexec_b32 s44, s11
; %bb.2753:                             ;   in Loop: Header=BB4_1885 Depth=2
	v_bfe_u32 v38, v10, 20, 1
	s_delay_alu instid0(VALU_DEP_1) | instskip(NEXT) | instid1(VALU_DEP_1)
	v_add_nc_u64_e32 v[12:13], v[10:11], v[38:39]
	v_add_nc_u64_e32 v[12:13], -1, v[12:13]
; %bb.2754:                             ;   in Loop: Header=BB4_1885 Depth=2
	s_or_b32 exec_lo, exec_lo, s44
	v_add_nc_u32_e32 v11, 0xffffff81, v97
	v_lshrrev_b32_e32 v13, 23, v10
	s_mov_b32 s11, exec_lo
	s_delay_alu instid0(VALU_DEP_2) | instskip(NEXT) | instid1(VALU_DEP_1)
	v_cndmask_b32_e64 v11, v11, 0xffffff82, vcc_lo
	v_add3_u32 v13, v99, v11, v13
	v_and_b32_e32 v11, 0xfffff, v12
                                        ; implicit-def: $vgpr12
	s_delay_alu instid0(VALU_DEP_1) | instskip(NEXT) | instid1(VALU_DEP_1)
	v_dual_add_nc_u32 v97, 6, v13 :: v_dual_add_nc_u32 v38, v11, v10
                                        ; implicit-def: $vgpr10_vgpr11
	v_cmpx_ne_u32_e32 0, v97
	s_xor_b32 s11, exec_lo, s11
; %bb.2755:                             ;   in Loop: Header=BB4_1885 Depth=2
	s_delay_alu instid0(VALU_DEP_2) | instskip(SKIP_1) | instid1(VALU_DEP_1)
	v_cmp_lt_u64_e32 vcc_lo, 0xffffff, v[38:39]
	v_add_nc_u32_e32 v10, 7, v13
	v_cndmask_b32_e32 v12, v97, v10, vcc_lo
	v_cndmask_b32_e64 v10, 0, 1, vcc_lo
	s_delay_alu instid0(VALU_DEP_1)
	v_lshrrev_b64 v[10:11], v10, v[38:39]
; %bb.2756:                             ;   in Loop: Header=BB4_1885 Depth=2
	s_and_not1_saveexec_b32 s11, s11
; %bb.2757:                             ;   in Loop: Header=BB4_1885 Depth=2
	v_mov_b64_e32 v[10:11], v[38:39]
	v_bfe_u32 v12, v38, 23, 1
; %bb.2758:                             ;   in Loop: Header=BB4_1885 Depth=2
	s_or_b32 exec_lo, exec_lo, s11
	s_delay_alu instid0(VALU_DEP_2) | instskip(NEXT) | instid1(VALU_DEP_2)
	v_lshrrev_b64 v[10:11], 20, v[10:11]
	v_cmp_gt_i32_e32 vcc_lo, 16, v12
	v_min_i32_e32 v13, 15, v12
	v_cmp_eq_u32_e64 s11, 0, v12
	s_delay_alu instid0(VALU_DEP_2) | instskip(SKIP_1) | instid1(VALU_DEP_2)
	v_dual_cndmask_b32 v11, 0, v11, vcc_lo :: v_dual_lshlrev_b32 v13, 3, v13
	v_cndmask_b32_e32 v10, 7, v10, vcc_lo
	v_and_b32_e32 v13, 0xf8, v13
	s_delay_alu instid0(VALU_DEP_2) | instskip(NEXT) | instid1(VALU_DEP_2)
	v_cmp_eq_u64_e32 vcc_lo, 0, v[10:11]
	v_and_or_b32 v10, v10, 7, v13
	s_and_b32 s11, s11, vcc_lo
	s_delay_alu instid0(VALU_DEP_1) | instid1(SALU_CYCLE_1)
	v_cndmask_b32_e64 v10, v10, 0, s11
	s_delay_alu instid0(VALU_DEP_1)
	v_or_b32_e32 v10, v10, v96
.LBB4_2759:                             ;   in Loop: Header=BB4_1885 Depth=2
	s_or_b32 exec_lo, exec_lo, s43
                                        ; implicit-def: $vgpr96
.LBB4_2760:                             ;   in Loop: Header=BB4_1885 Depth=2
	s_and_not1_saveexec_b32 s11, s42
; %bb.2761:                             ;   in Loop: Header=BB4_1885 Depth=2
	v_or_b32_e32 v10, 0x7e, v96
; %bb.2762:                             ;   in Loop: Header=BB4_1885 Depth=2
	s_or_b32 exec_lo, exec_lo, s11
                                        ; implicit-def: $vgpr12
.LBB4_2763:                             ;   in Loop: Header=BB4_1885 Depth=2
	s_and_not1_saveexec_b32 s11, s12
	s_cbranch_execz .LBB4_1884
; %bb.2764:                             ;   in Loop: Header=BB4_1885 Depth=2
	v_or_b32_e32 v10, 0x7f, v12
	s_branch .LBB4_1884
.LBB4_2765:                             ;   in Loop: Header=BB4_49 Depth=1
	s_or_b32 exec_lo, exec_lo, s29
.LBB4_2766:                             ;   in Loop: Header=BB4_49 Depth=1
	s_delay_alu instid0(SALU_CYCLE_1) | instskip(NEXT) | instid1(VALU_DEP_2)
	s_or_b32 exec_lo, exec_lo, s28
	v_cmp_lt_i32_e32 vcc_lo, 0, v103
	v_and_b32_e32 v2, 15, v71
	v_and_b32_e32 v3, 0x1f0, v71
	s_delay_alu instid0(VALU_DEP_2) | instskip(NEXT) | instid1(VALU_DEP_2)
	v_dual_cndmask_b32 v10, 0, v48, vcc_lo :: v_dual_cndmask_b32 v86, v81, v2, s10
	v_cndmask_b32_e64 v2, 0, v3, s10
	s_delay_alu instid0(VALU_DEP_2) | instskip(NEXT) | instid1(VALU_DEP_3)
	v_sub_nc_u32_e32 v3, v10, v103
	v_cmp_ne_u32_e32 vcc_lo, 0, v86
	s_delay_alu instid0(VALU_DEP_3) | instskip(NEXT) | instid1(VALU_DEP_3)
	v_and_or_b32 v81, 0x3ffffe00, v71, v2
	v_lshl_add_u32 v87, v3, 5, v102
	s_and_b32 s10, vcc_lo, exec_lo
.LBB4_2767:                             ;   in Loop: Header=BB4_49 Depth=1
	s_or_b32 exec_lo, exec_lo, s27
	s_and_saveexec_b32 s12, s10
	s_cbranch_execz .LBB4_3872
.LBB4_2768:                             ;   in Loop: Header=BB4_49 Depth=1
	v_dual_ashrrev_i32 v2, 31, v87 :: v_dual_lshrrev_b32 v3, 9, v86
	s_mov_b32 s27, exec_lo
	s_delay_alu instid0(VALU_DEP_1) | instskip(NEXT) | instid1(VALU_DEP_1)
	v_lshrrev_b32_e32 v2, 27, v2
	v_add_nc_u32_e32 v2, v87, v2
	s_delay_alu instid0(VALU_DEP_1) | instskip(NEXT) | instid1(VALU_DEP_1)
	v_ashrrev_i32_e32 v30, 5, v2
	v_sub_nc_u32_e32 v96, v3, v30
	s_delay_alu instid0(VALU_DEP_1)
	v_cmpx_lt_i32_e32 0, v96
	s_cbranch_execz .LBB4_3800
; %bb.2769:                             ;   in Loop: Header=BB4_49 Depth=1
	v_and_b32_e32 v10, 0xffffffe0, v2
	s_trap 2
	ds_load_b64 v[2:3], v0
	v_lshlrev_b32_e32 v11, 9, v30
	v_add_nc_u64_e32 v[16:17], 0x1e0, v[84:85]
	v_sub_nc_u32_e32 v10, v87, v10
	s_mov_b32 s28, 0
	s_delay_alu instid0(VALU_DEP_1) | instskip(NEXT) | instid1(VALU_DEP_1)
	v_add3_u32 v14, v81, v10, v11
	v_ashrrev_i32_e32 v15, 31, v14
	s_delay_alu instid0(VALU_DEP_1)
	v_add_nc_u64_e32 v[10:11], v[14:15], v[82:83]
	s_wait_dscnt 0x0
	v_add_nc_u64_e32 v[12:13], v[2:3], v[14:15]
	v_add_nc_u64_e32 v[14:15], v[16:17], v[14:15]
	s_branch .LBB4_2771
.LBB4_2770:                             ;   in Loop: Header=BB4_2771 Depth=2
	s_or_b32 exec_lo, exec_lo, s10
	v_sub_nc_u32_e32 v96, v96, v48
	s_clause 0xf
	flat_store_b8 v[14:15], v98 offset:-480 th:TH_STORE_NT
	flat_store_b8 v[14:15], v119 offset:-448 th:TH_STORE_NT
	;; [unrolled: 1-line block ×15, first 2 shown]
	flat_store_b8 v[14:15], v17 th:TH_STORE_NT
	v_add_nc_u64_e32 v[10:11], v[10:11], v[54:55]
	v_add_nc_u64_e32 v[12:13], v[12:13], v[54:55]
	v_cmp_gt_i32_e32 vcc_lo, 1, v96
	s_wait_xcnt 0x0
	v_add_nc_u64_e32 v[14:15], v[14:15], v[54:55]
	s_or_b32 s28, vcc_lo, s28
	s_delay_alu instid0(SALU_CYCLE_1)
	s_and_not1_b32 exec_lo, exec_lo, s28
	s_cbranch_execz .LBB4_3799
.LBB4_2771:                             ;   Parent Loop BB4_49 Depth=1
                                        ; =>  This Inner Loop Header: Depth=2
	s_trap 2
	ds_load_b64 v[16:17], v0
	s_mov_b32 s29, 0
	s_wait_dscnt 0x0
	v_and_b32_e32 v2, 0xff, v16
	v_readfirstlane_b32 s10, v16
	v_readfirstlane_b32 s11, v17
	s_delay_alu instid0(VALU_DEP_3)
	v_cmp_eq_u32_e32 vcc_lo, 0, v2
	s_cbranch_vccnz .LBB4_2775
; %bb.2772:                             ;   in Loop: Header=BB4_2771 Depth=2
	v_cmp_eq_u32_e32 vcc_lo, 0x80, v2
	s_brev_b32 s29, 1
	s_cbranch_vccnz .LBB4_2775
; %bb.2773:                             ;   in Loop: Header=BB4_2771 Depth=2
	s_and_b32 s40, s10, 0x7f
	s_mov_b32 s29, 0x7f800001
	s_cmp_eq_u32 s40, 0x7f
	s_cbranch_scc1 .LBB4_2775
; %bb.2774:                             ;   in Loop: Header=BB4_2771 Depth=2
	s_and_b32 s29, s10, 7
	s_lshr_b32 s41, s40, 3
	s_clz_i32_u32 s29, s29
	s_delay_alu instid0(SALU_CYCLE_1) | instskip(NEXT) | instid1(SALU_CYCLE_1)
	s_min_u32 s29, s29, 32
	s_sub_co_i32 s42, s29, 28
	s_sub_co_i32 s29, 29, s29
	s_cmp_lt_u32 s40, 8
	s_cselect_b32 s40, s42, 0
	s_cselect_b32 s29, s29, s41
	s_lshl_b64 s[40:41], s[10:11], s40
	s_lshl_b32 s10, s10, 24
	s_lshl_b32 s11, s40, 20
	;; [unrolled: 1-line block ×3, first 2 shown]
	s_and_b32 s11, s11, 0x700000
	s_and_b32 s10, s10, 0x80000000
	s_add_co_i32 s29, s29, 0x3c000000
	s_or_b32 s10, s11, s10
	s_delay_alu instid0(SALU_CYCLE_1)
	s_or_b32 s29, s29, s10
.LBB4_2775:                             ;   in Loop: Header=BB4_2771 Depth=2
	flat_load_u8 v2, v[10:11] th:TH_LOAD_NT
	v_mov_b32_e32 v3, 0
	s_mov_b32 s10, exec_lo
	s_wait_loadcnt_dscnt 0x0
	v_cmpx_ne_u16_e32 0, v2
	s_cbranch_execz .LBB4_2783
; %bb.2776:                             ;   in Loop: Header=BB4_2771 Depth=2
	v_bfrev_b32_e32 v3, 1
	s_mov_b32 s11, exec_lo
	v_cmpx_ne_u16_e32 0x80, v2
	s_cbranch_execz .LBB4_2782
; %bb.2777:                             ;   in Loop: Header=BB4_2771 Depth=2
	v_and_b32_e32 v17, 0xffff, v2
	v_mov_b32_e32 v3, 0x7f800001
	s_mov_b32 s40, exec_lo
	s_delay_alu instid0(VALU_DEP_2) | instskip(NEXT) | instid1(VALU_DEP_1)
	v_and_b32_e32 v16, 0x7f, v17
	v_cmpx_ne_u32_e32 0x7f, v16
	s_cbranch_execz .LBB4_2781
; %bb.2778:                             ;   in Loop: Header=BB4_2771 Depth=2
	v_dual_lshrrev_b32 v3, 3, v16 :: v_dual_bitop2_b32 v38, 7, v17 bitop3:0x40
	v_cmp_gt_u32_e32 vcc_lo, 8, v16
	s_delay_alu instid0(VALU_DEP_2)
	v_mov_b64_e32 v[16:17], v[38:39]
	s_and_saveexec_b32 s41, vcc_lo
; %bb.2779:                             ;   in Loop: Header=BB4_2771 Depth=2
	v_clz_i32_u32_e32 v3, v38
	s_delay_alu instid0(VALU_DEP_1) | instskip(NEXT) | instid1(VALU_DEP_1)
	v_min_u32_e32 v3, 32, v3
	v_subrev_nc_u32_e32 v16, 28, v3
	s_delay_alu instid0(VALU_DEP_1) | instskip(NEXT) | instid1(VALU_DEP_1)
	v_lshlrev_b64_e32 v[16:17], v16, v[38:39]
	v_dual_sub_nc_u32 v3, 29, v3 :: v_dual_bitop2_b32 v16, 7, v16 bitop3:0x40
; %bb.2780:                             ;   in Loop: Header=BB4_2771 Depth=2
	s_or_b32 exec_lo, exec_lo, s41
	s_delay_alu instid0(VALU_DEP_1) | instskip(NEXT) | instid1(VALU_DEP_2)
	v_dual_lshlrev_b32 v2, 24, v2 :: v_dual_lshlrev_b32 v16, 20, v16
	v_lshl_add_u32 v3, v3, 23, 0x3c000000
	s_delay_alu instid0(VALU_DEP_2) | instskip(NEXT) | instid1(VALU_DEP_1)
	v_and_b32_e32 v2, 0x80000000, v2
	v_or3_b32 v3, v16, v2, v3
.LBB4_2781:                             ;   in Loop: Header=BB4_2771 Depth=2
	s_or_b32 exec_lo, exec_lo, s40
.LBB4_2782:                             ;   in Loop: Header=BB4_2771 Depth=2
	s_delay_alu instid0(SALU_CYCLE_1)
	s_or_b32 exec_lo, exec_lo, s11
.LBB4_2783:                             ;   in Loop: Header=BB4_2771 Depth=2
	s_delay_alu instid0(SALU_CYCLE_1) | instskip(NEXT) | instid1(VALU_DEP_1)
	s_or_b32 exec_lo, exec_lo, s10
	v_mul_f32_e32 v3, s29, v3
                                        ; implicit-def: $vgpr98
	s_mov_b32 s10, exec_lo
	s_delay_alu instid0(VALU_DEP_1) | instskip(SKIP_1) | instid1(VALU_DEP_2)
	v_and_b32_e32 v38, 0x7f800000, v3
	v_lshrrev_b32_e32 v2, 24, v3
	v_cmpx_ne_u64_e32 0x7f800000, v[38:39]
	s_xor_b32 s11, exec_lo, s10
	s_cbranch_execz .LBB4_2801
; %bb.2784:                             ;   in Loop: Header=BB4_2771 Depth=2
	v_and_b32_e32 v38, 0x7fffffff, v3
	v_and_b32_e32 v2, 0x80, v2
                                        ; implicit-def: $vgpr98
	s_mov_b32 s10, exec_lo
	s_delay_alu instid0(VALU_DEP_2)
	v_cmpx_gt_u64_e32 0x43e00001, v[38:39]
	s_xor_b32 s40, exec_lo, s10
	s_cbranch_execz .LBB4_2798
; %bb.2785:                             ;   in Loop: Header=BB4_2771 Depth=2
	v_mov_b32_e32 v98, 0
	s_mov_b32 s41, exec_lo
	v_cmpx_ne_u32_e32 0, v3
	s_cbranch_execz .LBB4_2797
; %bb.2786:                             ;   in Loop: Header=BB4_2771 Depth=2
	v_bfe_u32 v84, v3, 23, 8
	v_and_b32_e32 v3, 0x7fffff, v3
	s_delay_alu instid0(VALU_DEP_2) | instskip(SKIP_1) | instid1(VALU_DEP_3)
	v_sub_nc_u32_e32 v16, 0x79, v84
	v_cmp_gt_u32_e32 vcc_lo, 0x7a, v84
	v_or_b32_e32 v20, 0x800000, v3
	s_delay_alu instid0(VALU_DEP_3) | instskip(SKIP_1) | instid1(VALU_DEP_2)
	v_cndmask_b32_e32 v16, 0, v16, vcc_lo
	v_cmp_eq_u32_e32 vcc_lo, 0, v84
	v_cndmask_b32_e64 v85, v16, 0x78, vcc_lo
	s_delay_alu instid0(VALU_DEP_1) | instskip(SKIP_1) | instid1(VALU_DEP_2)
	v_dual_cndmask_b32 v38, v20, v3, vcc_lo :: v_dual_add_nc_u32 v16, 20, v85
	v_add_nc_u32_e32 v21, 19, v85
	v_lshlrev_b64_e64 v[16:17], v16, -1
	s_delay_alu instid0(VALU_DEP_2) | instskip(NEXT) | instid1(VALU_DEP_2)
	v_lshlrev_b64_e64 v[20:21], v21, 1
	v_bfi_b32 v83, v17, 0, 0
	s_delay_alu instid0(VALU_DEP_3) | instskip(SKIP_1) | instid1(VALU_DEP_2)
	v_bfi_b32 v82, v16, 0, v38
	v_lshrrev_b64 v[16:17], v85, v[38:39]
	v_cmp_eq_u64_e64 s10, v[82:83], v[20:21]
	s_delay_alu instid0(VALU_DEP_2)
	v_mov_b64_e32 v[82:83], v[16:17]
	s_and_saveexec_b32 s42, s10
; %bb.2787:                             ;   in Loop: Header=BB4_2771 Depth=2
	v_bfe_u32 v38, v16, 20, 1
	s_delay_alu instid0(VALU_DEP_1) | instskip(NEXT) | instid1(VALU_DEP_1)
	v_add_nc_u64_e32 v[20:21], v[16:17], v[38:39]
	v_add_nc_u64_e32 v[82:83], -1, v[20:21]
; %bb.2788:                             ;   in Loop: Header=BB4_2771 Depth=2
	s_or_b32 exec_lo, exec_lo, s42
	v_add_nc_u32_e32 v3, 0xffffff81, v84
	v_lshrrev_b32_e32 v17, 23, v16
	s_mov_b32 s10, exec_lo
	s_delay_alu instid0(VALU_DEP_2) | instskip(NEXT) | instid1(VALU_DEP_1)
	v_cndmask_b32_e64 v3, v3, 0xffffff82, vcc_lo
	v_add3_u32 v83, v85, v3, v17
	v_and_b32_e32 v3, 0xfffff, v82
	s_delay_alu instid0(VALU_DEP_1) | instskip(NEXT) | instid1(VALU_DEP_1)
	v_dual_add_nc_u32 v82, 6, v83 :: v_dual_add_nc_u32 v38, v3, v16
                                        ; implicit-def: $vgpr16_vgpr17
                                        ; implicit-def: $vgpr3
	v_cmpx_ne_u32_e32 0, v82
	s_xor_b32 s10, exec_lo, s10
; %bb.2789:                             ;   in Loop: Header=BB4_2771 Depth=2
	s_delay_alu instid0(VALU_DEP_2) | instskip(SKIP_2) | instid1(VALU_DEP_2)
	v_cmp_lt_u64_e32 vcc_lo, 0xffffff, v[38:39]
	v_add_nc_u32_e32 v3, 7, v83
	v_cndmask_b32_e64 v16, 0, 1, vcc_lo
	v_cndmask_b32_e32 v3, v82, v3, vcc_lo
	s_delay_alu instid0(VALU_DEP_2)
	v_lshrrev_b64 v[16:17], v16, v[38:39]
; %bb.2790:                             ;   in Loop: Header=BB4_2771 Depth=2
	s_and_not1_saveexec_b32 s10, s10
; %bb.2791:                             ;   in Loop: Header=BB4_2771 Depth=2
	v_mov_b64_e32 v[16:17], v[38:39]
	v_bfe_u32 v3, v38, 23, 1
; %bb.2792:                             ;   in Loop: Header=BB4_2771 Depth=2
	s_or_b32 exec_lo, exec_lo, s10
	s_delay_alu instid0(VALU_DEP_2) | instskip(NEXT) | instid1(VALU_DEP_2)
	v_lshrrev_b64 v[16:17], 20, v[16:17]
	v_cmp_gt_i32_e32 vcc_lo, 16, v3
	v_cmp_ne_u32_e64 s10, 0, v3
                                        ; implicit-def: $vgpr98
	s_delay_alu instid0(VALU_DEP_3) | instskip(NEXT) | instid1(VALU_DEP_1)
	v_dual_cndmask_b32 v17, 0, v17 :: v_dual_cndmask_b32 v16, 7, v16
	v_cmp_ne_u64_e32 vcc_lo, 0, v[16:17]
	s_or_b32 s10, s10, vcc_lo
	s_delay_alu instid0(SALU_CYCLE_1) | instskip(NEXT) | instid1(SALU_CYCLE_1)
	s_and_saveexec_b32 s42, s10
	s_xor_b32 s10, exec_lo, s42
; %bb.2793:                             ;   in Loop: Header=BB4_2771 Depth=2
	v_min_i32_e32 v3, 15, v3
	s_delay_alu instid0(VALU_DEP_1) | instskip(NEXT) | instid1(VALU_DEP_1)
	v_lshl_or_b32 v2, v3, 3, v2
	v_and_or_b32 v98, v16, 7, v2
                                        ; implicit-def: $vgpr2
; %bb.2794:                             ;   in Loop: Header=BB4_2771 Depth=2
	s_and_not1_saveexec_b32 s10, s10
; %bb.2795:                             ;   in Loop: Header=BB4_2771 Depth=2
	v_mov_b32_e32 v98, v2
; %bb.2796:                             ;   in Loop: Header=BB4_2771 Depth=2
	s_or_b32 exec_lo, exec_lo, s10
.LBB4_2797:                             ;   in Loop: Header=BB4_2771 Depth=2
	s_delay_alu instid0(SALU_CYCLE_1)
	s_or_b32 exec_lo, exec_lo, s41
                                        ; implicit-def: $vgpr2
.LBB4_2798:                             ;   in Loop: Header=BB4_2771 Depth=2
	s_and_not1_saveexec_b32 s10, s40
; %bb.2799:                             ;   in Loop: Header=BB4_2771 Depth=2
	v_or_b32_e32 v98, 0x7e, v2
; %bb.2800:                             ;   in Loop: Header=BB4_2771 Depth=2
	s_or_b32 exec_lo, exec_lo, s10
                                        ; implicit-def: $vgpr2
.LBB4_2801:                             ;   in Loop: Header=BB4_2771 Depth=2
	s_and_not1_saveexec_b32 s10, s11
; %bb.2802:                             ;   in Loop: Header=BB4_2771 Depth=2
	v_or_b32_e32 v98, 0x7f, v2
; %bb.2803:                             ;   in Loop: Header=BB4_2771 Depth=2
	s_or_b32 exec_lo, exec_lo, s10
	flat_load_u8 v2, v[10:11] offset:32 th:TH_LOAD_NT
	v_mov_b32_e32 v3, 0
	s_mov_b32 s10, exec_lo
	s_wait_loadcnt_dscnt 0x0
	v_cmpx_ne_u16_e32 0, v2
	s_cbranch_execz .LBB4_2811
; %bb.2804:                             ;   in Loop: Header=BB4_2771 Depth=2
	v_bfrev_b32_e32 v3, 1
	s_mov_b32 s11, exec_lo
	v_cmpx_ne_u16_e32 0x80, v2
	s_cbranch_execz .LBB4_2810
; %bb.2805:                             ;   in Loop: Header=BB4_2771 Depth=2
	v_and_b32_e32 v17, 0xffff, v2
	v_mov_b32_e32 v3, 0x7f800001
	s_mov_b32 s40, exec_lo
	s_delay_alu instid0(VALU_DEP_2) | instskip(NEXT) | instid1(VALU_DEP_1)
	v_and_b32_e32 v16, 0x7f, v17
	v_cmpx_ne_u32_e32 0x7f, v16
	s_cbranch_execz .LBB4_2809
; %bb.2806:                             ;   in Loop: Header=BB4_2771 Depth=2
	v_dual_lshrrev_b32 v3, 3, v16 :: v_dual_bitop2_b32 v38, 7, v17 bitop3:0x40
	v_cmp_gt_u32_e32 vcc_lo, 8, v16
	s_delay_alu instid0(VALU_DEP_2)
	v_mov_b64_e32 v[16:17], v[38:39]
	s_and_saveexec_b32 s41, vcc_lo
; %bb.2807:                             ;   in Loop: Header=BB4_2771 Depth=2
	v_clz_i32_u32_e32 v3, v38
	s_delay_alu instid0(VALU_DEP_1) | instskip(NEXT) | instid1(VALU_DEP_1)
	v_min_u32_e32 v3, 32, v3
	v_subrev_nc_u32_e32 v16, 28, v3
	s_delay_alu instid0(VALU_DEP_1) | instskip(NEXT) | instid1(VALU_DEP_1)
	v_lshlrev_b64_e32 v[16:17], v16, v[38:39]
	v_dual_sub_nc_u32 v3, 29, v3 :: v_dual_bitop2_b32 v16, 7, v16 bitop3:0x40
; %bb.2808:                             ;   in Loop: Header=BB4_2771 Depth=2
	s_or_b32 exec_lo, exec_lo, s41
	s_delay_alu instid0(VALU_DEP_1) | instskip(NEXT) | instid1(VALU_DEP_2)
	v_dual_lshlrev_b32 v2, 24, v2 :: v_dual_lshlrev_b32 v16, 20, v16
	v_lshl_add_u32 v3, v3, 23, 0x3c000000
	s_delay_alu instid0(VALU_DEP_2) | instskip(NEXT) | instid1(VALU_DEP_1)
	v_and_b32_e32 v2, 0x80000000, v2
	v_or3_b32 v3, v16, v2, v3
.LBB4_2809:                             ;   in Loop: Header=BB4_2771 Depth=2
	s_or_b32 exec_lo, exec_lo, s40
.LBB4_2810:                             ;   in Loop: Header=BB4_2771 Depth=2
	s_delay_alu instid0(SALU_CYCLE_1)
	s_or_b32 exec_lo, exec_lo, s11
.LBB4_2811:                             ;   in Loop: Header=BB4_2771 Depth=2
	s_delay_alu instid0(SALU_CYCLE_1) | instskip(NEXT) | instid1(VALU_DEP_1)
	s_or_b32 exec_lo, exec_lo, s10
	v_mul_f32_e32 v3, s29, v3
                                        ; implicit-def: $vgpr119
	s_mov_b32 s10, exec_lo
	s_delay_alu instid0(VALU_DEP_1) | instskip(SKIP_1) | instid1(VALU_DEP_2)
	v_and_b32_e32 v38, 0x7f800000, v3
	v_lshrrev_b32_e32 v2, 24, v3
	v_cmpx_ne_u64_e32 0x7f800000, v[38:39]
	s_xor_b32 s11, exec_lo, s10
	s_cbranch_execz .LBB4_2829
; %bb.2812:                             ;   in Loop: Header=BB4_2771 Depth=2
	v_and_b32_e32 v38, 0x7fffffff, v3
	v_and_b32_e32 v2, 0x80, v2
                                        ; implicit-def: $vgpr119
	s_mov_b32 s10, exec_lo
	s_delay_alu instid0(VALU_DEP_2)
	v_cmpx_gt_u64_e32 0x43e00001, v[38:39]
	s_xor_b32 s40, exec_lo, s10
	s_cbranch_execz .LBB4_2826
; %bb.2813:                             ;   in Loop: Header=BB4_2771 Depth=2
	v_mov_b32_e32 v119, 0
	s_mov_b32 s41, exec_lo
	v_cmpx_ne_u32_e32 0, v3
	s_cbranch_execz .LBB4_2825
; %bb.2814:                             ;   in Loop: Header=BB4_2771 Depth=2
	v_bfe_u32 v84, v3, 23, 8
	v_and_b32_e32 v3, 0x7fffff, v3
	s_delay_alu instid0(VALU_DEP_2) | instskip(SKIP_1) | instid1(VALU_DEP_3)
	v_sub_nc_u32_e32 v16, 0x79, v84
	v_cmp_gt_u32_e32 vcc_lo, 0x7a, v84
	v_or_b32_e32 v20, 0x800000, v3
	s_delay_alu instid0(VALU_DEP_3) | instskip(SKIP_1) | instid1(VALU_DEP_2)
	v_cndmask_b32_e32 v16, 0, v16, vcc_lo
	v_cmp_eq_u32_e32 vcc_lo, 0, v84
	v_cndmask_b32_e64 v85, v16, 0x78, vcc_lo
	s_delay_alu instid0(VALU_DEP_1) | instskip(SKIP_1) | instid1(VALU_DEP_2)
	v_dual_cndmask_b32 v38, v20, v3, vcc_lo :: v_dual_add_nc_u32 v16, 20, v85
	v_add_nc_u32_e32 v21, 19, v85
	v_lshlrev_b64_e64 v[16:17], v16, -1
	s_delay_alu instid0(VALU_DEP_2) | instskip(NEXT) | instid1(VALU_DEP_2)
	v_lshlrev_b64_e64 v[20:21], v21, 1
	v_bfi_b32 v83, v17, 0, 0
	s_delay_alu instid0(VALU_DEP_3) | instskip(SKIP_1) | instid1(VALU_DEP_2)
	v_bfi_b32 v82, v16, 0, v38
	v_lshrrev_b64 v[16:17], v85, v[38:39]
	v_cmp_eq_u64_e64 s10, v[82:83], v[20:21]
	s_delay_alu instid0(VALU_DEP_2)
	v_mov_b64_e32 v[82:83], v[16:17]
	s_and_saveexec_b32 s42, s10
; %bb.2815:                             ;   in Loop: Header=BB4_2771 Depth=2
	v_bfe_u32 v38, v16, 20, 1
	s_delay_alu instid0(VALU_DEP_1) | instskip(NEXT) | instid1(VALU_DEP_1)
	v_add_nc_u64_e32 v[20:21], v[16:17], v[38:39]
	v_add_nc_u64_e32 v[82:83], -1, v[20:21]
; %bb.2816:                             ;   in Loop: Header=BB4_2771 Depth=2
	s_or_b32 exec_lo, exec_lo, s42
	v_add_nc_u32_e32 v3, 0xffffff81, v84
	v_lshrrev_b32_e32 v17, 23, v16
	s_mov_b32 s10, exec_lo
	s_delay_alu instid0(VALU_DEP_2) | instskip(NEXT) | instid1(VALU_DEP_1)
	v_cndmask_b32_e64 v3, v3, 0xffffff82, vcc_lo
	v_add3_u32 v83, v85, v3, v17
	v_and_b32_e32 v3, 0xfffff, v82
	s_delay_alu instid0(VALU_DEP_1) | instskip(NEXT) | instid1(VALU_DEP_1)
	v_dual_add_nc_u32 v82, 6, v83 :: v_dual_add_nc_u32 v38, v3, v16
                                        ; implicit-def: $vgpr16_vgpr17
                                        ; implicit-def: $vgpr3
	v_cmpx_ne_u32_e32 0, v82
	s_xor_b32 s10, exec_lo, s10
; %bb.2817:                             ;   in Loop: Header=BB4_2771 Depth=2
	s_delay_alu instid0(VALU_DEP_2) | instskip(SKIP_2) | instid1(VALU_DEP_2)
	v_cmp_lt_u64_e32 vcc_lo, 0xffffff, v[38:39]
	v_add_nc_u32_e32 v3, 7, v83
	v_cndmask_b32_e64 v16, 0, 1, vcc_lo
	v_cndmask_b32_e32 v3, v82, v3, vcc_lo
	s_delay_alu instid0(VALU_DEP_2)
	v_lshrrev_b64 v[16:17], v16, v[38:39]
; %bb.2818:                             ;   in Loop: Header=BB4_2771 Depth=2
	s_and_not1_saveexec_b32 s10, s10
; %bb.2819:                             ;   in Loop: Header=BB4_2771 Depth=2
	v_mov_b64_e32 v[16:17], v[38:39]
	v_bfe_u32 v3, v38, 23, 1
; %bb.2820:                             ;   in Loop: Header=BB4_2771 Depth=2
	s_or_b32 exec_lo, exec_lo, s10
	s_delay_alu instid0(VALU_DEP_2) | instskip(NEXT) | instid1(VALU_DEP_2)
	v_lshrrev_b64 v[16:17], 20, v[16:17]
	v_cmp_gt_i32_e32 vcc_lo, 16, v3
	v_cmp_ne_u32_e64 s10, 0, v3
                                        ; implicit-def: $vgpr119
	s_delay_alu instid0(VALU_DEP_3) | instskip(NEXT) | instid1(VALU_DEP_1)
	v_dual_cndmask_b32 v17, 0, v17 :: v_dual_cndmask_b32 v16, 7, v16
	v_cmp_ne_u64_e32 vcc_lo, 0, v[16:17]
	s_or_b32 s10, s10, vcc_lo
	s_delay_alu instid0(SALU_CYCLE_1) | instskip(NEXT) | instid1(SALU_CYCLE_1)
	s_and_saveexec_b32 s42, s10
	s_xor_b32 s10, exec_lo, s42
; %bb.2821:                             ;   in Loop: Header=BB4_2771 Depth=2
	v_min_i32_e32 v3, 15, v3
	s_delay_alu instid0(VALU_DEP_1) | instskip(NEXT) | instid1(VALU_DEP_1)
	v_lshl_or_b32 v2, v3, 3, v2
	v_and_or_b32 v119, v16, 7, v2
                                        ; implicit-def: $vgpr2
; %bb.2822:                             ;   in Loop: Header=BB4_2771 Depth=2
	s_and_not1_saveexec_b32 s10, s10
; %bb.2823:                             ;   in Loop: Header=BB4_2771 Depth=2
	v_mov_b32_e32 v119, v2
; %bb.2824:                             ;   in Loop: Header=BB4_2771 Depth=2
	s_or_b32 exec_lo, exec_lo, s10
.LBB4_2825:                             ;   in Loop: Header=BB4_2771 Depth=2
	s_delay_alu instid0(SALU_CYCLE_1)
	s_or_b32 exec_lo, exec_lo, s41
                                        ; implicit-def: $vgpr2
.LBB4_2826:                             ;   in Loop: Header=BB4_2771 Depth=2
	s_and_not1_saveexec_b32 s10, s40
; %bb.2827:                             ;   in Loop: Header=BB4_2771 Depth=2
	v_or_b32_e32 v119, 0x7e, v2
; %bb.2828:                             ;   in Loop: Header=BB4_2771 Depth=2
	s_or_b32 exec_lo, exec_lo, s10
                                        ; implicit-def: $vgpr2
.LBB4_2829:                             ;   in Loop: Header=BB4_2771 Depth=2
	s_and_not1_saveexec_b32 s10, s11
; %bb.2830:                             ;   in Loop: Header=BB4_2771 Depth=2
	v_or_b32_e32 v119, 0x7f, v2
; %bb.2831:                             ;   in Loop: Header=BB4_2771 Depth=2
	s_or_b32 exec_lo, exec_lo, s10
	flat_load_u8 v2, v[10:11] offset:64 th:TH_LOAD_NT
	v_mov_b32_e32 v3, 0
	s_mov_b32 s10, exec_lo
	s_wait_loadcnt_dscnt 0x0
	v_cmpx_ne_u16_e32 0, v2
	s_cbranch_execz .LBB4_2839
; %bb.2832:                             ;   in Loop: Header=BB4_2771 Depth=2
	v_bfrev_b32_e32 v3, 1
	s_mov_b32 s11, exec_lo
	v_cmpx_ne_u16_e32 0x80, v2
	s_cbranch_execz .LBB4_2838
; %bb.2833:                             ;   in Loop: Header=BB4_2771 Depth=2
	v_and_b32_e32 v17, 0xffff, v2
	v_mov_b32_e32 v3, 0x7f800001
	s_mov_b32 s40, exec_lo
	s_delay_alu instid0(VALU_DEP_2) | instskip(NEXT) | instid1(VALU_DEP_1)
	v_and_b32_e32 v16, 0x7f, v17
	v_cmpx_ne_u32_e32 0x7f, v16
	s_cbranch_execz .LBB4_2837
; %bb.2834:                             ;   in Loop: Header=BB4_2771 Depth=2
	v_dual_lshrrev_b32 v3, 3, v16 :: v_dual_bitop2_b32 v38, 7, v17 bitop3:0x40
	v_cmp_gt_u32_e32 vcc_lo, 8, v16
	s_delay_alu instid0(VALU_DEP_2)
	v_mov_b64_e32 v[16:17], v[38:39]
	s_and_saveexec_b32 s41, vcc_lo
; %bb.2835:                             ;   in Loop: Header=BB4_2771 Depth=2
	v_clz_i32_u32_e32 v3, v38
	s_delay_alu instid0(VALU_DEP_1) | instskip(NEXT) | instid1(VALU_DEP_1)
	v_min_u32_e32 v3, 32, v3
	v_subrev_nc_u32_e32 v16, 28, v3
	s_delay_alu instid0(VALU_DEP_1) | instskip(NEXT) | instid1(VALU_DEP_1)
	v_lshlrev_b64_e32 v[16:17], v16, v[38:39]
	v_dual_sub_nc_u32 v3, 29, v3 :: v_dual_bitop2_b32 v16, 7, v16 bitop3:0x40
; %bb.2836:                             ;   in Loop: Header=BB4_2771 Depth=2
	s_or_b32 exec_lo, exec_lo, s41
	s_delay_alu instid0(VALU_DEP_1) | instskip(NEXT) | instid1(VALU_DEP_2)
	v_dual_lshlrev_b32 v2, 24, v2 :: v_dual_lshlrev_b32 v16, 20, v16
	v_lshl_add_u32 v3, v3, 23, 0x3c000000
	s_delay_alu instid0(VALU_DEP_2) | instskip(NEXT) | instid1(VALU_DEP_1)
	v_and_b32_e32 v2, 0x80000000, v2
	v_or3_b32 v3, v16, v2, v3
.LBB4_2837:                             ;   in Loop: Header=BB4_2771 Depth=2
	s_or_b32 exec_lo, exec_lo, s40
.LBB4_2838:                             ;   in Loop: Header=BB4_2771 Depth=2
	s_delay_alu instid0(SALU_CYCLE_1)
	s_or_b32 exec_lo, exec_lo, s11
.LBB4_2839:                             ;   in Loop: Header=BB4_2771 Depth=2
	s_delay_alu instid0(SALU_CYCLE_1) | instskip(NEXT) | instid1(VALU_DEP_1)
	s_or_b32 exec_lo, exec_lo, s10
	v_mul_f32_e32 v3, s29, v3
                                        ; implicit-def: $vgpr46
	s_mov_b32 s10, exec_lo
	s_delay_alu instid0(VALU_DEP_1) | instskip(SKIP_1) | instid1(VALU_DEP_2)
	v_and_b32_e32 v38, 0x7f800000, v3
	v_lshrrev_b32_e32 v2, 24, v3
	v_cmpx_ne_u64_e32 0x7f800000, v[38:39]
	s_xor_b32 s11, exec_lo, s10
	s_cbranch_execz .LBB4_2857
; %bb.2840:                             ;   in Loop: Header=BB4_2771 Depth=2
	v_and_b32_e32 v38, 0x7fffffff, v3
	v_and_b32_e32 v2, 0x80, v2
                                        ; implicit-def: $vgpr46
	s_mov_b32 s10, exec_lo
	s_delay_alu instid0(VALU_DEP_2)
	v_cmpx_gt_u64_e32 0x43e00001, v[38:39]
	s_xor_b32 s40, exec_lo, s10
	s_cbranch_execz .LBB4_2854
; %bb.2841:                             ;   in Loop: Header=BB4_2771 Depth=2
	v_mov_b32_e32 v46, 0
	s_mov_b32 s41, exec_lo
	v_cmpx_ne_u32_e32 0, v3
	s_cbranch_execz .LBB4_2853
; %bb.2842:                             ;   in Loop: Header=BB4_2771 Depth=2
	v_bfe_u32 v84, v3, 23, 8
	v_and_b32_e32 v3, 0x7fffff, v3
	s_delay_alu instid0(VALU_DEP_2) | instskip(SKIP_1) | instid1(VALU_DEP_3)
	v_sub_nc_u32_e32 v16, 0x79, v84
	v_cmp_gt_u32_e32 vcc_lo, 0x7a, v84
	v_or_b32_e32 v20, 0x800000, v3
	s_delay_alu instid0(VALU_DEP_3) | instskip(SKIP_1) | instid1(VALU_DEP_2)
	v_cndmask_b32_e32 v16, 0, v16, vcc_lo
	v_cmp_eq_u32_e32 vcc_lo, 0, v84
	v_cndmask_b32_e64 v85, v16, 0x78, vcc_lo
	s_delay_alu instid0(VALU_DEP_1) | instskip(SKIP_1) | instid1(VALU_DEP_2)
	v_dual_cndmask_b32 v38, v20, v3, vcc_lo :: v_dual_add_nc_u32 v16, 20, v85
	v_add_nc_u32_e32 v21, 19, v85
	v_lshlrev_b64_e64 v[16:17], v16, -1
	s_delay_alu instid0(VALU_DEP_2) | instskip(NEXT) | instid1(VALU_DEP_2)
	v_lshlrev_b64_e64 v[20:21], v21, 1
	v_bfi_b32 v83, v17, 0, 0
	s_delay_alu instid0(VALU_DEP_3) | instskip(SKIP_1) | instid1(VALU_DEP_2)
	v_bfi_b32 v82, v16, 0, v38
	v_lshrrev_b64 v[16:17], v85, v[38:39]
	v_cmp_eq_u64_e64 s10, v[82:83], v[20:21]
	s_delay_alu instid0(VALU_DEP_2)
	v_mov_b64_e32 v[82:83], v[16:17]
	s_and_saveexec_b32 s42, s10
; %bb.2843:                             ;   in Loop: Header=BB4_2771 Depth=2
	v_bfe_u32 v38, v16, 20, 1
	s_delay_alu instid0(VALU_DEP_1) | instskip(NEXT) | instid1(VALU_DEP_1)
	v_add_nc_u64_e32 v[20:21], v[16:17], v[38:39]
	v_add_nc_u64_e32 v[82:83], -1, v[20:21]
; %bb.2844:                             ;   in Loop: Header=BB4_2771 Depth=2
	s_or_b32 exec_lo, exec_lo, s42
	v_add_nc_u32_e32 v3, 0xffffff81, v84
	v_lshrrev_b32_e32 v17, 23, v16
	s_mov_b32 s10, exec_lo
	s_delay_alu instid0(VALU_DEP_2) | instskip(NEXT) | instid1(VALU_DEP_1)
	v_cndmask_b32_e64 v3, v3, 0xffffff82, vcc_lo
	v_add3_u32 v83, v85, v3, v17
	v_and_b32_e32 v3, 0xfffff, v82
	s_delay_alu instid0(VALU_DEP_1) | instskip(NEXT) | instid1(VALU_DEP_1)
	v_dual_add_nc_u32 v82, 6, v83 :: v_dual_add_nc_u32 v38, v3, v16
                                        ; implicit-def: $vgpr16_vgpr17
                                        ; implicit-def: $vgpr3
	v_cmpx_ne_u32_e32 0, v82
	s_xor_b32 s10, exec_lo, s10
; %bb.2845:                             ;   in Loop: Header=BB4_2771 Depth=2
	s_delay_alu instid0(VALU_DEP_2) | instskip(SKIP_2) | instid1(VALU_DEP_2)
	v_cmp_lt_u64_e32 vcc_lo, 0xffffff, v[38:39]
	v_add_nc_u32_e32 v3, 7, v83
	v_cndmask_b32_e64 v16, 0, 1, vcc_lo
	v_cndmask_b32_e32 v3, v82, v3, vcc_lo
	s_delay_alu instid0(VALU_DEP_2)
	v_lshrrev_b64 v[16:17], v16, v[38:39]
; %bb.2846:                             ;   in Loop: Header=BB4_2771 Depth=2
	s_and_not1_saveexec_b32 s10, s10
; %bb.2847:                             ;   in Loop: Header=BB4_2771 Depth=2
	v_mov_b64_e32 v[16:17], v[38:39]
	v_bfe_u32 v3, v38, 23, 1
; %bb.2848:                             ;   in Loop: Header=BB4_2771 Depth=2
	s_or_b32 exec_lo, exec_lo, s10
	s_delay_alu instid0(VALU_DEP_2) | instskip(NEXT) | instid1(VALU_DEP_2)
	v_lshrrev_b64 v[16:17], 20, v[16:17]
	v_cmp_gt_i32_e32 vcc_lo, 16, v3
	v_cmp_ne_u32_e64 s10, 0, v3
                                        ; implicit-def: $vgpr46
	s_delay_alu instid0(VALU_DEP_3) | instskip(NEXT) | instid1(VALU_DEP_1)
	v_dual_cndmask_b32 v17, 0, v17 :: v_dual_cndmask_b32 v16, 7, v16
	v_cmp_ne_u64_e32 vcc_lo, 0, v[16:17]
	s_or_b32 s10, s10, vcc_lo
	s_delay_alu instid0(SALU_CYCLE_1) | instskip(NEXT) | instid1(SALU_CYCLE_1)
	s_and_saveexec_b32 s42, s10
	s_xor_b32 s10, exec_lo, s42
; %bb.2849:                             ;   in Loop: Header=BB4_2771 Depth=2
	v_min_i32_e32 v3, 15, v3
	s_delay_alu instid0(VALU_DEP_1) | instskip(NEXT) | instid1(VALU_DEP_1)
	v_lshl_or_b32 v2, v3, 3, v2
	v_and_or_b32 v46, v16, 7, v2
                                        ; implicit-def: $vgpr2
; %bb.2850:                             ;   in Loop: Header=BB4_2771 Depth=2
	s_and_not1_saveexec_b32 s10, s10
; %bb.2851:                             ;   in Loop: Header=BB4_2771 Depth=2
	v_mov_b32_e32 v46, v2
; %bb.2852:                             ;   in Loop: Header=BB4_2771 Depth=2
	s_or_b32 exec_lo, exec_lo, s10
.LBB4_2853:                             ;   in Loop: Header=BB4_2771 Depth=2
	s_delay_alu instid0(SALU_CYCLE_1)
	s_or_b32 exec_lo, exec_lo, s41
                                        ; implicit-def: $vgpr2
.LBB4_2854:                             ;   in Loop: Header=BB4_2771 Depth=2
	s_and_not1_saveexec_b32 s10, s40
; %bb.2855:                             ;   in Loop: Header=BB4_2771 Depth=2
	v_or_b32_e32 v46, 0x7e, v2
; %bb.2856:                             ;   in Loop: Header=BB4_2771 Depth=2
	s_or_b32 exec_lo, exec_lo, s10
                                        ; implicit-def: $vgpr2
.LBB4_2857:                             ;   in Loop: Header=BB4_2771 Depth=2
	s_and_not1_saveexec_b32 s10, s11
; %bb.2858:                             ;   in Loop: Header=BB4_2771 Depth=2
	v_or_b32_e32 v46, 0x7f, v2
; %bb.2859:                             ;   in Loop: Header=BB4_2771 Depth=2
	s_or_b32 exec_lo, exec_lo, s10
	flat_load_u8 v2, v[10:11] offset:96 th:TH_LOAD_NT
	v_mov_b32_e32 v3, 0
	s_mov_b32 s10, exec_lo
	s_wait_loadcnt_dscnt 0x0
	v_cmpx_ne_u16_e32 0, v2
	s_cbranch_execz .LBB4_2867
; %bb.2860:                             ;   in Loop: Header=BB4_2771 Depth=2
	v_bfrev_b32_e32 v3, 1
	s_mov_b32 s11, exec_lo
	v_cmpx_ne_u16_e32 0x80, v2
	s_cbranch_execz .LBB4_2866
; %bb.2861:                             ;   in Loop: Header=BB4_2771 Depth=2
	v_and_b32_e32 v17, 0xffff, v2
	v_mov_b32_e32 v3, 0x7f800001
	s_mov_b32 s40, exec_lo
	s_delay_alu instid0(VALU_DEP_2) | instskip(NEXT) | instid1(VALU_DEP_1)
	v_and_b32_e32 v16, 0x7f, v17
	v_cmpx_ne_u32_e32 0x7f, v16
	s_cbranch_execz .LBB4_2865
; %bb.2862:                             ;   in Loop: Header=BB4_2771 Depth=2
	v_dual_lshrrev_b32 v3, 3, v16 :: v_dual_bitop2_b32 v38, 7, v17 bitop3:0x40
	v_cmp_gt_u32_e32 vcc_lo, 8, v16
	s_delay_alu instid0(VALU_DEP_2)
	v_mov_b64_e32 v[16:17], v[38:39]
	s_and_saveexec_b32 s41, vcc_lo
; %bb.2863:                             ;   in Loop: Header=BB4_2771 Depth=2
	v_clz_i32_u32_e32 v3, v38
	s_delay_alu instid0(VALU_DEP_1) | instskip(NEXT) | instid1(VALU_DEP_1)
	v_min_u32_e32 v3, 32, v3
	v_subrev_nc_u32_e32 v16, 28, v3
	s_delay_alu instid0(VALU_DEP_1) | instskip(NEXT) | instid1(VALU_DEP_1)
	v_lshlrev_b64_e32 v[16:17], v16, v[38:39]
	v_dual_sub_nc_u32 v3, 29, v3 :: v_dual_bitop2_b32 v16, 7, v16 bitop3:0x40
; %bb.2864:                             ;   in Loop: Header=BB4_2771 Depth=2
	s_or_b32 exec_lo, exec_lo, s41
	s_delay_alu instid0(VALU_DEP_1) | instskip(NEXT) | instid1(VALU_DEP_2)
	v_dual_lshlrev_b32 v2, 24, v2 :: v_dual_lshlrev_b32 v16, 20, v16
	v_lshl_add_u32 v3, v3, 23, 0x3c000000
	s_delay_alu instid0(VALU_DEP_2) | instskip(NEXT) | instid1(VALU_DEP_1)
	v_and_b32_e32 v2, 0x80000000, v2
	v_or3_b32 v3, v16, v2, v3
.LBB4_2865:                             ;   in Loop: Header=BB4_2771 Depth=2
	s_or_b32 exec_lo, exec_lo, s40
.LBB4_2866:                             ;   in Loop: Header=BB4_2771 Depth=2
	s_delay_alu instid0(SALU_CYCLE_1)
	s_or_b32 exec_lo, exec_lo, s11
.LBB4_2867:                             ;   in Loop: Header=BB4_2771 Depth=2
	s_delay_alu instid0(SALU_CYCLE_1) | instskip(NEXT) | instid1(VALU_DEP_1)
	s_or_b32 exec_lo, exec_lo, s10
	v_mul_f32_e32 v3, s29, v3
                                        ; implicit-def: $vgpr56
	s_mov_b32 s10, exec_lo
	s_delay_alu instid0(VALU_DEP_1) | instskip(SKIP_1) | instid1(VALU_DEP_2)
	v_and_b32_e32 v38, 0x7f800000, v3
	v_lshrrev_b32_e32 v2, 24, v3
	v_cmpx_ne_u64_e32 0x7f800000, v[38:39]
	s_xor_b32 s11, exec_lo, s10
	s_cbranch_execz .LBB4_2885
; %bb.2868:                             ;   in Loop: Header=BB4_2771 Depth=2
	v_and_b32_e32 v38, 0x7fffffff, v3
	v_and_b32_e32 v2, 0x80, v2
                                        ; implicit-def: $vgpr56
	s_mov_b32 s10, exec_lo
	s_delay_alu instid0(VALU_DEP_2)
	v_cmpx_gt_u64_e32 0x43e00001, v[38:39]
	s_xor_b32 s40, exec_lo, s10
	s_cbranch_execz .LBB4_2882
; %bb.2869:                             ;   in Loop: Header=BB4_2771 Depth=2
	v_mov_b32_e32 v56, 0
	s_mov_b32 s41, exec_lo
	v_cmpx_ne_u32_e32 0, v3
	s_cbranch_execz .LBB4_2881
; %bb.2870:                             ;   in Loop: Header=BB4_2771 Depth=2
	v_bfe_u32 v84, v3, 23, 8
	v_and_b32_e32 v3, 0x7fffff, v3
	s_delay_alu instid0(VALU_DEP_2) | instskip(SKIP_1) | instid1(VALU_DEP_3)
	v_sub_nc_u32_e32 v16, 0x79, v84
	v_cmp_gt_u32_e32 vcc_lo, 0x7a, v84
	v_or_b32_e32 v20, 0x800000, v3
	s_delay_alu instid0(VALU_DEP_3) | instskip(SKIP_1) | instid1(VALU_DEP_2)
	v_cndmask_b32_e32 v16, 0, v16, vcc_lo
	v_cmp_eq_u32_e32 vcc_lo, 0, v84
	v_cndmask_b32_e64 v85, v16, 0x78, vcc_lo
	s_delay_alu instid0(VALU_DEP_1) | instskip(SKIP_1) | instid1(VALU_DEP_2)
	v_dual_cndmask_b32 v38, v20, v3, vcc_lo :: v_dual_add_nc_u32 v16, 20, v85
	v_add_nc_u32_e32 v21, 19, v85
	v_lshlrev_b64_e64 v[16:17], v16, -1
	s_delay_alu instid0(VALU_DEP_2) | instskip(NEXT) | instid1(VALU_DEP_2)
	v_lshlrev_b64_e64 v[20:21], v21, 1
	v_bfi_b32 v83, v17, 0, 0
	s_delay_alu instid0(VALU_DEP_3) | instskip(SKIP_1) | instid1(VALU_DEP_2)
	v_bfi_b32 v82, v16, 0, v38
	v_lshrrev_b64 v[16:17], v85, v[38:39]
	v_cmp_eq_u64_e64 s10, v[82:83], v[20:21]
	s_delay_alu instid0(VALU_DEP_2)
	v_mov_b64_e32 v[82:83], v[16:17]
	s_and_saveexec_b32 s42, s10
; %bb.2871:                             ;   in Loop: Header=BB4_2771 Depth=2
	v_bfe_u32 v38, v16, 20, 1
	s_delay_alu instid0(VALU_DEP_1) | instskip(NEXT) | instid1(VALU_DEP_1)
	v_add_nc_u64_e32 v[20:21], v[16:17], v[38:39]
	v_add_nc_u64_e32 v[82:83], -1, v[20:21]
; %bb.2872:                             ;   in Loop: Header=BB4_2771 Depth=2
	s_or_b32 exec_lo, exec_lo, s42
	v_add_nc_u32_e32 v3, 0xffffff81, v84
	v_lshrrev_b32_e32 v17, 23, v16
	s_mov_b32 s10, exec_lo
	s_delay_alu instid0(VALU_DEP_2) | instskip(NEXT) | instid1(VALU_DEP_1)
	v_cndmask_b32_e64 v3, v3, 0xffffff82, vcc_lo
	v_add3_u32 v83, v85, v3, v17
	v_and_b32_e32 v3, 0xfffff, v82
	s_delay_alu instid0(VALU_DEP_1) | instskip(NEXT) | instid1(VALU_DEP_1)
	v_dual_add_nc_u32 v82, 6, v83 :: v_dual_add_nc_u32 v38, v3, v16
                                        ; implicit-def: $vgpr16_vgpr17
                                        ; implicit-def: $vgpr3
	v_cmpx_ne_u32_e32 0, v82
	s_xor_b32 s10, exec_lo, s10
; %bb.2873:                             ;   in Loop: Header=BB4_2771 Depth=2
	s_delay_alu instid0(VALU_DEP_2) | instskip(SKIP_2) | instid1(VALU_DEP_2)
	v_cmp_lt_u64_e32 vcc_lo, 0xffffff, v[38:39]
	v_add_nc_u32_e32 v3, 7, v83
	v_cndmask_b32_e64 v16, 0, 1, vcc_lo
	v_cndmask_b32_e32 v3, v82, v3, vcc_lo
	s_delay_alu instid0(VALU_DEP_2)
	v_lshrrev_b64 v[16:17], v16, v[38:39]
; %bb.2874:                             ;   in Loop: Header=BB4_2771 Depth=2
	s_and_not1_saveexec_b32 s10, s10
; %bb.2875:                             ;   in Loop: Header=BB4_2771 Depth=2
	v_mov_b64_e32 v[16:17], v[38:39]
	v_bfe_u32 v3, v38, 23, 1
; %bb.2876:                             ;   in Loop: Header=BB4_2771 Depth=2
	s_or_b32 exec_lo, exec_lo, s10
	s_delay_alu instid0(VALU_DEP_2) | instskip(NEXT) | instid1(VALU_DEP_2)
	v_lshrrev_b64 v[16:17], 20, v[16:17]
	v_cmp_gt_i32_e32 vcc_lo, 16, v3
	v_cmp_ne_u32_e64 s10, 0, v3
                                        ; implicit-def: $vgpr56
	s_delay_alu instid0(VALU_DEP_3) | instskip(NEXT) | instid1(VALU_DEP_1)
	v_dual_cndmask_b32 v17, 0, v17 :: v_dual_cndmask_b32 v16, 7, v16
	v_cmp_ne_u64_e32 vcc_lo, 0, v[16:17]
	s_or_b32 s10, s10, vcc_lo
	s_delay_alu instid0(SALU_CYCLE_1) | instskip(NEXT) | instid1(SALU_CYCLE_1)
	s_and_saveexec_b32 s42, s10
	s_xor_b32 s10, exec_lo, s42
; %bb.2877:                             ;   in Loop: Header=BB4_2771 Depth=2
	v_min_i32_e32 v3, 15, v3
	s_delay_alu instid0(VALU_DEP_1) | instskip(NEXT) | instid1(VALU_DEP_1)
	v_lshl_or_b32 v2, v3, 3, v2
	v_and_or_b32 v56, v16, 7, v2
                                        ; implicit-def: $vgpr2
; %bb.2878:                             ;   in Loop: Header=BB4_2771 Depth=2
	s_and_not1_saveexec_b32 s10, s10
; %bb.2879:                             ;   in Loop: Header=BB4_2771 Depth=2
	v_mov_b32_e32 v56, v2
; %bb.2880:                             ;   in Loop: Header=BB4_2771 Depth=2
	s_or_b32 exec_lo, exec_lo, s10
.LBB4_2881:                             ;   in Loop: Header=BB4_2771 Depth=2
	s_delay_alu instid0(SALU_CYCLE_1)
	s_or_b32 exec_lo, exec_lo, s41
                                        ; implicit-def: $vgpr2
.LBB4_2882:                             ;   in Loop: Header=BB4_2771 Depth=2
	s_and_not1_saveexec_b32 s10, s40
; %bb.2883:                             ;   in Loop: Header=BB4_2771 Depth=2
	v_or_b32_e32 v56, 0x7e, v2
; %bb.2884:                             ;   in Loop: Header=BB4_2771 Depth=2
	s_or_b32 exec_lo, exec_lo, s10
                                        ; implicit-def: $vgpr2
.LBB4_2885:                             ;   in Loop: Header=BB4_2771 Depth=2
	s_and_not1_saveexec_b32 s10, s11
; %bb.2886:                             ;   in Loop: Header=BB4_2771 Depth=2
	v_or_b32_e32 v56, 0x7f, v2
; %bb.2887:                             ;   in Loop: Header=BB4_2771 Depth=2
	s_or_b32 exec_lo, exec_lo, s10
	flat_load_u8 v2, v[10:11] offset:128 th:TH_LOAD_NT
	v_mov_b32_e32 v3, 0
	s_mov_b32 s10, exec_lo
	s_wait_loadcnt_dscnt 0x0
	v_cmpx_ne_u16_e32 0, v2
	s_cbranch_execz .LBB4_2895
; %bb.2888:                             ;   in Loop: Header=BB4_2771 Depth=2
	v_bfrev_b32_e32 v3, 1
	s_mov_b32 s11, exec_lo
	v_cmpx_ne_u16_e32 0x80, v2
	s_cbranch_execz .LBB4_2894
; %bb.2889:                             ;   in Loop: Header=BB4_2771 Depth=2
	v_and_b32_e32 v17, 0xffff, v2
	v_mov_b32_e32 v3, 0x7f800001
	s_mov_b32 s40, exec_lo
	s_delay_alu instid0(VALU_DEP_2) | instskip(NEXT) | instid1(VALU_DEP_1)
	v_and_b32_e32 v16, 0x7f, v17
	v_cmpx_ne_u32_e32 0x7f, v16
	s_cbranch_execz .LBB4_2893
; %bb.2890:                             ;   in Loop: Header=BB4_2771 Depth=2
	v_dual_lshrrev_b32 v3, 3, v16 :: v_dual_bitop2_b32 v38, 7, v17 bitop3:0x40
	v_cmp_gt_u32_e32 vcc_lo, 8, v16
	s_delay_alu instid0(VALU_DEP_2)
	v_mov_b64_e32 v[16:17], v[38:39]
	s_and_saveexec_b32 s41, vcc_lo
; %bb.2891:                             ;   in Loop: Header=BB4_2771 Depth=2
	v_clz_i32_u32_e32 v3, v38
	s_delay_alu instid0(VALU_DEP_1) | instskip(NEXT) | instid1(VALU_DEP_1)
	v_min_u32_e32 v3, 32, v3
	v_subrev_nc_u32_e32 v16, 28, v3
	s_delay_alu instid0(VALU_DEP_1) | instskip(NEXT) | instid1(VALU_DEP_1)
	v_lshlrev_b64_e32 v[16:17], v16, v[38:39]
	v_dual_sub_nc_u32 v3, 29, v3 :: v_dual_bitop2_b32 v16, 7, v16 bitop3:0x40
; %bb.2892:                             ;   in Loop: Header=BB4_2771 Depth=2
	s_or_b32 exec_lo, exec_lo, s41
	s_delay_alu instid0(VALU_DEP_1) | instskip(NEXT) | instid1(VALU_DEP_2)
	v_dual_lshlrev_b32 v2, 24, v2 :: v_dual_lshlrev_b32 v16, 20, v16
	v_lshl_add_u32 v3, v3, 23, 0x3c000000
	s_delay_alu instid0(VALU_DEP_2) | instskip(NEXT) | instid1(VALU_DEP_1)
	v_and_b32_e32 v2, 0x80000000, v2
	v_or3_b32 v3, v16, v2, v3
.LBB4_2893:                             ;   in Loop: Header=BB4_2771 Depth=2
	s_or_b32 exec_lo, exec_lo, s40
.LBB4_2894:                             ;   in Loop: Header=BB4_2771 Depth=2
	s_delay_alu instid0(SALU_CYCLE_1)
	s_or_b32 exec_lo, exec_lo, s11
.LBB4_2895:                             ;   in Loop: Header=BB4_2771 Depth=2
	s_delay_alu instid0(SALU_CYCLE_1) | instskip(NEXT) | instid1(VALU_DEP_1)
	s_or_b32 exec_lo, exec_lo, s10
	v_mul_f32_e32 v3, s29, v3
                                        ; implicit-def: $vgpr47
	s_mov_b32 s10, exec_lo
	s_delay_alu instid0(VALU_DEP_1) | instskip(SKIP_1) | instid1(VALU_DEP_2)
	v_and_b32_e32 v38, 0x7f800000, v3
	v_lshrrev_b32_e32 v2, 24, v3
	v_cmpx_ne_u64_e32 0x7f800000, v[38:39]
	s_xor_b32 s11, exec_lo, s10
	s_cbranch_execz .LBB4_2913
; %bb.2896:                             ;   in Loop: Header=BB4_2771 Depth=2
	v_and_b32_e32 v38, 0x7fffffff, v3
	v_and_b32_e32 v2, 0x80, v2
                                        ; implicit-def: $vgpr47
	s_mov_b32 s10, exec_lo
	s_delay_alu instid0(VALU_DEP_2)
	v_cmpx_gt_u64_e32 0x43e00001, v[38:39]
	s_xor_b32 s40, exec_lo, s10
	s_cbranch_execz .LBB4_2910
; %bb.2897:                             ;   in Loop: Header=BB4_2771 Depth=2
	v_mov_b32_e32 v47, 0
	s_mov_b32 s41, exec_lo
	v_cmpx_ne_u32_e32 0, v3
	s_cbranch_execz .LBB4_2909
; %bb.2898:                             ;   in Loop: Header=BB4_2771 Depth=2
	v_bfe_u32 v84, v3, 23, 8
	v_and_b32_e32 v3, 0x7fffff, v3
	s_delay_alu instid0(VALU_DEP_2) | instskip(SKIP_1) | instid1(VALU_DEP_3)
	v_sub_nc_u32_e32 v16, 0x79, v84
	v_cmp_gt_u32_e32 vcc_lo, 0x7a, v84
	v_or_b32_e32 v20, 0x800000, v3
	s_delay_alu instid0(VALU_DEP_3) | instskip(SKIP_1) | instid1(VALU_DEP_2)
	v_cndmask_b32_e32 v16, 0, v16, vcc_lo
	v_cmp_eq_u32_e32 vcc_lo, 0, v84
	v_cndmask_b32_e64 v85, v16, 0x78, vcc_lo
	s_delay_alu instid0(VALU_DEP_1) | instskip(SKIP_1) | instid1(VALU_DEP_2)
	v_dual_cndmask_b32 v38, v20, v3, vcc_lo :: v_dual_add_nc_u32 v16, 20, v85
	v_add_nc_u32_e32 v21, 19, v85
	v_lshlrev_b64_e64 v[16:17], v16, -1
	s_delay_alu instid0(VALU_DEP_2) | instskip(NEXT) | instid1(VALU_DEP_2)
	v_lshlrev_b64_e64 v[20:21], v21, 1
	v_bfi_b32 v83, v17, 0, 0
	s_delay_alu instid0(VALU_DEP_3) | instskip(SKIP_1) | instid1(VALU_DEP_2)
	v_bfi_b32 v82, v16, 0, v38
	v_lshrrev_b64 v[16:17], v85, v[38:39]
	v_cmp_eq_u64_e64 s10, v[82:83], v[20:21]
	s_delay_alu instid0(VALU_DEP_2)
	v_mov_b64_e32 v[82:83], v[16:17]
	s_and_saveexec_b32 s42, s10
; %bb.2899:                             ;   in Loop: Header=BB4_2771 Depth=2
	v_bfe_u32 v38, v16, 20, 1
	s_delay_alu instid0(VALU_DEP_1) | instskip(NEXT) | instid1(VALU_DEP_1)
	v_add_nc_u64_e32 v[20:21], v[16:17], v[38:39]
	v_add_nc_u64_e32 v[82:83], -1, v[20:21]
; %bb.2900:                             ;   in Loop: Header=BB4_2771 Depth=2
	s_or_b32 exec_lo, exec_lo, s42
	v_add_nc_u32_e32 v3, 0xffffff81, v84
	v_lshrrev_b32_e32 v17, 23, v16
	s_mov_b32 s10, exec_lo
	s_delay_alu instid0(VALU_DEP_2) | instskip(NEXT) | instid1(VALU_DEP_1)
	v_cndmask_b32_e64 v3, v3, 0xffffff82, vcc_lo
	v_add3_u32 v83, v85, v3, v17
	v_and_b32_e32 v3, 0xfffff, v82
	s_delay_alu instid0(VALU_DEP_1) | instskip(NEXT) | instid1(VALU_DEP_1)
	v_dual_add_nc_u32 v82, 6, v83 :: v_dual_add_nc_u32 v38, v3, v16
                                        ; implicit-def: $vgpr16_vgpr17
                                        ; implicit-def: $vgpr3
	v_cmpx_ne_u32_e32 0, v82
	s_xor_b32 s10, exec_lo, s10
; %bb.2901:                             ;   in Loop: Header=BB4_2771 Depth=2
	s_delay_alu instid0(VALU_DEP_2) | instskip(SKIP_2) | instid1(VALU_DEP_2)
	v_cmp_lt_u64_e32 vcc_lo, 0xffffff, v[38:39]
	v_add_nc_u32_e32 v3, 7, v83
	v_cndmask_b32_e64 v16, 0, 1, vcc_lo
	v_cndmask_b32_e32 v3, v82, v3, vcc_lo
	s_delay_alu instid0(VALU_DEP_2)
	v_lshrrev_b64 v[16:17], v16, v[38:39]
; %bb.2902:                             ;   in Loop: Header=BB4_2771 Depth=2
	s_and_not1_saveexec_b32 s10, s10
; %bb.2903:                             ;   in Loop: Header=BB4_2771 Depth=2
	v_mov_b64_e32 v[16:17], v[38:39]
	v_bfe_u32 v3, v38, 23, 1
; %bb.2904:                             ;   in Loop: Header=BB4_2771 Depth=2
	s_or_b32 exec_lo, exec_lo, s10
	s_delay_alu instid0(VALU_DEP_2) | instskip(NEXT) | instid1(VALU_DEP_2)
	v_lshrrev_b64 v[16:17], 20, v[16:17]
	v_cmp_gt_i32_e32 vcc_lo, 16, v3
	v_cmp_ne_u32_e64 s10, 0, v3
                                        ; implicit-def: $vgpr47
	s_delay_alu instid0(VALU_DEP_3) | instskip(NEXT) | instid1(VALU_DEP_1)
	v_dual_cndmask_b32 v17, 0, v17 :: v_dual_cndmask_b32 v16, 7, v16
	v_cmp_ne_u64_e32 vcc_lo, 0, v[16:17]
	s_or_b32 s10, s10, vcc_lo
	s_delay_alu instid0(SALU_CYCLE_1) | instskip(NEXT) | instid1(SALU_CYCLE_1)
	s_and_saveexec_b32 s42, s10
	s_xor_b32 s10, exec_lo, s42
; %bb.2905:                             ;   in Loop: Header=BB4_2771 Depth=2
	v_min_i32_e32 v3, 15, v3
	s_delay_alu instid0(VALU_DEP_1) | instskip(NEXT) | instid1(VALU_DEP_1)
	v_lshl_or_b32 v2, v3, 3, v2
	v_and_or_b32 v47, v16, 7, v2
                                        ; implicit-def: $vgpr2
; %bb.2906:                             ;   in Loop: Header=BB4_2771 Depth=2
	s_and_not1_saveexec_b32 s10, s10
; %bb.2907:                             ;   in Loop: Header=BB4_2771 Depth=2
	v_mov_b32_e32 v47, v2
; %bb.2908:                             ;   in Loop: Header=BB4_2771 Depth=2
	s_or_b32 exec_lo, exec_lo, s10
.LBB4_2909:                             ;   in Loop: Header=BB4_2771 Depth=2
	s_delay_alu instid0(SALU_CYCLE_1)
	s_or_b32 exec_lo, exec_lo, s41
                                        ; implicit-def: $vgpr2
.LBB4_2910:                             ;   in Loop: Header=BB4_2771 Depth=2
	s_and_not1_saveexec_b32 s10, s40
; %bb.2911:                             ;   in Loop: Header=BB4_2771 Depth=2
	v_or_b32_e32 v47, 0x7e, v2
; %bb.2912:                             ;   in Loop: Header=BB4_2771 Depth=2
	s_or_b32 exec_lo, exec_lo, s10
                                        ; implicit-def: $vgpr2
.LBB4_2913:                             ;   in Loop: Header=BB4_2771 Depth=2
	s_and_not1_saveexec_b32 s10, s11
; %bb.2914:                             ;   in Loop: Header=BB4_2771 Depth=2
	v_or_b32_e32 v47, 0x7f, v2
; %bb.2915:                             ;   in Loop: Header=BB4_2771 Depth=2
	s_or_b32 exec_lo, exec_lo, s10
	flat_load_u8 v2, v[10:11] offset:160 th:TH_LOAD_NT
	v_mov_b32_e32 v3, 0
	s_mov_b32 s10, exec_lo
	s_wait_loadcnt_dscnt 0x0
	v_cmpx_ne_u16_e32 0, v2
	s_cbranch_execz .LBB4_2923
; %bb.2916:                             ;   in Loop: Header=BB4_2771 Depth=2
	v_bfrev_b32_e32 v3, 1
	s_mov_b32 s11, exec_lo
	v_cmpx_ne_u16_e32 0x80, v2
	s_cbranch_execz .LBB4_2922
; %bb.2917:                             ;   in Loop: Header=BB4_2771 Depth=2
	v_and_b32_e32 v17, 0xffff, v2
	v_mov_b32_e32 v3, 0x7f800001
	s_mov_b32 s40, exec_lo
	s_delay_alu instid0(VALU_DEP_2) | instskip(NEXT) | instid1(VALU_DEP_1)
	v_and_b32_e32 v16, 0x7f, v17
	v_cmpx_ne_u32_e32 0x7f, v16
	s_cbranch_execz .LBB4_2921
; %bb.2918:                             ;   in Loop: Header=BB4_2771 Depth=2
	v_dual_lshrrev_b32 v3, 3, v16 :: v_dual_bitop2_b32 v38, 7, v17 bitop3:0x40
	v_cmp_gt_u32_e32 vcc_lo, 8, v16
	s_delay_alu instid0(VALU_DEP_2)
	v_mov_b64_e32 v[16:17], v[38:39]
	s_and_saveexec_b32 s41, vcc_lo
; %bb.2919:                             ;   in Loop: Header=BB4_2771 Depth=2
	v_clz_i32_u32_e32 v3, v38
	s_delay_alu instid0(VALU_DEP_1) | instskip(NEXT) | instid1(VALU_DEP_1)
	v_min_u32_e32 v3, 32, v3
	v_subrev_nc_u32_e32 v16, 28, v3
	s_delay_alu instid0(VALU_DEP_1) | instskip(NEXT) | instid1(VALU_DEP_1)
	v_lshlrev_b64_e32 v[16:17], v16, v[38:39]
	v_dual_sub_nc_u32 v3, 29, v3 :: v_dual_bitop2_b32 v16, 7, v16 bitop3:0x40
; %bb.2920:                             ;   in Loop: Header=BB4_2771 Depth=2
	s_or_b32 exec_lo, exec_lo, s41
	s_delay_alu instid0(VALU_DEP_1) | instskip(NEXT) | instid1(VALU_DEP_2)
	v_dual_lshlrev_b32 v2, 24, v2 :: v_dual_lshlrev_b32 v16, 20, v16
	v_lshl_add_u32 v3, v3, 23, 0x3c000000
	s_delay_alu instid0(VALU_DEP_2) | instskip(NEXT) | instid1(VALU_DEP_1)
	v_and_b32_e32 v2, 0x80000000, v2
	v_or3_b32 v3, v16, v2, v3
.LBB4_2921:                             ;   in Loop: Header=BB4_2771 Depth=2
	s_or_b32 exec_lo, exec_lo, s40
.LBB4_2922:                             ;   in Loop: Header=BB4_2771 Depth=2
	s_delay_alu instid0(SALU_CYCLE_1)
	s_or_b32 exec_lo, exec_lo, s11
.LBB4_2923:                             ;   in Loop: Header=BB4_2771 Depth=2
	s_delay_alu instid0(SALU_CYCLE_1) | instskip(NEXT) | instid1(VALU_DEP_1)
	s_or_b32 exec_lo, exec_lo, s10
	v_mul_f32_e32 v3, s29, v3
                                        ; implicit-def: $vgpr44
	s_mov_b32 s10, exec_lo
	s_delay_alu instid0(VALU_DEP_1) | instskip(SKIP_1) | instid1(VALU_DEP_2)
	v_and_b32_e32 v38, 0x7f800000, v3
	v_lshrrev_b32_e32 v2, 24, v3
	v_cmpx_ne_u64_e32 0x7f800000, v[38:39]
	s_xor_b32 s11, exec_lo, s10
	s_cbranch_execz .LBB4_2941
; %bb.2924:                             ;   in Loop: Header=BB4_2771 Depth=2
	v_and_b32_e32 v38, 0x7fffffff, v3
	v_and_b32_e32 v2, 0x80, v2
                                        ; implicit-def: $vgpr44
	s_mov_b32 s10, exec_lo
	s_delay_alu instid0(VALU_DEP_2)
	v_cmpx_gt_u64_e32 0x43e00001, v[38:39]
	s_xor_b32 s40, exec_lo, s10
	s_cbranch_execz .LBB4_2938
; %bb.2925:                             ;   in Loop: Header=BB4_2771 Depth=2
	v_mov_b32_e32 v44, 0
	s_mov_b32 s41, exec_lo
	v_cmpx_ne_u32_e32 0, v3
	s_cbranch_execz .LBB4_2937
; %bb.2926:                             ;   in Loop: Header=BB4_2771 Depth=2
	v_bfe_u32 v84, v3, 23, 8
	v_and_b32_e32 v3, 0x7fffff, v3
	s_delay_alu instid0(VALU_DEP_2) | instskip(SKIP_1) | instid1(VALU_DEP_3)
	v_sub_nc_u32_e32 v16, 0x79, v84
	v_cmp_gt_u32_e32 vcc_lo, 0x7a, v84
	v_or_b32_e32 v20, 0x800000, v3
	s_delay_alu instid0(VALU_DEP_3) | instskip(SKIP_1) | instid1(VALU_DEP_2)
	v_cndmask_b32_e32 v16, 0, v16, vcc_lo
	v_cmp_eq_u32_e32 vcc_lo, 0, v84
	v_cndmask_b32_e64 v85, v16, 0x78, vcc_lo
	s_delay_alu instid0(VALU_DEP_1) | instskip(SKIP_1) | instid1(VALU_DEP_2)
	v_dual_cndmask_b32 v38, v20, v3, vcc_lo :: v_dual_add_nc_u32 v16, 20, v85
	v_add_nc_u32_e32 v21, 19, v85
	v_lshlrev_b64_e64 v[16:17], v16, -1
	s_delay_alu instid0(VALU_DEP_2) | instskip(NEXT) | instid1(VALU_DEP_2)
	v_lshlrev_b64_e64 v[20:21], v21, 1
	v_bfi_b32 v83, v17, 0, 0
	s_delay_alu instid0(VALU_DEP_3) | instskip(SKIP_1) | instid1(VALU_DEP_2)
	v_bfi_b32 v82, v16, 0, v38
	v_lshrrev_b64 v[16:17], v85, v[38:39]
	v_cmp_eq_u64_e64 s10, v[82:83], v[20:21]
	s_delay_alu instid0(VALU_DEP_2)
	v_mov_b64_e32 v[82:83], v[16:17]
	s_and_saveexec_b32 s42, s10
; %bb.2927:                             ;   in Loop: Header=BB4_2771 Depth=2
	v_bfe_u32 v38, v16, 20, 1
	s_delay_alu instid0(VALU_DEP_1) | instskip(NEXT) | instid1(VALU_DEP_1)
	v_add_nc_u64_e32 v[20:21], v[16:17], v[38:39]
	v_add_nc_u64_e32 v[82:83], -1, v[20:21]
; %bb.2928:                             ;   in Loop: Header=BB4_2771 Depth=2
	s_or_b32 exec_lo, exec_lo, s42
	v_add_nc_u32_e32 v3, 0xffffff81, v84
	v_lshrrev_b32_e32 v17, 23, v16
	s_mov_b32 s10, exec_lo
	s_delay_alu instid0(VALU_DEP_2) | instskip(NEXT) | instid1(VALU_DEP_1)
	v_cndmask_b32_e64 v3, v3, 0xffffff82, vcc_lo
	v_add3_u32 v83, v85, v3, v17
	v_and_b32_e32 v3, 0xfffff, v82
	s_delay_alu instid0(VALU_DEP_1) | instskip(NEXT) | instid1(VALU_DEP_1)
	v_dual_add_nc_u32 v82, 6, v83 :: v_dual_add_nc_u32 v38, v3, v16
                                        ; implicit-def: $vgpr16_vgpr17
                                        ; implicit-def: $vgpr3
	v_cmpx_ne_u32_e32 0, v82
	s_xor_b32 s10, exec_lo, s10
; %bb.2929:                             ;   in Loop: Header=BB4_2771 Depth=2
	s_delay_alu instid0(VALU_DEP_2) | instskip(SKIP_2) | instid1(VALU_DEP_2)
	v_cmp_lt_u64_e32 vcc_lo, 0xffffff, v[38:39]
	v_add_nc_u32_e32 v3, 7, v83
	v_cndmask_b32_e64 v16, 0, 1, vcc_lo
	v_cndmask_b32_e32 v3, v82, v3, vcc_lo
	s_delay_alu instid0(VALU_DEP_2)
	v_lshrrev_b64 v[16:17], v16, v[38:39]
; %bb.2930:                             ;   in Loop: Header=BB4_2771 Depth=2
	s_and_not1_saveexec_b32 s10, s10
; %bb.2931:                             ;   in Loop: Header=BB4_2771 Depth=2
	v_mov_b64_e32 v[16:17], v[38:39]
	v_bfe_u32 v3, v38, 23, 1
; %bb.2932:                             ;   in Loop: Header=BB4_2771 Depth=2
	s_or_b32 exec_lo, exec_lo, s10
	s_delay_alu instid0(VALU_DEP_2) | instskip(NEXT) | instid1(VALU_DEP_2)
	v_lshrrev_b64 v[16:17], 20, v[16:17]
	v_cmp_gt_i32_e32 vcc_lo, 16, v3
	v_cmp_ne_u32_e64 s10, 0, v3
                                        ; implicit-def: $vgpr44
	s_delay_alu instid0(VALU_DEP_3) | instskip(NEXT) | instid1(VALU_DEP_1)
	v_dual_cndmask_b32 v17, 0, v17 :: v_dual_cndmask_b32 v16, 7, v16
	v_cmp_ne_u64_e32 vcc_lo, 0, v[16:17]
	s_or_b32 s10, s10, vcc_lo
	s_delay_alu instid0(SALU_CYCLE_1) | instskip(NEXT) | instid1(SALU_CYCLE_1)
	s_and_saveexec_b32 s42, s10
	s_xor_b32 s10, exec_lo, s42
; %bb.2933:                             ;   in Loop: Header=BB4_2771 Depth=2
	v_min_i32_e32 v3, 15, v3
	s_delay_alu instid0(VALU_DEP_1) | instskip(NEXT) | instid1(VALU_DEP_1)
	v_lshl_or_b32 v2, v3, 3, v2
	v_and_or_b32 v44, v16, 7, v2
                                        ; implicit-def: $vgpr2
; %bb.2934:                             ;   in Loop: Header=BB4_2771 Depth=2
	s_and_not1_saveexec_b32 s10, s10
; %bb.2935:                             ;   in Loop: Header=BB4_2771 Depth=2
	v_mov_b32_e32 v44, v2
; %bb.2936:                             ;   in Loop: Header=BB4_2771 Depth=2
	s_or_b32 exec_lo, exec_lo, s10
.LBB4_2937:                             ;   in Loop: Header=BB4_2771 Depth=2
	s_delay_alu instid0(SALU_CYCLE_1)
	s_or_b32 exec_lo, exec_lo, s41
                                        ; implicit-def: $vgpr2
.LBB4_2938:                             ;   in Loop: Header=BB4_2771 Depth=2
	s_and_not1_saveexec_b32 s10, s40
; %bb.2939:                             ;   in Loop: Header=BB4_2771 Depth=2
	v_or_b32_e32 v44, 0x7e, v2
; %bb.2940:                             ;   in Loop: Header=BB4_2771 Depth=2
	s_or_b32 exec_lo, exec_lo, s10
                                        ; implicit-def: $vgpr2
.LBB4_2941:                             ;   in Loop: Header=BB4_2771 Depth=2
	s_and_not1_saveexec_b32 s10, s11
; %bb.2942:                             ;   in Loop: Header=BB4_2771 Depth=2
	v_or_b32_e32 v44, 0x7f, v2
; %bb.2943:                             ;   in Loop: Header=BB4_2771 Depth=2
	s_or_b32 exec_lo, exec_lo, s10
	flat_load_u8 v2, v[10:11] offset:192 th:TH_LOAD_NT
	v_mov_b32_e32 v3, 0
	s_mov_b32 s10, exec_lo
	s_wait_loadcnt_dscnt 0x0
	v_cmpx_ne_u16_e32 0, v2
	s_cbranch_execz .LBB4_2951
; %bb.2944:                             ;   in Loop: Header=BB4_2771 Depth=2
	v_bfrev_b32_e32 v3, 1
	s_mov_b32 s11, exec_lo
	v_cmpx_ne_u16_e32 0x80, v2
	s_cbranch_execz .LBB4_2950
; %bb.2945:                             ;   in Loop: Header=BB4_2771 Depth=2
	v_and_b32_e32 v17, 0xffff, v2
	v_mov_b32_e32 v3, 0x7f800001
	s_mov_b32 s40, exec_lo
	s_delay_alu instid0(VALU_DEP_2) | instskip(NEXT) | instid1(VALU_DEP_1)
	v_and_b32_e32 v16, 0x7f, v17
	v_cmpx_ne_u32_e32 0x7f, v16
	s_cbranch_execz .LBB4_2949
; %bb.2946:                             ;   in Loop: Header=BB4_2771 Depth=2
	v_dual_lshrrev_b32 v3, 3, v16 :: v_dual_bitop2_b32 v38, 7, v17 bitop3:0x40
	v_cmp_gt_u32_e32 vcc_lo, 8, v16
	s_delay_alu instid0(VALU_DEP_2)
	v_mov_b64_e32 v[16:17], v[38:39]
	s_and_saveexec_b32 s41, vcc_lo
; %bb.2947:                             ;   in Loop: Header=BB4_2771 Depth=2
	v_clz_i32_u32_e32 v3, v38
	s_delay_alu instid0(VALU_DEP_1) | instskip(NEXT) | instid1(VALU_DEP_1)
	v_min_u32_e32 v3, 32, v3
	v_subrev_nc_u32_e32 v16, 28, v3
	s_delay_alu instid0(VALU_DEP_1) | instskip(NEXT) | instid1(VALU_DEP_1)
	v_lshlrev_b64_e32 v[16:17], v16, v[38:39]
	v_dual_sub_nc_u32 v3, 29, v3 :: v_dual_bitop2_b32 v16, 7, v16 bitop3:0x40
; %bb.2948:                             ;   in Loop: Header=BB4_2771 Depth=2
	s_or_b32 exec_lo, exec_lo, s41
	s_delay_alu instid0(VALU_DEP_1) | instskip(NEXT) | instid1(VALU_DEP_2)
	v_dual_lshlrev_b32 v2, 24, v2 :: v_dual_lshlrev_b32 v16, 20, v16
	v_lshl_add_u32 v3, v3, 23, 0x3c000000
	s_delay_alu instid0(VALU_DEP_2) | instskip(NEXT) | instid1(VALU_DEP_1)
	v_and_b32_e32 v2, 0x80000000, v2
	v_or3_b32 v3, v16, v2, v3
.LBB4_2949:                             ;   in Loop: Header=BB4_2771 Depth=2
	s_or_b32 exec_lo, exec_lo, s40
.LBB4_2950:                             ;   in Loop: Header=BB4_2771 Depth=2
	s_delay_alu instid0(SALU_CYCLE_1)
	s_or_b32 exec_lo, exec_lo, s11
.LBB4_2951:                             ;   in Loop: Header=BB4_2771 Depth=2
	s_delay_alu instid0(SALU_CYCLE_1) | instskip(NEXT) | instid1(VALU_DEP_1)
	s_or_b32 exec_lo, exec_lo, s10
	v_mul_f32_e32 v3, s29, v3
                                        ; implicit-def: $vgpr43
	s_mov_b32 s10, exec_lo
	s_delay_alu instid0(VALU_DEP_1) | instskip(SKIP_1) | instid1(VALU_DEP_2)
	v_and_b32_e32 v38, 0x7f800000, v3
	v_lshrrev_b32_e32 v2, 24, v3
	v_cmpx_ne_u64_e32 0x7f800000, v[38:39]
	s_xor_b32 s11, exec_lo, s10
	s_cbranch_execz .LBB4_2969
; %bb.2952:                             ;   in Loop: Header=BB4_2771 Depth=2
	v_and_b32_e32 v38, 0x7fffffff, v3
	v_and_b32_e32 v2, 0x80, v2
                                        ; implicit-def: $vgpr43
	s_mov_b32 s10, exec_lo
	s_delay_alu instid0(VALU_DEP_2)
	v_cmpx_gt_u64_e32 0x43e00001, v[38:39]
	s_xor_b32 s40, exec_lo, s10
	s_cbranch_execz .LBB4_2966
; %bb.2953:                             ;   in Loop: Header=BB4_2771 Depth=2
	v_mov_b32_e32 v43, 0
	s_mov_b32 s41, exec_lo
	v_cmpx_ne_u32_e32 0, v3
	s_cbranch_execz .LBB4_2965
; %bb.2954:                             ;   in Loop: Header=BB4_2771 Depth=2
	v_bfe_u32 v84, v3, 23, 8
	v_and_b32_e32 v3, 0x7fffff, v3
	s_delay_alu instid0(VALU_DEP_2) | instskip(SKIP_1) | instid1(VALU_DEP_3)
	v_sub_nc_u32_e32 v16, 0x79, v84
	v_cmp_gt_u32_e32 vcc_lo, 0x7a, v84
	v_or_b32_e32 v20, 0x800000, v3
	s_delay_alu instid0(VALU_DEP_3) | instskip(SKIP_1) | instid1(VALU_DEP_2)
	v_cndmask_b32_e32 v16, 0, v16, vcc_lo
	v_cmp_eq_u32_e32 vcc_lo, 0, v84
	v_cndmask_b32_e64 v85, v16, 0x78, vcc_lo
	s_delay_alu instid0(VALU_DEP_1) | instskip(SKIP_1) | instid1(VALU_DEP_2)
	v_dual_cndmask_b32 v38, v20, v3, vcc_lo :: v_dual_add_nc_u32 v16, 20, v85
	v_add_nc_u32_e32 v21, 19, v85
	v_lshlrev_b64_e64 v[16:17], v16, -1
	s_delay_alu instid0(VALU_DEP_2) | instskip(NEXT) | instid1(VALU_DEP_2)
	v_lshlrev_b64_e64 v[20:21], v21, 1
	v_bfi_b32 v83, v17, 0, 0
	s_delay_alu instid0(VALU_DEP_3) | instskip(SKIP_1) | instid1(VALU_DEP_2)
	v_bfi_b32 v82, v16, 0, v38
	v_lshrrev_b64 v[16:17], v85, v[38:39]
	v_cmp_eq_u64_e64 s10, v[82:83], v[20:21]
	s_delay_alu instid0(VALU_DEP_2)
	v_mov_b64_e32 v[82:83], v[16:17]
	s_and_saveexec_b32 s42, s10
; %bb.2955:                             ;   in Loop: Header=BB4_2771 Depth=2
	v_bfe_u32 v38, v16, 20, 1
	s_delay_alu instid0(VALU_DEP_1) | instskip(NEXT) | instid1(VALU_DEP_1)
	v_add_nc_u64_e32 v[20:21], v[16:17], v[38:39]
	v_add_nc_u64_e32 v[82:83], -1, v[20:21]
; %bb.2956:                             ;   in Loop: Header=BB4_2771 Depth=2
	s_or_b32 exec_lo, exec_lo, s42
	v_add_nc_u32_e32 v3, 0xffffff81, v84
	v_lshrrev_b32_e32 v17, 23, v16
	s_mov_b32 s10, exec_lo
	s_delay_alu instid0(VALU_DEP_2) | instskip(NEXT) | instid1(VALU_DEP_1)
	v_cndmask_b32_e64 v3, v3, 0xffffff82, vcc_lo
	v_add3_u32 v83, v85, v3, v17
	v_and_b32_e32 v3, 0xfffff, v82
	s_delay_alu instid0(VALU_DEP_1) | instskip(NEXT) | instid1(VALU_DEP_1)
	v_dual_add_nc_u32 v82, 6, v83 :: v_dual_add_nc_u32 v38, v3, v16
                                        ; implicit-def: $vgpr16_vgpr17
                                        ; implicit-def: $vgpr3
	v_cmpx_ne_u32_e32 0, v82
	s_xor_b32 s10, exec_lo, s10
; %bb.2957:                             ;   in Loop: Header=BB4_2771 Depth=2
	s_delay_alu instid0(VALU_DEP_2) | instskip(SKIP_2) | instid1(VALU_DEP_2)
	v_cmp_lt_u64_e32 vcc_lo, 0xffffff, v[38:39]
	v_add_nc_u32_e32 v3, 7, v83
	v_cndmask_b32_e64 v16, 0, 1, vcc_lo
	v_cndmask_b32_e32 v3, v82, v3, vcc_lo
	s_delay_alu instid0(VALU_DEP_2)
	v_lshrrev_b64 v[16:17], v16, v[38:39]
; %bb.2958:                             ;   in Loop: Header=BB4_2771 Depth=2
	s_and_not1_saveexec_b32 s10, s10
; %bb.2959:                             ;   in Loop: Header=BB4_2771 Depth=2
	v_mov_b64_e32 v[16:17], v[38:39]
	v_bfe_u32 v3, v38, 23, 1
; %bb.2960:                             ;   in Loop: Header=BB4_2771 Depth=2
	s_or_b32 exec_lo, exec_lo, s10
	s_delay_alu instid0(VALU_DEP_2) | instskip(NEXT) | instid1(VALU_DEP_2)
	v_lshrrev_b64 v[16:17], 20, v[16:17]
	v_cmp_gt_i32_e32 vcc_lo, 16, v3
	v_cmp_ne_u32_e64 s10, 0, v3
                                        ; implicit-def: $vgpr43
	s_delay_alu instid0(VALU_DEP_3) | instskip(NEXT) | instid1(VALU_DEP_1)
	v_dual_cndmask_b32 v17, 0, v17 :: v_dual_cndmask_b32 v16, 7, v16
	v_cmp_ne_u64_e32 vcc_lo, 0, v[16:17]
	s_or_b32 s10, s10, vcc_lo
	s_delay_alu instid0(SALU_CYCLE_1) | instskip(NEXT) | instid1(SALU_CYCLE_1)
	s_and_saveexec_b32 s42, s10
	s_xor_b32 s10, exec_lo, s42
; %bb.2961:                             ;   in Loop: Header=BB4_2771 Depth=2
	v_min_i32_e32 v3, 15, v3
	s_delay_alu instid0(VALU_DEP_1) | instskip(NEXT) | instid1(VALU_DEP_1)
	v_lshl_or_b32 v2, v3, 3, v2
	v_and_or_b32 v43, v16, 7, v2
                                        ; implicit-def: $vgpr2
; %bb.2962:                             ;   in Loop: Header=BB4_2771 Depth=2
	s_and_not1_saveexec_b32 s10, s10
; %bb.2963:                             ;   in Loop: Header=BB4_2771 Depth=2
	v_mov_b32_e32 v43, v2
; %bb.2964:                             ;   in Loop: Header=BB4_2771 Depth=2
	s_or_b32 exec_lo, exec_lo, s10
.LBB4_2965:                             ;   in Loop: Header=BB4_2771 Depth=2
	s_delay_alu instid0(SALU_CYCLE_1)
	s_or_b32 exec_lo, exec_lo, s41
                                        ; implicit-def: $vgpr2
.LBB4_2966:                             ;   in Loop: Header=BB4_2771 Depth=2
	s_and_not1_saveexec_b32 s10, s40
; %bb.2967:                             ;   in Loop: Header=BB4_2771 Depth=2
	v_or_b32_e32 v43, 0x7e, v2
; %bb.2968:                             ;   in Loop: Header=BB4_2771 Depth=2
	s_or_b32 exec_lo, exec_lo, s10
                                        ; implicit-def: $vgpr2
.LBB4_2969:                             ;   in Loop: Header=BB4_2771 Depth=2
	s_and_not1_saveexec_b32 s10, s11
; %bb.2970:                             ;   in Loop: Header=BB4_2771 Depth=2
	v_or_b32_e32 v43, 0x7f, v2
; %bb.2971:                             ;   in Loop: Header=BB4_2771 Depth=2
	s_or_b32 exec_lo, exec_lo, s10
	flat_load_u8 v2, v[10:11] offset:224 th:TH_LOAD_NT
	v_mov_b32_e32 v3, 0
	s_mov_b32 s10, exec_lo
	s_wait_loadcnt_dscnt 0x0
	v_cmpx_ne_u16_e32 0, v2
	s_cbranch_execz .LBB4_2979
; %bb.2972:                             ;   in Loop: Header=BB4_2771 Depth=2
	v_bfrev_b32_e32 v3, 1
	s_mov_b32 s11, exec_lo
	v_cmpx_ne_u16_e32 0x80, v2
	s_cbranch_execz .LBB4_2978
; %bb.2973:                             ;   in Loop: Header=BB4_2771 Depth=2
	v_and_b32_e32 v17, 0xffff, v2
	v_mov_b32_e32 v3, 0x7f800001
	s_mov_b32 s40, exec_lo
	s_delay_alu instid0(VALU_DEP_2) | instskip(NEXT) | instid1(VALU_DEP_1)
	v_and_b32_e32 v16, 0x7f, v17
	v_cmpx_ne_u32_e32 0x7f, v16
	s_cbranch_execz .LBB4_2977
; %bb.2974:                             ;   in Loop: Header=BB4_2771 Depth=2
	v_dual_lshrrev_b32 v3, 3, v16 :: v_dual_bitop2_b32 v38, 7, v17 bitop3:0x40
	v_cmp_gt_u32_e32 vcc_lo, 8, v16
	s_delay_alu instid0(VALU_DEP_2)
	v_mov_b64_e32 v[16:17], v[38:39]
	s_and_saveexec_b32 s41, vcc_lo
; %bb.2975:                             ;   in Loop: Header=BB4_2771 Depth=2
	v_clz_i32_u32_e32 v3, v38
	s_delay_alu instid0(VALU_DEP_1) | instskip(NEXT) | instid1(VALU_DEP_1)
	v_min_u32_e32 v3, 32, v3
	v_subrev_nc_u32_e32 v16, 28, v3
	s_delay_alu instid0(VALU_DEP_1) | instskip(NEXT) | instid1(VALU_DEP_1)
	v_lshlrev_b64_e32 v[16:17], v16, v[38:39]
	v_dual_sub_nc_u32 v3, 29, v3 :: v_dual_bitop2_b32 v16, 7, v16 bitop3:0x40
; %bb.2976:                             ;   in Loop: Header=BB4_2771 Depth=2
	s_or_b32 exec_lo, exec_lo, s41
	s_delay_alu instid0(VALU_DEP_1) | instskip(NEXT) | instid1(VALU_DEP_2)
	v_dual_lshlrev_b32 v2, 24, v2 :: v_dual_lshlrev_b32 v16, 20, v16
	v_lshl_add_u32 v3, v3, 23, 0x3c000000
	s_delay_alu instid0(VALU_DEP_2) | instskip(NEXT) | instid1(VALU_DEP_1)
	v_and_b32_e32 v2, 0x80000000, v2
	v_or3_b32 v3, v16, v2, v3
.LBB4_2977:                             ;   in Loop: Header=BB4_2771 Depth=2
	s_or_b32 exec_lo, exec_lo, s40
.LBB4_2978:                             ;   in Loop: Header=BB4_2771 Depth=2
	s_delay_alu instid0(SALU_CYCLE_1)
	s_or_b32 exec_lo, exec_lo, s11
.LBB4_2979:                             ;   in Loop: Header=BB4_2771 Depth=2
	s_delay_alu instid0(SALU_CYCLE_1) | instskip(NEXT) | instid1(VALU_DEP_1)
	s_or_b32 exec_lo, exec_lo, s10
	v_mul_f32_e32 v3, s29, v3
                                        ; implicit-def: $vgpr42
	s_mov_b32 s10, exec_lo
	s_delay_alu instid0(VALU_DEP_1) | instskip(SKIP_1) | instid1(VALU_DEP_2)
	v_and_b32_e32 v38, 0x7f800000, v3
	v_lshrrev_b32_e32 v2, 24, v3
	v_cmpx_ne_u64_e32 0x7f800000, v[38:39]
	s_xor_b32 s11, exec_lo, s10
	s_cbranch_execz .LBB4_2997
; %bb.2980:                             ;   in Loop: Header=BB4_2771 Depth=2
	v_and_b32_e32 v38, 0x7fffffff, v3
	v_and_b32_e32 v2, 0x80, v2
                                        ; implicit-def: $vgpr42
	s_mov_b32 s10, exec_lo
	s_delay_alu instid0(VALU_DEP_2)
	v_cmpx_gt_u64_e32 0x43e00001, v[38:39]
	s_xor_b32 s40, exec_lo, s10
	s_cbranch_execz .LBB4_2994
; %bb.2981:                             ;   in Loop: Header=BB4_2771 Depth=2
	v_mov_b32_e32 v42, 0
	s_mov_b32 s41, exec_lo
	v_cmpx_ne_u32_e32 0, v3
	s_cbranch_execz .LBB4_2993
; %bb.2982:                             ;   in Loop: Header=BB4_2771 Depth=2
	v_bfe_u32 v84, v3, 23, 8
	v_and_b32_e32 v3, 0x7fffff, v3
	s_delay_alu instid0(VALU_DEP_2) | instskip(SKIP_1) | instid1(VALU_DEP_3)
	v_sub_nc_u32_e32 v16, 0x79, v84
	v_cmp_gt_u32_e32 vcc_lo, 0x7a, v84
	v_or_b32_e32 v20, 0x800000, v3
	s_delay_alu instid0(VALU_DEP_3) | instskip(SKIP_1) | instid1(VALU_DEP_2)
	v_cndmask_b32_e32 v16, 0, v16, vcc_lo
	v_cmp_eq_u32_e32 vcc_lo, 0, v84
	v_cndmask_b32_e64 v85, v16, 0x78, vcc_lo
	s_delay_alu instid0(VALU_DEP_1) | instskip(SKIP_1) | instid1(VALU_DEP_2)
	v_dual_cndmask_b32 v38, v20, v3, vcc_lo :: v_dual_add_nc_u32 v16, 20, v85
	v_add_nc_u32_e32 v21, 19, v85
	v_lshlrev_b64_e64 v[16:17], v16, -1
	s_delay_alu instid0(VALU_DEP_2) | instskip(NEXT) | instid1(VALU_DEP_2)
	v_lshlrev_b64_e64 v[20:21], v21, 1
	v_bfi_b32 v83, v17, 0, 0
	s_delay_alu instid0(VALU_DEP_3) | instskip(SKIP_1) | instid1(VALU_DEP_2)
	v_bfi_b32 v82, v16, 0, v38
	v_lshrrev_b64 v[16:17], v85, v[38:39]
	v_cmp_eq_u64_e64 s10, v[82:83], v[20:21]
	s_delay_alu instid0(VALU_DEP_2)
	v_mov_b64_e32 v[82:83], v[16:17]
	s_and_saveexec_b32 s42, s10
; %bb.2983:                             ;   in Loop: Header=BB4_2771 Depth=2
	v_bfe_u32 v38, v16, 20, 1
	s_delay_alu instid0(VALU_DEP_1) | instskip(NEXT) | instid1(VALU_DEP_1)
	v_add_nc_u64_e32 v[20:21], v[16:17], v[38:39]
	v_add_nc_u64_e32 v[82:83], -1, v[20:21]
; %bb.2984:                             ;   in Loop: Header=BB4_2771 Depth=2
	s_or_b32 exec_lo, exec_lo, s42
	v_add_nc_u32_e32 v3, 0xffffff81, v84
	v_lshrrev_b32_e32 v17, 23, v16
	s_mov_b32 s10, exec_lo
	s_delay_alu instid0(VALU_DEP_2) | instskip(NEXT) | instid1(VALU_DEP_1)
	v_cndmask_b32_e64 v3, v3, 0xffffff82, vcc_lo
	v_add3_u32 v83, v85, v3, v17
	v_and_b32_e32 v3, 0xfffff, v82
	s_delay_alu instid0(VALU_DEP_1) | instskip(NEXT) | instid1(VALU_DEP_1)
	v_dual_add_nc_u32 v82, 6, v83 :: v_dual_add_nc_u32 v38, v3, v16
                                        ; implicit-def: $vgpr16_vgpr17
                                        ; implicit-def: $vgpr3
	v_cmpx_ne_u32_e32 0, v82
	s_xor_b32 s10, exec_lo, s10
; %bb.2985:                             ;   in Loop: Header=BB4_2771 Depth=2
	s_delay_alu instid0(VALU_DEP_2) | instskip(SKIP_2) | instid1(VALU_DEP_2)
	v_cmp_lt_u64_e32 vcc_lo, 0xffffff, v[38:39]
	v_add_nc_u32_e32 v3, 7, v83
	v_cndmask_b32_e64 v16, 0, 1, vcc_lo
	v_cndmask_b32_e32 v3, v82, v3, vcc_lo
	s_delay_alu instid0(VALU_DEP_2)
	v_lshrrev_b64 v[16:17], v16, v[38:39]
; %bb.2986:                             ;   in Loop: Header=BB4_2771 Depth=2
	s_and_not1_saveexec_b32 s10, s10
; %bb.2987:                             ;   in Loop: Header=BB4_2771 Depth=2
	v_mov_b64_e32 v[16:17], v[38:39]
	v_bfe_u32 v3, v38, 23, 1
; %bb.2988:                             ;   in Loop: Header=BB4_2771 Depth=2
	s_or_b32 exec_lo, exec_lo, s10
	s_delay_alu instid0(VALU_DEP_2) | instskip(NEXT) | instid1(VALU_DEP_2)
	v_lshrrev_b64 v[16:17], 20, v[16:17]
	v_cmp_gt_i32_e32 vcc_lo, 16, v3
	v_cmp_ne_u32_e64 s10, 0, v3
                                        ; implicit-def: $vgpr42
	s_delay_alu instid0(VALU_DEP_3) | instskip(NEXT) | instid1(VALU_DEP_1)
	v_dual_cndmask_b32 v17, 0, v17 :: v_dual_cndmask_b32 v16, 7, v16
	v_cmp_ne_u64_e32 vcc_lo, 0, v[16:17]
	s_or_b32 s10, s10, vcc_lo
	s_delay_alu instid0(SALU_CYCLE_1) | instskip(NEXT) | instid1(SALU_CYCLE_1)
	s_and_saveexec_b32 s42, s10
	s_xor_b32 s10, exec_lo, s42
; %bb.2989:                             ;   in Loop: Header=BB4_2771 Depth=2
	v_min_i32_e32 v3, 15, v3
	s_delay_alu instid0(VALU_DEP_1) | instskip(NEXT) | instid1(VALU_DEP_1)
	v_lshl_or_b32 v2, v3, 3, v2
	v_and_or_b32 v42, v16, 7, v2
                                        ; implicit-def: $vgpr2
; %bb.2990:                             ;   in Loop: Header=BB4_2771 Depth=2
	s_and_not1_saveexec_b32 s10, s10
; %bb.2991:                             ;   in Loop: Header=BB4_2771 Depth=2
	v_mov_b32_e32 v42, v2
; %bb.2992:                             ;   in Loop: Header=BB4_2771 Depth=2
	s_or_b32 exec_lo, exec_lo, s10
.LBB4_2993:                             ;   in Loop: Header=BB4_2771 Depth=2
	s_delay_alu instid0(SALU_CYCLE_1)
	s_or_b32 exec_lo, exec_lo, s41
                                        ; implicit-def: $vgpr2
.LBB4_2994:                             ;   in Loop: Header=BB4_2771 Depth=2
	s_and_not1_saveexec_b32 s10, s40
; %bb.2995:                             ;   in Loop: Header=BB4_2771 Depth=2
	v_or_b32_e32 v42, 0x7e, v2
; %bb.2996:                             ;   in Loop: Header=BB4_2771 Depth=2
	s_or_b32 exec_lo, exec_lo, s10
                                        ; implicit-def: $vgpr2
.LBB4_2997:                             ;   in Loop: Header=BB4_2771 Depth=2
	s_and_not1_saveexec_b32 s10, s11
; %bb.2998:                             ;   in Loop: Header=BB4_2771 Depth=2
	v_or_b32_e32 v42, 0x7f, v2
; %bb.2999:                             ;   in Loop: Header=BB4_2771 Depth=2
	s_or_b32 exec_lo, exec_lo, s10
	flat_load_u8 v2, v[10:11] offset:256 th:TH_LOAD_NT
	v_mov_b32_e32 v3, 0
	s_mov_b32 s10, exec_lo
	s_wait_loadcnt_dscnt 0x0
	v_cmpx_ne_u16_e32 0, v2
	s_cbranch_execz .LBB4_3007
; %bb.3000:                             ;   in Loop: Header=BB4_2771 Depth=2
	v_bfrev_b32_e32 v3, 1
	s_mov_b32 s11, exec_lo
	v_cmpx_ne_u16_e32 0x80, v2
	s_cbranch_execz .LBB4_3006
; %bb.3001:                             ;   in Loop: Header=BB4_2771 Depth=2
	v_and_b32_e32 v17, 0xffff, v2
	v_mov_b32_e32 v3, 0x7f800001
	s_mov_b32 s40, exec_lo
	s_delay_alu instid0(VALU_DEP_2) | instskip(NEXT) | instid1(VALU_DEP_1)
	v_and_b32_e32 v16, 0x7f, v17
	v_cmpx_ne_u32_e32 0x7f, v16
	s_cbranch_execz .LBB4_3005
; %bb.3002:                             ;   in Loop: Header=BB4_2771 Depth=2
	v_dual_lshrrev_b32 v3, 3, v16 :: v_dual_bitop2_b32 v38, 7, v17 bitop3:0x40
	v_cmp_gt_u32_e32 vcc_lo, 8, v16
	s_delay_alu instid0(VALU_DEP_2)
	v_mov_b64_e32 v[16:17], v[38:39]
	s_and_saveexec_b32 s41, vcc_lo
; %bb.3003:                             ;   in Loop: Header=BB4_2771 Depth=2
	v_clz_i32_u32_e32 v3, v38
	s_delay_alu instid0(VALU_DEP_1) | instskip(NEXT) | instid1(VALU_DEP_1)
	v_min_u32_e32 v3, 32, v3
	v_subrev_nc_u32_e32 v16, 28, v3
	s_delay_alu instid0(VALU_DEP_1) | instskip(NEXT) | instid1(VALU_DEP_1)
	v_lshlrev_b64_e32 v[16:17], v16, v[38:39]
	v_dual_sub_nc_u32 v3, 29, v3 :: v_dual_bitop2_b32 v16, 7, v16 bitop3:0x40
; %bb.3004:                             ;   in Loop: Header=BB4_2771 Depth=2
	s_or_b32 exec_lo, exec_lo, s41
	s_delay_alu instid0(VALU_DEP_1) | instskip(NEXT) | instid1(VALU_DEP_2)
	v_dual_lshlrev_b32 v2, 24, v2 :: v_dual_lshlrev_b32 v16, 20, v16
	v_lshl_add_u32 v3, v3, 23, 0x3c000000
	s_delay_alu instid0(VALU_DEP_2) | instskip(NEXT) | instid1(VALU_DEP_1)
	v_and_b32_e32 v2, 0x80000000, v2
	v_or3_b32 v3, v16, v2, v3
.LBB4_3005:                             ;   in Loop: Header=BB4_2771 Depth=2
	s_or_b32 exec_lo, exec_lo, s40
.LBB4_3006:                             ;   in Loop: Header=BB4_2771 Depth=2
	s_delay_alu instid0(SALU_CYCLE_1)
	s_or_b32 exec_lo, exec_lo, s11
.LBB4_3007:                             ;   in Loop: Header=BB4_2771 Depth=2
	s_delay_alu instid0(SALU_CYCLE_1) | instskip(NEXT) | instid1(VALU_DEP_1)
	s_or_b32 exec_lo, exec_lo, s10
	v_mul_f32_e32 v3, s29, v3
                                        ; implicit-def: $vgpr41
	s_mov_b32 s10, exec_lo
	s_delay_alu instid0(VALU_DEP_1) | instskip(SKIP_1) | instid1(VALU_DEP_2)
	v_and_b32_e32 v38, 0x7f800000, v3
	v_lshrrev_b32_e32 v2, 24, v3
	v_cmpx_ne_u64_e32 0x7f800000, v[38:39]
	s_xor_b32 s11, exec_lo, s10
	s_cbranch_execz .LBB4_3025
; %bb.3008:                             ;   in Loop: Header=BB4_2771 Depth=2
	v_and_b32_e32 v38, 0x7fffffff, v3
	v_and_b32_e32 v2, 0x80, v2
                                        ; implicit-def: $vgpr41
	s_mov_b32 s10, exec_lo
	s_delay_alu instid0(VALU_DEP_2)
	v_cmpx_gt_u64_e32 0x43e00001, v[38:39]
	s_xor_b32 s40, exec_lo, s10
	s_cbranch_execz .LBB4_3022
; %bb.3009:                             ;   in Loop: Header=BB4_2771 Depth=2
	v_mov_b32_e32 v41, 0
	s_mov_b32 s41, exec_lo
	v_cmpx_ne_u32_e32 0, v3
	s_cbranch_execz .LBB4_3021
; %bb.3010:                             ;   in Loop: Header=BB4_2771 Depth=2
	v_bfe_u32 v84, v3, 23, 8
	v_and_b32_e32 v3, 0x7fffff, v3
	s_delay_alu instid0(VALU_DEP_2) | instskip(SKIP_1) | instid1(VALU_DEP_3)
	v_sub_nc_u32_e32 v16, 0x79, v84
	v_cmp_gt_u32_e32 vcc_lo, 0x7a, v84
	v_or_b32_e32 v20, 0x800000, v3
	s_delay_alu instid0(VALU_DEP_3) | instskip(SKIP_1) | instid1(VALU_DEP_2)
	v_cndmask_b32_e32 v16, 0, v16, vcc_lo
	v_cmp_eq_u32_e32 vcc_lo, 0, v84
	v_cndmask_b32_e64 v85, v16, 0x78, vcc_lo
	s_delay_alu instid0(VALU_DEP_1) | instskip(SKIP_1) | instid1(VALU_DEP_2)
	v_dual_cndmask_b32 v38, v20, v3, vcc_lo :: v_dual_add_nc_u32 v16, 20, v85
	v_add_nc_u32_e32 v21, 19, v85
	v_lshlrev_b64_e64 v[16:17], v16, -1
	s_delay_alu instid0(VALU_DEP_2) | instskip(NEXT) | instid1(VALU_DEP_2)
	v_lshlrev_b64_e64 v[20:21], v21, 1
	v_bfi_b32 v83, v17, 0, 0
	s_delay_alu instid0(VALU_DEP_3) | instskip(SKIP_1) | instid1(VALU_DEP_2)
	v_bfi_b32 v82, v16, 0, v38
	v_lshrrev_b64 v[16:17], v85, v[38:39]
	v_cmp_eq_u64_e64 s10, v[82:83], v[20:21]
	s_delay_alu instid0(VALU_DEP_2)
	v_mov_b64_e32 v[82:83], v[16:17]
	s_and_saveexec_b32 s42, s10
; %bb.3011:                             ;   in Loop: Header=BB4_2771 Depth=2
	v_bfe_u32 v38, v16, 20, 1
	s_delay_alu instid0(VALU_DEP_1) | instskip(NEXT) | instid1(VALU_DEP_1)
	v_add_nc_u64_e32 v[20:21], v[16:17], v[38:39]
	v_add_nc_u64_e32 v[82:83], -1, v[20:21]
; %bb.3012:                             ;   in Loop: Header=BB4_2771 Depth=2
	s_or_b32 exec_lo, exec_lo, s42
	v_add_nc_u32_e32 v3, 0xffffff81, v84
	v_lshrrev_b32_e32 v17, 23, v16
	s_mov_b32 s10, exec_lo
	s_delay_alu instid0(VALU_DEP_2) | instskip(NEXT) | instid1(VALU_DEP_1)
	v_cndmask_b32_e64 v3, v3, 0xffffff82, vcc_lo
	v_add3_u32 v83, v85, v3, v17
	v_and_b32_e32 v3, 0xfffff, v82
	s_delay_alu instid0(VALU_DEP_1) | instskip(NEXT) | instid1(VALU_DEP_1)
	v_dual_add_nc_u32 v82, 6, v83 :: v_dual_add_nc_u32 v38, v3, v16
                                        ; implicit-def: $vgpr16_vgpr17
                                        ; implicit-def: $vgpr3
	v_cmpx_ne_u32_e32 0, v82
	s_xor_b32 s10, exec_lo, s10
; %bb.3013:                             ;   in Loop: Header=BB4_2771 Depth=2
	s_delay_alu instid0(VALU_DEP_2) | instskip(SKIP_2) | instid1(VALU_DEP_2)
	v_cmp_lt_u64_e32 vcc_lo, 0xffffff, v[38:39]
	v_add_nc_u32_e32 v3, 7, v83
	v_cndmask_b32_e64 v16, 0, 1, vcc_lo
	v_cndmask_b32_e32 v3, v82, v3, vcc_lo
	s_delay_alu instid0(VALU_DEP_2)
	v_lshrrev_b64 v[16:17], v16, v[38:39]
; %bb.3014:                             ;   in Loop: Header=BB4_2771 Depth=2
	s_and_not1_saveexec_b32 s10, s10
; %bb.3015:                             ;   in Loop: Header=BB4_2771 Depth=2
	v_mov_b64_e32 v[16:17], v[38:39]
	v_bfe_u32 v3, v38, 23, 1
; %bb.3016:                             ;   in Loop: Header=BB4_2771 Depth=2
	s_or_b32 exec_lo, exec_lo, s10
	s_delay_alu instid0(VALU_DEP_2) | instskip(NEXT) | instid1(VALU_DEP_2)
	v_lshrrev_b64 v[16:17], 20, v[16:17]
	v_cmp_gt_i32_e32 vcc_lo, 16, v3
	v_cmp_ne_u32_e64 s10, 0, v3
                                        ; implicit-def: $vgpr41
	s_delay_alu instid0(VALU_DEP_3) | instskip(NEXT) | instid1(VALU_DEP_1)
	v_dual_cndmask_b32 v17, 0, v17 :: v_dual_cndmask_b32 v16, 7, v16
	v_cmp_ne_u64_e32 vcc_lo, 0, v[16:17]
	s_or_b32 s10, s10, vcc_lo
	s_delay_alu instid0(SALU_CYCLE_1) | instskip(NEXT) | instid1(SALU_CYCLE_1)
	s_and_saveexec_b32 s42, s10
	s_xor_b32 s10, exec_lo, s42
; %bb.3017:                             ;   in Loop: Header=BB4_2771 Depth=2
	v_min_i32_e32 v3, 15, v3
	s_delay_alu instid0(VALU_DEP_1) | instskip(NEXT) | instid1(VALU_DEP_1)
	v_lshl_or_b32 v2, v3, 3, v2
	v_and_or_b32 v41, v16, 7, v2
                                        ; implicit-def: $vgpr2
; %bb.3018:                             ;   in Loop: Header=BB4_2771 Depth=2
	s_and_not1_saveexec_b32 s10, s10
; %bb.3019:                             ;   in Loop: Header=BB4_2771 Depth=2
	v_mov_b32_e32 v41, v2
; %bb.3020:                             ;   in Loop: Header=BB4_2771 Depth=2
	s_or_b32 exec_lo, exec_lo, s10
.LBB4_3021:                             ;   in Loop: Header=BB4_2771 Depth=2
	s_delay_alu instid0(SALU_CYCLE_1)
	s_or_b32 exec_lo, exec_lo, s41
                                        ; implicit-def: $vgpr2
.LBB4_3022:                             ;   in Loop: Header=BB4_2771 Depth=2
	s_and_not1_saveexec_b32 s10, s40
; %bb.3023:                             ;   in Loop: Header=BB4_2771 Depth=2
	v_or_b32_e32 v41, 0x7e, v2
; %bb.3024:                             ;   in Loop: Header=BB4_2771 Depth=2
	s_or_b32 exec_lo, exec_lo, s10
                                        ; implicit-def: $vgpr2
.LBB4_3025:                             ;   in Loop: Header=BB4_2771 Depth=2
	s_and_not1_saveexec_b32 s10, s11
; %bb.3026:                             ;   in Loop: Header=BB4_2771 Depth=2
	v_or_b32_e32 v41, 0x7f, v2
; %bb.3027:                             ;   in Loop: Header=BB4_2771 Depth=2
	s_or_b32 exec_lo, exec_lo, s10
	flat_load_u8 v2, v[10:11] offset:288 th:TH_LOAD_NT
	v_mov_b32_e32 v3, 0
	s_mov_b32 s10, exec_lo
	s_wait_loadcnt_dscnt 0x0
	v_cmpx_ne_u16_e32 0, v2
	s_cbranch_execz .LBB4_3035
; %bb.3028:                             ;   in Loop: Header=BB4_2771 Depth=2
	v_bfrev_b32_e32 v3, 1
	s_mov_b32 s11, exec_lo
	v_cmpx_ne_u16_e32 0x80, v2
	s_cbranch_execz .LBB4_3034
; %bb.3029:                             ;   in Loop: Header=BB4_2771 Depth=2
	v_and_b32_e32 v17, 0xffff, v2
	v_mov_b32_e32 v3, 0x7f800001
	s_mov_b32 s40, exec_lo
	s_delay_alu instid0(VALU_DEP_2) | instskip(NEXT) | instid1(VALU_DEP_1)
	v_and_b32_e32 v16, 0x7f, v17
	v_cmpx_ne_u32_e32 0x7f, v16
	s_cbranch_execz .LBB4_3033
; %bb.3030:                             ;   in Loop: Header=BB4_2771 Depth=2
	v_dual_lshrrev_b32 v3, 3, v16 :: v_dual_bitop2_b32 v38, 7, v17 bitop3:0x40
	v_cmp_gt_u32_e32 vcc_lo, 8, v16
	s_delay_alu instid0(VALU_DEP_2)
	v_mov_b64_e32 v[16:17], v[38:39]
	s_and_saveexec_b32 s41, vcc_lo
; %bb.3031:                             ;   in Loop: Header=BB4_2771 Depth=2
	v_clz_i32_u32_e32 v3, v38
	s_delay_alu instid0(VALU_DEP_1) | instskip(NEXT) | instid1(VALU_DEP_1)
	v_min_u32_e32 v3, 32, v3
	v_subrev_nc_u32_e32 v16, 28, v3
	s_delay_alu instid0(VALU_DEP_1) | instskip(NEXT) | instid1(VALU_DEP_1)
	v_lshlrev_b64_e32 v[16:17], v16, v[38:39]
	v_dual_sub_nc_u32 v3, 29, v3 :: v_dual_bitop2_b32 v16, 7, v16 bitop3:0x40
; %bb.3032:                             ;   in Loop: Header=BB4_2771 Depth=2
	s_or_b32 exec_lo, exec_lo, s41
	s_delay_alu instid0(VALU_DEP_1) | instskip(NEXT) | instid1(VALU_DEP_2)
	v_dual_lshlrev_b32 v2, 24, v2 :: v_dual_lshlrev_b32 v16, 20, v16
	v_lshl_add_u32 v3, v3, 23, 0x3c000000
	s_delay_alu instid0(VALU_DEP_2) | instskip(NEXT) | instid1(VALU_DEP_1)
	v_and_b32_e32 v2, 0x80000000, v2
	v_or3_b32 v3, v16, v2, v3
.LBB4_3033:                             ;   in Loop: Header=BB4_2771 Depth=2
	s_or_b32 exec_lo, exec_lo, s40
.LBB4_3034:                             ;   in Loop: Header=BB4_2771 Depth=2
	s_delay_alu instid0(SALU_CYCLE_1)
	s_or_b32 exec_lo, exec_lo, s11
.LBB4_3035:                             ;   in Loop: Header=BB4_2771 Depth=2
	s_delay_alu instid0(SALU_CYCLE_1) | instskip(NEXT) | instid1(VALU_DEP_1)
	s_or_b32 exec_lo, exec_lo, s10
	v_mul_f32_e32 v3, s29, v3
                                        ; implicit-def: $vgpr40
	s_mov_b32 s10, exec_lo
	s_delay_alu instid0(VALU_DEP_1) | instskip(SKIP_1) | instid1(VALU_DEP_2)
	v_and_b32_e32 v38, 0x7f800000, v3
	v_lshrrev_b32_e32 v2, 24, v3
	v_cmpx_ne_u64_e32 0x7f800000, v[38:39]
	s_xor_b32 s11, exec_lo, s10
	s_cbranch_execz .LBB4_3053
; %bb.3036:                             ;   in Loop: Header=BB4_2771 Depth=2
	v_and_b32_e32 v38, 0x7fffffff, v3
	v_and_b32_e32 v2, 0x80, v2
                                        ; implicit-def: $vgpr40
	s_mov_b32 s10, exec_lo
	s_delay_alu instid0(VALU_DEP_2)
	v_cmpx_gt_u64_e32 0x43e00001, v[38:39]
	s_xor_b32 s40, exec_lo, s10
	s_cbranch_execz .LBB4_3050
; %bb.3037:                             ;   in Loop: Header=BB4_2771 Depth=2
	v_mov_b32_e32 v40, 0
	s_mov_b32 s41, exec_lo
	v_cmpx_ne_u32_e32 0, v3
	s_cbranch_execz .LBB4_3049
; %bb.3038:                             ;   in Loop: Header=BB4_2771 Depth=2
	v_bfe_u32 v84, v3, 23, 8
	v_and_b32_e32 v3, 0x7fffff, v3
	s_delay_alu instid0(VALU_DEP_2) | instskip(SKIP_1) | instid1(VALU_DEP_3)
	v_sub_nc_u32_e32 v16, 0x79, v84
	v_cmp_gt_u32_e32 vcc_lo, 0x7a, v84
	v_or_b32_e32 v20, 0x800000, v3
	s_delay_alu instid0(VALU_DEP_3) | instskip(SKIP_1) | instid1(VALU_DEP_2)
	v_cndmask_b32_e32 v16, 0, v16, vcc_lo
	v_cmp_eq_u32_e32 vcc_lo, 0, v84
	v_cndmask_b32_e64 v85, v16, 0x78, vcc_lo
	s_delay_alu instid0(VALU_DEP_1) | instskip(SKIP_1) | instid1(VALU_DEP_2)
	v_dual_cndmask_b32 v38, v20, v3, vcc_lo :: v_dual_add_nc_u32 v16, 20, v85
	v_add_nc_u32_e32 v21, 19, v85
	v_lshlrev_b64_e64 v[16:17], v16, -1
	s_delay_alu instid0(VALU_DEP_2) | instskip(NEXT) | instid1(VALU_DEP_2)
	v_lshlrev_b64_e64 v[20:21], v21, 1
	v_bfi_b32 v83, v17, 0, 0
	s_delay_alu instid0(VALU_DEP_3) | instskip(SKIP_1) | instid1(VALU_DEP_2)
	v_bfi_b32 v82, v16, 0, v38
	v_lshrrev_b64 v[16:17], v85, v[38:39]
	v_cmp_eq_u64_e64 s10, v[82:83], v[20:21]
	s_delay_alu instid0(VALU_DEP_2)
	v_mov_b64_e32 v[82:83], v[16:17]
	s_and_saveexec_b32 s42, s10
; %bb.3039:                             ;   in Loop: Header=BB4_2771 Depth=2
	v_bfe_u32 v38, v16, 20, 1
	s_delay_alu instid0(VALU_DEP_1) | instskip(NEXT) | instid1(VALU_DEP_1)
	v_add_nc_u64_e32 v[20:21], v[16:17], v[38:39]
	v_add_nc_u64_e32 v[82:83], -1, v[20:21]
; %bb.3040:                             ;   in Loop: Header=BB4_2771 Depth=2
	s_or_b32 exec_lo, exec_lo, s42
	v_add_nc_u32_e32 v3, 0xffffff81, v84
	v_lshrrev_b32_e32 v17, 23, v16
	s_mov_b32 s10, exec_lo
	s_delay_alu instid0(VALU_DEP_2) | instskip(NEXT) | instid1(VALU_DEP_1)
	v_cndmask_b32_e64 v3, v3, 0xffffff82, vcc_lo
	v_add3_u32 v83, v85, v3, v17
	v_and_b32_e32 v3, 0xfffff, v82
	s_delay_alu instid0(VALU_DEP_1) | instskip(NEXT) | instid1(VALU_DEP_1)
	v_dual_add_nc_u32 v82, 6, v83 :: v_dual_add_nc_u32 v38, v3, v16
                                        ; implicit-def: $vgpr16_vgpr17
                                        ; implicit-def: $vgpr3
	v_cmpx_ne_u32_e32 0, v82
	s_xor_b32 s10, exec_lo, s10
; %bb.3041:                             ;   in Loop: Header=BB4_2771 Depth=2
	s_delay_alu instid0(VALU_DEP_2) | instskip(SKIP_2) | instid1(VALU_DEP_2)
	v_cmp_lt_u64_e32 vcc_lo, 0xffffff, v[38:39]
	v_add_nc_u32_e32 v3, 7, v83
	v_cndmask_b32_e64 v16, 0, 1, vcc_lo
	v_cndmask_b32_e32 v3, v82, v3, vcc_lo
	s_delay_alu instid0(VALU_DEP_2)
	v_lshrrev_b64 v[16:17], v16, v[38:39]
; %bb.3042:                             ;   in Loop: Header=BB4_2771 Depth=2
	s_and_not1_saveexec_b32 s10, s10
; %bb.3043:                             ;   in Loop: Header=BB4_2771 Depth=2
	v_mov_b64_e32 v[16:17], v[38:39]
	v_bfe_u32 v3, v38, 23, 1
; %bb.3044:                             ;   in Loop: Header=BB4_2771 Depth=2
	s_or_b32 exec_lo, exec_lo, s10
	s_delay_alu instid0(VALU_DEP_2) | instskip(NEXT) | instid1(VALU_DEP_2)
	v_lshrrev_b64 v[16:17], 20, v[16:17]
	v_cmp_gt_i32_e32 vcc_lo, 16, v3
	v_cmp_ne_u32_e64 s10, 0, v3
                                        ; implicit-def: $vgpr40
	s_delay_alu instid0(VALU_DEP_3) | instskip(NEXT) | instid1(VALU_DEP_1)
	v_dual_cndmask_b32 v17, 0, v17 :: v_dual_cndmask_b32 v16, 7, v16
	v_cmp_ne_u64_e32 vcc_lo, 0, v[16:17]
	s_or_b32 s10, s10, vcc_lo
	s_delay_alu instid0(SALU_CYCLE_1) | instskip(NEXT) | instid1(SALU_CYCLE_1)
	s_and_saveexec_b32 s42, s10
	s_xor_b32 s10, exec_lo, s42
; %bb.3045:                             ;   in Loop: Header=BB4_2771 Depth=2
	v_min_i32_e32 v3, 15, v3
	s_delay_alu instid0(VALU_DEP_1) | instskip(NEXT) | instid1(VALU_DEP_1)
	v_lshl_or_b32 v2, v3, 3, v2
	v_and_or_b32 v40, v16, 7, v2
                                        ; implicit-def: $vgpr2
; %bb.3046:                             ;   in Loop: Header=BB4_2771 Depth=2
	s_and_not1_saveexec_b32 s10, s10
; %bb.3047:                             ;   in Loop: Header=BB4_2771 Depth=2
	v_mov_b32_e32 v40, v2
; %bb.3048:                             ;   in Loop: Header=BB4_2771 Depth=2
	s_or_b32 exec_lo, exec_lo, s10
.LBB4_3049:                             ;   in Loop: Header=BB4_2771 Depth=2
	s_delay_alu instid0(SALU_CYCLE_1)
	s_or_b32 exec_lo, exec_lo, s41
                                        ; implicit-def: $vgpr2
.LBB4_3050:                             ;   in Loop: Header=BB4_2771 Depth=2
	s_and_not1_saveexec_b32 s10, s40
; %bb.3051:                             ;   in Loop: Header=BB4_2771 Depth=2
	v_or_b32_e32 v40, 0x7e, v2
; %bb.3052:                             ;   in Loop: Header=BB4_2771 Depth=2
	s_or_b32 exec_lo, exec_lo, s10
                                        ; implicit-def: $vgpr2
.LBB4_3053:                             ;   in Loop: Header=BB4_2771 Depth=2
	s_and_not1_saveexec_b32 s10, s11
; %bb.3054:                             ;   in Loop: Header=BB4_2771 Depth=2
	v_or_b32_e32 v40, 0x7f, v2
; %bb.3055:                             ;   in Loop: Header=BB4_2771 Depth=2
	s_or_b32 exec_lo, exec_lo, s10
	flat_load_u8 v2, v[10:11] offset:320 th:TH_LOAD_NT
	v_mov_b32_e32 v3, 0
	s_mov_b32 s10, exec_lo
	s_wait_loadcnt_dscnt 0x0
	v_cmpx_ne_u16_e32 0, v2
	s_cbranch_execz .LBB4_3063
; %bb.3056:                             ;   in Loop: Header=BB4_2771 Depth=2
	v_bfrev_b32_e32 v3, 1
	s_mov_b32 s11, exec_lo
	v_cmpx_ne_u16_e32 0x80, v2
	s_cbranch_execz .LBB4_3062
; %bb.3057:                             ;   in Loop: Header=BB4_2771 Depth=2
	v_and_b32_e32 v17, 0xffff, v2
	v_mov_b32_e32 v3, 0x7f800001
	s_mov_b32 s40, exec_lo
	s_delay_alu instid0(VALU_DEP_2) | instskip(NEXT) | instid1(VALU_DEP_1)
	v_and_b32_e32 v16, 0x7f, v17
	v_cmpx_ne_u32_e32 0x7f, v16
	s_cbranch_execz .LBB4_3061
; %bb.3058:                             ;   in Loop: Header=BB4_2771 Depth=2
	v_dual_lshrrev_b32 v3, 3, v16 :: v_dual_bitop2_b32 v38, 7, v17 bitop3:0x40
	v_cmp_gt_u32_e32 vcc_lo, 8, v16
	s_delay_alu instid0(VALU_DEP_2)
	v_mov_b64_e32 v[16:17], v[38:39]
	s_and_saveexec_b32 s41, vcc_lo
; %bb.3059:                             ;   in Loop: Header=BB4_2771 Depth=2
	v_clz_i32_u32_e32 v3, v38
	s_delay_alu instid0(VALU_DEP_1) | instskip(NEXT) | instid1(VALU_DEP_1)
	v_min_u32_e32 v3, 32, v3
	v_subrev_nc_u32_e32 v16, 28, v3
	s_delay_alu instid0(VALU_DEP_1) | instskip(NEXT) | instid1(VALU_DEP_1)
	v_lshlrev_b64_e32 v[16:17], v16, v[38:39]
	v_dual_sub_nc_u32 v3, 29, v3 :: v_dual_bitop2_b32 v16, 7, v16 bitop3:0x40
; %bb.3060:                             ;   in Loop: Header=BB4_2771 Depth=2
	s_or_b32 exec_lo, exec_lo, s41
	s_delay_alu instid0(VALU_DEP_1) | instskip(NEXT) | instid1(VALU_DEP_2)
	v_dual_lshlrev_b32 v2, 24, v2 :: v_dual_lshlrev_b32 v16, 20, v16
	v_lshl_add_u32 v3, v3, 23, 0x3c000000
	s_delay_alu instid0(VALU_DEP_2) | instskip(NEXT) | instid1(VALU_DEP_1)
	v_and_b32_e32 v2, 0x80000000, v2
	v_or3_b32 v3, v16, v2, v3
.LBB4_3061:                             ;   in Loop: Header=BB4_2771 Depth=2
	s_or_b32 exec_lo, exec_lo, s40
.LBB4_3062:                             ;   in Loop: Header=BB4_2771 Depth=2
	s_delay_alu instid0(SALU_CYCLE_1)
	s_or_b32 exec_lo, exec_lo, s11
.LBB4_3063:                             ;   in Loop: Header=BB4_2771 Depth=2
	s_delay_alu instid0(SALU_CYCLE_1) | instskip(NEXT) | instid1(VALU_DEP_1)
	s_or_b32 exec_lo, exec_lo, s10
	v_mul_f32_e32 v3, s29, v3
                                        ; implicit-def: $vgpr102
	s_mov_b32 s10, exec_lo
	s_delay_alu instid0(VALU_DEP_1) | instskip(SKIP_1) | instid1(VALU_DEP_2)
	v_and_b32_e32 v38, 0x7f800000, v3
	v_lshrrev_b32_e32 v2, 24, v3
	v_cmpx_ne_u64_e32 0x7f800000, v[38:39]
	s_xor_b32 s11, exec_lo, s10
	s_cbranch_execz .LBB4_3081
; %bb.3064:                             ;   in Loop: Header=BB4_2771 Depth=2
	v_and_b32_e32 v38, 0x7fffffff, v3
	v_and_b32_e32 v2, 0x80, v2
                                        ; implicit-def: $vgpr102
	s_mov_b32 s10, exec_lo
	s_delay_alu instid0(VALU_DEP_2)
	v_cmpx_gt_u64_e32 0x43e00001, v[38:39]
	s_xor_b32 s40, exec_lo, s10
	s_cbranch_execz .LBB4_3078
; %bb.3065:                             ;   in Loop: Header=BB4_2771 Depth=2
	v_mov_b32_e32 v102, 0
	s_mov_b32 s41, exec_lo
	v_cmpx_ne_u32_e32 0, v3
	s_cbranch_execz .LBB4_3077
; %bb.3066:                             ;   in Loop: Header=BB4_2771 Depth=2
	v_bfe_u32 v84, v3, 23, 8
	v_and_b32_e32 v3, 0x7fffff, v3
	s_delay_alu instid0(VALU_DEP_2) | instskip(SKIP_1) | instid1(VALU_DEP_3)
	v_sub_nc_u32_e32 v16, 0x79, v84
	v_cmp_gt_u32_e32 vcc_lo, 0x7a, v84
	v_or_b32_e32 v20, 0x800000, v3
	s_delay_alu instid0(VALU_DEP_3) | instskip(SKIP_1) | instid1(VALU_DEP_2)
	v_cndmask_b32_e32 v16, 0, v16, vcc_lo
	v_cmp_eq_u32_e32 vcc_lo, 0, v84
	v_cndmask_b32_e64 v85, v16, 0x78, vcc_lo
	s_delay_alu instid0(VALU_DEP_1) | instskip(SKIP_1) | instid1(VALU_DEP_2)
	v_dual_cndmask_b32 v38, v20, v3, vcc_lo :: v_dual_add_nc_u32 v16, 20, v85
	v_add_nc_u32_e32 v21, 19, v85
	v_lshlrev_b64_e64 v[16:17], v16, -1
	s_delay_alu instid0(VALU_DEP_2) | instskip(NEXT) | instid1(VALU_DEP_2)
	v_lshlrev_b64_e64 v[20:21], v21, 1
	v_bfi_b32 v83, v17, 0, 0
	s_delay_alu instid0(VALU_DEP_3) | instskip(SKIP_1) | instid1(VALU_DEP_2)
	v_bfi_b32 v82, v16, 0, v38
	v_lshrrev_b64 v[16:17], v85, v[38:39]
	v_cmp_eq_u64_e64 s10, v[82:83], v[20:21]
	s_delay_alu instid0(VALU_DEP_2)
	v_mov_b64_e32 v[82:83], v[16:17]
	s_and_saveexec_b32 s42, s10
; %bb.3067:                             ;   in Loop: Header=BB4_2771 Depth=2
	v_bfe_u32 v38, v16, 20, 1
	s_delay_alu instid0(VALU_DEP_1) | instskip(NEXT) | instid1(VALU_DEP_1)
	v_add_nc_u64_e32 v[20:21], v[16:17], v[38:39]
	v_add_nc_u64_e32 v[82:83], -1, v[20:21]
; %bb.3068:                             ;   in Loop: Header=BB4_2771 Depth=2
	s_or_b32 exec_lo, exec_lo, s42
	v_add_nc_u32_e32 v3, 0xffffff81, v84
	v_lshrrev_b32_e32 v17, 23, v16
	s_mov_b32 s10, exec_lo
	s_delay_alu instid0(VALU_DEP_2) | instskip(NEXT) | instid1(VALU_DEP_1)
	v_cndmask_b32_e64 v3, v3, 0xffffff82, vcc_lo
	v_add3_u32 v83, v85, v3, v17
	v_and_b32_e32 v3, 0xfffff, v82
	s_delay_alu instid0(VALU_DEP_1) | instskip(NEXT) | instid1(VALU_DEP_1)
	v_dual_add_nc_u32 v82, 6, v83 :: v_dual_add_nc_u32 v38, v3, v16
                                        ; implicit-def: $vgpr16_vgpr17
                                        ; implicit-def: $vgpr3
	v_cmpx_ne_u32_e32 0, v82
	s_xor_b32 s10, exec_lo, s10
; %bb.3069:                             ;   in Loop: Header=BB4_2771 Depth=2
	s_delay_alu instid0(VALU_DEP_2) | instskip(SKIP_2) | instid1(VALU_DEP_2)
	v_cmp_lt_u64_e32 vcc_lo, 0xffffff, v[38:39]
	v_add_nc_u32_e32 v3, 7, v83
	v_cndmask_b32_e64 v16, 0, 1, vcc_lo
	v_cndmask_b32_e32 v3, v82, v3, vcc_lo
	s_delay_alu instid0(VALU_DEP_2)
	v_lshrrev_b64 v[16:17], v16, v[38:39]
; %bb.3070:                             ;   in Loop: Header=BB4_2771 Depth=2
	s_and_not1_saveexec_b32 s10, s10
; %bb.3071:                             ;   in Loop: Header=BB4_2771 Depth=2
	v_mov_b64_e32 v[16:17], v[38:39]
	v_bfe_u32 v3, v38, 23, 1
; %bb.3072:                             ;   in Loop: Header=BB4_2771 Depth=2
	s_or_b32 exec_lo, exec_lo, s10
	s_delay_alu instid0(VALU_DEP_2) | instskip(NEXT) | instid1(VALU_DEP_2)
	v_lshrrev_b64 v[16:17], 20, v[16:17]
	v_cmp_gt_i32_e32 vcc_lo, 16, v3
	v_cmp_ne_u32_e64 s10, 0, v3
                                        ; implicit-def: $vgpr102
	s_delay_alu instid0(VALU_DEP_3) | instskip(NEXT) | instid1(VALU_DEP_1)
	v_dual_cndmask_b32 v17, 0, v17 :: v_dual_cndmask_b32 v16, 7, v16
	v_cmp_ne_u64_e32 vcc_lo, 0, v[16:17]
	s_or_b32 s10, s10, vcc_lo
	s_delay_alu instid0(SALU_CYCLE_1) | instskip(NEXT) | instid1(SALU_CYCLE_1)
	s_and_saveexec_b32 s42, s10
	s_xor_b32 s10, exec_lo, s42
; %bb.3073:                             ;   in Loop: Header=BB4_2771 Depth=2
	v_min_i32_e32 v3, 15, v3
	s_delay_alu instid0(VALU_DEP_1) | instskip(NEXT) | instid1(VALU_DEP_1)
	v_lshl_or_b32 v2, v3, 3, v2
	v_and_or_b32 v102, v16, 7, v2
                                        ; implicit-def: $vgpr2
; %bb.3074:                             ;   in Loop: Header=BB4_2771 Depth=2
	s_and_not1_saveexec_b32 s10, s10
; %bb.3075:                             ;   in Loop: Header=BB4_2771 Depth=2
	v_mov_b32_e32 v102, v2
; %bb.3076:                             ;   in Loop: Header=BB4_2771 Depth=2
	s_or_b32 exec_lo, exec_lo, s10
.LBB4_3077:                             ;   in Loop: Header=BB4_2771 Depth=2
	s_delay_alu instid0(SALU_CYCLE_1)
	s_or_b32 exec_lo, exec_lo, s41
                                        ; implicit-def: $vgpr2
.LBB4_3078:                             ;   in Loop: Header=BB4_2771 Depth=2
	s_and_not1_saveexec_b32 s10, s40
; %bb.3079:                             ;   in Loop: Header=BB4_2771 Depth=2
	v_or_b32_e32 v102, 0x7e, v2
; %bb.3080:                             ;   in Loop: Header=BB4_2771 Depth=2
	s_or_b32 exec_lo, exec_lo, s10
                                        ; implicit-def: $vgpr2
.LBB4_3081:                             ;   in Loop: Header=BB4_2771 Depth=2
	s_and_not1_saveexec_b32 s10, s11
; %bb.3082:                             ;   in Loop: Header=BB4_2771 Depth=2
	v_or_b32_e32 v102, 0x7f, v2
; %bb.3083:                             ;   in Loop: Header=BB4_2771 Depth=2
	s_or_b32 exec_lo, exec_lo, s10
	flat_load_u8 v2, v[10:11] offset:352 th:TH_LOAD_NT
	v_mov_b32_e32 v3, 0
	s_mov_b32 s10, exec_lo
	s_wait_loadcnt_dscnt 0x0
	v_cmpx_ne_u16_e32 0, v2
	s_cbranch_execz .LBB4_3091
; %bb.3084:                             ;   in Loop: Header=BB4_2771 Depth=2
	v_bfrev_b32_e32 v3, 1
	s_mov_b32 s11, exec_lo
	v_cmpx_ne_u16_e32 0x80, v2
	s_cbranch_execz .LBB4_3090
; %bb.3085:                             ;   in Loop: Header=BB4_2771 Depth=2
	v_and_b32_e32 v17, 0xffff, v2
	v_mov_b32_e32 v3, 0x7f800001
	s_mov_b32 s40, exec_lo
	s_delay_alu instid0(VALU_DEP_2) | instskip(NEXT) | instid1(VALU_DEP_1)
	v_and_b32_e32 v16, 0x7f, v17
	v_cmpx_ne_u32_e32 0x7f, v16
	s_cbranch_execz .LBB4_3089
; %bb.3086:                             ;   in Loop: Header=BB4_2771 Depth=2
	v_dual_lshrrev_b32 v3, 3, v16 :: v_dual_bitop2_b32 v38, 7, v17 bitop3:0x40
	v_cmp_gt_u32_e32 vcc_lo, 8, v16
	s_delay_alu instid0(VALU_DEP_2)
	v_mov_b64_e32 v[16:17], v[38:39]
	s_and_saveexec_b32 s41, vcc_lo
; %bb.3087:                             ;   in Loop: Header=BB4_2771 Depth=2
	v_clz_i32_u32_e32 v3, v38
	s_delay_alu instid0(VALU_DEP_1) | instskip(NEXT) | instid1(VALU_DEP_1)
	v_min_u32_e32 v3, 32, v3
	v_subrev_nc_u32_e32 v16, 28, v3
	s_delay_alu instid0(VALU_DEP_1) | instskip(NEXT) | instid1(VALU_DEP_1)
	v_lshlrev_b64_e32 v[16:17], v16, v[38:39]
	v_dual_sub_nc_u32 v3, 29, v3 :: v_dual_bitop2_b32 v16, 7, v16 bitop3:0x40
; %bb.3088:                             ;   in Loop: Header=BB4_2771 Depth=2
	s_or_b32 exec_lo, exec_lo, s41
	s_delay_alu instid0(VALU_DEP_1) | instskip(NEXT) | instid1(VALU_DEP_2)
	v_dual_lshlrev_b32 v2, 24, v2 :: v_dual_lshlrev_b32 v16, 20, v16
	v_lshl_add_u32 v3, v3, 23, 0x3c000000
	s_delay_alu instid0(VALU_DEP_2) | instskip(NEXT) | instid1(VALU_DEP_1)
	v_and_b32_e32 v2, 0x80000000, v2
	v_or3_b32 v3, v16, v2, v3
.LBB4_3089:                             ;   in Loop: Header=BB4_2771 Depth=2
	s_or_b32 exec_lo, exec_lo, s40
.LBB4_3090:                             ;   in Loop: Header=BB4_2771 Depth=2
	s_delay_alu instid0(SALU_CYCLE_1)
	s_or_b32 exec_lo, exec_lo, s11
.LBB4_3091:                             ;   in Loop: Header=BB4_2771 Depth=2
	s_delay_alu instid0(SALU_CYCLE_1) | instskip(NEXT) | instid1(VALU_DEP_1)
	s_or_b32 exec_lo, exec_lo, s10
	v_mul_f32_e32 v3, s29, v3
                                        ; implicit-def: $vgpr101
	s_mov_b32 s10, exec_lo
	s_delay_alu instid0(VALU_DEP_1) | instskip(SKIP_1) | instid1(VALU_DEP_2)
	v_and_b32_e32 v38, 0x7f800000, v3
	v_lshrrev_b32_e32 v2, 24, v3
	v_cmpx_ne_u64_e32 0x7f800000, v[38:39]
	s_xor_b32 s11, exec_lo, s10
	s_cbranch_execz .LBB4_3109
; %bb.3092:                             ;   in Loop: Header=BB4_2771 Depth=2
	v_and_b32_e32 v38, 0x7fffffff, v3
	v_and_b32_e32 v2, 0x80, v2
                                        ; implicit-def: $vgpr101
	s_mov_b32 s10, exec_lo
	s_delay_alu instid0(VALU_DEP_2)
	v_cmpx_gt_u64_e32 0x43e00001, v[38:39]
	s_xor_b32 s40, exec_lo, s10
	s_cbranch_execz .LBB4_3106
; %bb.3093:                             ;   in Loop: Header=BB4_2771 Depth=2
	v_mov_b32_e32 v101, 0
	s_mov_b32 s41, exec_lo
	v_cmpx_ne_u32_e32 0, v3
	s_cbranch_execz .LBB4_3105
; %bb.3094:                             ;   in Loop: Header=BB4_2771 Depth=2
	v_bfe_u32 v84, v3, 23, 8
	v_and_b32_e32 v3, 0x7fffff, v3
	s_delay_alu instid0(VALU_DEP_2) | instskip(SKIP_1) | instid1(VALU_DEP_3)
	v_sub_nc_u32_e32 v16, 0x79, v84
	v_cmp_gt_u32_e32 vcc_lo, 0x7a, v84
	v_or_b32_e32 v20, 0x800000, v3
	s_delay_alu instid0(VALU_DEP_3) | instskip(SKIP_1) | instid1(VALU_DEP_2)
	v_cndmask_b32_e32 v16, 0, v16, vcc_lo
	v_cmp_eq_u32_e32 vcc_lo, 0, v84
	v_cndmask_b32_e64 v85, v16, 0x78, vcc_lo
	s_delay_alu instid0(VALU_DEP_1) | instskip(SKIP_1) | instid1(VALU_DEP_2)
	v_dual_cndmask_b32 v38, v20, v3, vcc_lo :: v_dual_add_nc_u32 v16, 20, v85
	v_add_nc_u32_e32 v21, 19, v85
	v_lshlrev_b64_e64 v[16:17], v16, -1
	s_delay_alu instid0(VALU_DEP_2) | instskip(NEXT) | instid1(VALU_DEP_2)
	v_lshlrev_b64_e64 v[20:21], v21, 1
	v_bfi_b32 v83, v17, 0, 0
	s_delay_alu instid0(VALU_DEP_3) | instskip(SKIP_1) | instid1(VALU_DEP_2)
	v_bfi_b32 v82, v16, 0, v38
	v_lshrrev_b64 v[16:17], v85, v[38:39]
	v_cmp_eq_u64_e64 s10, v[82:83], v[20:21]
	s_delay_alu instid0(VALU_DEP_2)
	v_mov_b64_e32 v[82:83], v[16:17]
	s_and_saveexec_b32 s42, s10
; %bb.3095:                             ;   in Loop: Header=BB4_2771 Depth=2
	v_bfe_u32 v38, v16, 20, 1
	s_delay_alu instid0(VALU_DEP_1) | instskip(NEXT) | instid1(VALU_DEP_1)
	v_add_nc_u64_e32 v[20:21], v[16:17], v[38:39]
	v_add_nc_u64_e32 v[82:83], -1, v[20:21]
; %bb.3096:                             ;   in Loop: Header=BB4_2771 Depth=2
	s_or_b32 exec_lo, exec_lo, s42
	v_add_nc_u32_e32 v3, 0xffffff81, v84
	v_lshrrev_b32_e32 v17, 23, v16
	s_mov_b32 s10, exec_lo
	s_delay_alu instid0(VALU_DEP_2) | instskip(NEXT) | instid1(VALU_DEP_1)
	v_cndmask_b32_e64 v3, v3, 0xffffff82, vcc_lo
	v_add3_u32 v83, v85, v3, v17
	v_and_b32_e32 v3, 0xfffff, v82
	s_delay_alu instid0(VALU_DEP_1) | instskip(NEXT) | instid1(VALU_DEP_1)
	v_dual_add_nc_u32 v82, 6, v83 :: v_dual_add_nc_u32 v38, v3, v16
                                        ; implicit-def: $vgpr16_vgpr17
                                        ; implicit-def: $vgpr3
	v_cmpx_ne_u32_e32 0, v82
	s_xor_b32 s10, exec_lo, s10
; %bb.3097:                             ;   in Loop: Header=BB4_2771 Depth=2
	s_delay_alu instid0(VALU_DEP_2) | instskip(SKIP_2) | instid1(VALU_DEP_2)
	v_cmp_lt_u64_e32 vcc_lo, 0xffffff, v[38:39]
	v_add_nc_u32_e32 v3, 7, v83
	v_cndmask_b32_e64 v16, 0, 1, vcc_lo
	v_cndmask_b32_e32 v3, v82, v3, vcc_lo
	s_delay_alu instid0(VALU_DEP_2)
	v_lshrrev_b64 v[16:17], v16, v[38:39]
; %bb.3098:                             ;   in Loop: Header=BB4_2771 Depth=2
	s_and_not1_saveexec_b32 s10, s10
; %bb.3099:                             ;   in Loop: Header=BB4_2771 Depth=2
	v_mov_b64_e32 v[16:17], v[38:39]
	v_bfe_u32 v3, v38, 23, 1
; %bb.3100:                             ;   in Loop: Header=BB4_2771 Depth=2
	s_or_b32 exec_lo, exec_lo, s10
	s_delay_alu instid0(VALU_DEP_2) | instskip(NEXT) | instid1(VALU_DEP_2)
	v_lshrrev_b64 v[16:17], 20, v[16:17]
	v_cmp_gt_i32_e32 vcc_lo, 16, v3
	v_cmp_ne_u32_e64 s10, 0, v3
                                        ; implicit-def: $vgpr101
	s_delay_alu instid0(VALU_DEP_3) | instskip(NEXT) | instid1(VALU_DEP_1)
	v_dual_cndmask_b32 v17, 0, v17 :: v_dual_cndmask_b32 v16, 7, v16
	v_cmp_ne_u64_e32 vcc_lo, 0, v[16:17]
	s_or_b32 s10, s10, vcc_lo
	s_delay_alu instid0(SALU_CYCLE_1) | instskip(NEXT) | instid1(SALU_CYCLE_1)
	s_and_saveexec_b32 s42, s10
	s_xor_b32 s10, exec_lo, s42
; %bb.3101:                             ;   in Loop: Header=BB4_2771 Depth=2
	v_min_i32_e32 v3, 15, v3
	s_delay_alu instid0(VALU_DEP_1) | instskip(NEXT) | instid1(VALU_DEP_1)
	v_lshl_or_b32 v2, v3, 3, v2
	v_and_or_b32 v101, v16, 7, v2
                                        ; implicit-def: $vgpr2
; %bb.3102:                             ;   in Loop: Header=BB4_2771 Depth=2
	s_and_not1_saveexec_b32 s10, s10
; %bb.3103:                             ;   in Loop: Header=BB4_2771 Depth=2
	v_mov_b32_e32 v101, v2
; %bb.3104:                             ;   in Loop: Header=BB4_2771 Depth=2
	s_or_b32 exec_lo, exec_lo, s10
.LBB4_3105:                             ;   in Loop: Header=BB4_2771 Depth=2
	s_delay_alu instid0(SALU_CYCLE_1)
	s_or_b32 exec_lo, exec_lo, s41
                                        ; implicit-def: $vgpr2
.LBB4_3106:                             ;   in Loop: Header=BB4_2771 Depth=2
	s_and_not1_saveexec_b32 s10, s40
; %bb.3107:                             ;   in Loop: Header=BB4_2771 Depth=2
	v_or_b32_e32 v101, 0x7e, v2
; %bb.3108:                             ;   in Loop: Header=BB4_2771 Depth=2
	s_or_b32 exec_lo, exec_lo, s10
                                        ; implicit-def: $vgpr2
.LBB4_3109:                             ;   in Loop: Header=BB4_2771 Depth=2
	s_and_not1_saveexec_b32 s10, s11
; %bb.3110:                             ;   in Loop: Header=BB4_2771 Depth=2
	v_or_b32_e32 v101, 0x7f, v2
; %bb.3111:                             ;   in Loop: Header=BB4_2771 Depth=2
	s_or_b32 exec_lo, exec_lo, s10
	flat_load_u8 v2, v[10:11] offset:384 th:TH_LOAD_NT
	v_mov_b32_e32 v3, 0
	s_mov_b32 s10, exec_lo
	s_wait_loadcnt_dscnt 0x0
	v_cmpx_ne_u16_e32 0, v2
	s_cbranch_execz .LBB4_3119
; %bb.3112:                             ;   in Loop: Header=BB4_2771 Depth=2
	v_bfrev_b32_e32 v3, 1
	s_mov_b32 s11, exec_lo
	v_cmpx_ne_u16_e32 0x80, v2
	s_cbranch_execz .LBB4_3118
; %bb.3113:                             ;   in Loop: Header=BB4_2771 Depth=2
	v_and_b32_e32 v17, 0xffff, v2
	v_mov_b32_e32 v3, 0x7f800001
	s_mov_b32 s40, exec_lo
	s_delay_alu instid0(VALU_DEP_2) | instskip(NEXT) | instid1(VALU_DEP_1)
	v_and_b32_e32 v16, 0x7f, v17
	v_cmpx_ne_u32_e32 0x7f, v16
	s_cbranch_execz .LBB4_3117
; %bb.3114:                             ;   in Loop: Header=BB4_2771 Depth=2
	v_dual_lshrrev_b32 v3, 3, v16 :: v_dual_bitop2_b32 v38, 7, v17 bitop3:0x40
	v_cmp_gt_u32_e32 vcc_lo, 8, v16
	s_delay_alu instid0(VALU_DEP_2)
	v_mov_b64_e32 v[16:17], v[38:39]
	s_and_saveexec_b32 s41, vcc_lo
; %bb.3115:                             ;   in Loop: Header=BB4_2771 Depth=2
	v_clz_i32_u32_e32 v3, v38
	s_delay_alu instid0(VALU_DEP_1) | instskip(NEXT) | instid1(VALU_DEP_1)
	v_min_u32_e32 v3, 32, v3
	v_subrev_nc_u32_e32 v16, 28, v3
	s_delay_alu instid0(VALU_DEP_1) | instskip(NEXT) | instid1(VALU_DEP_1)
	v_lshlrev_b64_e32 v[16:17], v16, v[38:39]
	v_dual_sub_nc_u32 v3, 29, v3 :: v_dual_bitop2_b32 v16, 7, v16 bitop3:0x40
; %bb.3116:                             ;   in Loop: Header=BB4_2771 Depth=2
	s_or_b32 exec_lo, exec_lo, s41
	s_delay_alu instid0(VALU_DEP_1) | instskip(NEXT) | instid1(VALU_DEP_2)
	v_dual_lshlrev_b32 v2, 24, v2 :: v_dual_lshlrev_b32 v16, 20, v16
	v_lshl_add_u32 v3, v3, 23, 0x3c000000
	s_delay_alu instid0(VALU_DEP_2) | instskip(NEXT) | instid1(VALU_DEP_1)
	v_and_b32_e32 v2, 0x80000000, v2
	v_or3_b32 v3, v16, v2, v3
.LBB4_3117:                             ;   in Loop: Header=BB4_2771 Depth=2
	s_or_b32 exec_lo, exec_lo, s40
.LBB4_3118:                             ;   in Loop: Header=BB4_2771 Depth=2
	s_delay_alu instid0(SALU_CYCLE_1)
	s_or_b32 exec_lo, exec_lo, s11
.LBB4_3119:                             ;   in Loop: Header=BB4_2771 Depth=2
	s_delay_alu instid0(SALU_CYCLE_1) | instskip(NEXT) | instid1(VALU_DEP_1)
	s_or_b32 exec_lo, exec_lo, s10
	v_mul_f32_e32 v3, s29, v3
                                        ; implicit-def: $vgpr100
	s_mov_b32 s10, exec_lo
	s_delay_alu instid0(VALU_DEP_1) | instskip(SKIP_1) | instid1(VALU_DEP_2)
	v_and_b32_e32 v38, 0x7f800000, v3
	v_lshrrev_b32_e32 v2, 24, v3
	v_cmpx_ne_u64_e32 0x7f800000, v[38:39]
	s_xor_b32 s11, exec_lo, s10
	s_cbranch_execz .LBB4_3137
; %bb.3120:                             ;   in Loop: Header=BB4_2771 Depth=2
	v_and_b32_e32 v38, 0x7fffffff, v3
	v_and_b32_e32 v2, 0x80, v2
                                        ; implicit-def: $vgpr100
	s_mov_b32 s10, exec_lo
	s_delay_alu instid0(VALU_DEP_2)
	v_cmpx_gt_u64_e32 0x43e00001, v[38:39]
	s_xor_b32 s40, exec_lo, s10
	s_cbranch_execz .LBB4_3134
; %bb.3121:                             ;   in Loop: Header=BB4_2771 Depth=2
	v_mov_b32_e32 v100, 0
	s_mov_b32 s41, exec_lo
	v_cmpx_ne_u32_e32 0, v3
	s_cbranch_execz .LBB4_3133
; %bb.3122:                             ;   in Loop: Header=BB4_2771 Depth=2
	v_bfe_u32 v84, v3, 23, 8
	v_and_b32_e32 v3, 0x7fffff, v3
	s_delay_alu instid0(VALU_DEP_2) | instskip(SKIP_1) | instid1(VALU_DEP_3)
	v_sub_nc_u32_e32 v16, 0x79, v84
	v_cmp_gt_u32_e32 vcc_lo, 0x7a, v84
	v_or_b32_e32 v20, 0x800000, v3
	s_delay_alu instid0(VALU_DEP_3) | instskip(SKIP_1) | instid1(VALU_DEP_2)
	v_cndmask_b32_e32 v16, 0, v16, vcc_lo
	v_cmp_eq_u32_e32 vcc_lo, 0, v84
	v_cndmask_b32_e64 v85, v16, 0x78, vcc_lo
	s_delay_alu instid0(VALU_DEP_1) | instskip(SKIP_1) | instid1(VALU_DEP_2)
	v_dual_cndmask_b32 v38, v20, v3, vcc_lo :: v_dual_add_nc_u32 v16, 20, v85
	v_add_nc_u32_e32 v21, 19, v85
	v_lshlrev_b64_e64 v[16:17], v16, -1
	s_delay_alu instid0(VALU_DEP_2) | instskip(NEXT) | instid1(VALU_DEP_2)
	v_lshlrev_b64_e64 v[20:21], v21, 1
	v_bfi_b32 v83, v17, 0, 0
	s_delay_alu instid0(VALU_DEP_3) | instskip(SKIP_1) | instid1(VALU_DEP_2)
	v_bfi_b32 v82, v16, 0, v38
	v_lshrrev_b64 v[16:17], v85, v[38:39]
	v_cmp_eq_u64_e64 s10, v[82:83], v[20:21]
	s_delay_alu instid0(VALU_DEP_2)
	v_mov_b64_e32 v[82:83], v[16:17]
	s_and_saveexec_b32 s42, s10
; %bb.3123:                             ;   in Loop: Header=BB4_2771 Depth=2
	v_bfe_u32 v38, v16, 20, 1
	s_delay_alu instid0(VALU_DEP_1) | instskip(NEXT) | instid1(VALU_DEP_1)
	v_add_nc_u64_e32 v[20:21], v[16:17], v[38:39]
	v_add_nc_u64_e32 v[82:83], -1, v[20:21]
; %bb.3124:                             ;   in Loop: Header=BB4_2771 Depth=2
	s_or_b32 exec_lo, exec_lo, s42
	v_add_nc_u32_e32 v3, 0xffffff81, v84
	v_lshrrev_b32_e32 v17, 23, v16
	s_mov_b32 s10, exec_lo
	s_delay_alu instid0(VALU_DEP_2) | instskip(NEXT) | instid1(VALU_DEP_1)
	v_cndmask_b32_e64 v3, v3, 0xffffff82, vcc_lo
	v_add3_u32 v83, v85, v3, v17
	v_and_b32_e32 v3, 0xfffff, v82
	s_delay_alu instid0(VALU_DEP_1) | instskip(NEXT) | instid1(VALU_DEP_1)
	v_dual_add_nc_u32 v82, 6, v83 :: v_dual_add_nc_u32 v38, v3, v16
                                        ; implicit-def: $vgpr16_vgpr17
                                        ; implicit-def: $vgpr3
	v_cmpx_ne_u32_e32 0, v82
	s_xor_b32 s10, exec_lo, s10
; %bb.3125:                             ;   in Loop: Header=BB4_2771 Depth=2
	s_delay_alu instid0(VALU_DEP_2) | instskip(SKIP_2) | instid1(VALU_DEP_2)
	v_cmp_lt_u64_e32 vcc_lo, 0xffffff, v[38:39]
	v_add_nc_u32_e32 v3, 7, v83
	v_cndmask_b32_e64 v16, 0, 1, vcc_lo
	v_cndmask_b32_e32 v3, v82, v3, vcc_lo
	s_delay_alu instid0(VALU_DEP_2)
	v_lshrrev_b64 v[16:17], v16, v[38:39]
; %bb.3126:                             ;   in Loop: Header=BB4_2771 Depth=2
	s_and_not1_saveexec_b32 s10, s10
; %bb.3127:                             ;   in Loop: Header=BB4_2771 Depth=2
	v_mov_b64_e32 v[16:17], v[38:39]
	v_bfe_u32 v3, v38, 23, 1
; %bb.3128:                             ;   in Loop: Header=BB4_2771 Depth=2
	s_or_b32 exec_lo, exec_lo, s10
	s_delay_alu instid0(VALU_DEP_2) | instskip(NEXT) | instid1(VALU_DEP_2)
	v_lshrrev_b64 v[16:17], 20, v[16:17]
	v_cmp_gt_i32_e32 vcc_lo, 16, v3
	v_cmp_ne_u32_e64 s10, 0, v3
                                        ; implicit-def: $vgpr100
	s_delay_alu instid0(VALU_DEP_3) | instskip(NEXT) | instid1(VALU_DEP_1)
	v_dual_cndmask_b32 v17, 0, v17 :: v_dual_cndmask_b32 v16, 7, v16
	v_cmp_ne_u64_e32 vcc_lo, 0, v[16:17]
	s_or_b32 s10, s10, vcc_lo
	s_delay_alu instid0(SALU_CYCLE_1) | instskip(NEXT) | instid1(SALU_CYCLE_1)
	s_and_saveexec_b32 s42, s10
	s_xor_b32 s10, exec_lo, s42
; %bb.3129:                             ;   in Loop: Header=BB4_2771 Depth=2
	v_min_i32_e32 v3, 15, v3
	s_delay_alu instid0(VALU_DEP_1) | instskip(NEXT) | instid1(VALU_DEP_1)
	v_lshl_or_b32 v2, v3, 3, v2
	v_and_or_b32 v100, v16, 7, v2
                                        ; implicit-def: $vgpr2
; %bb.3130:                             ;   in Loop: Header=BB4_2771 Depth=2
	s_and_not1_saveexec_b32 s10, s10
; %bb.3131:                             ;   in Loop: Header=BB4_2771 Depth=2
	v_mov_b32_e32 v100, v2
; %bb.3132:                             ;   in Loop: Header=BB4_2771 Depth=2
	s_or_b32 exec_lo, exec_lo, s10
.LBB4_3133:                             ;   in Loop: Header=BB4_2771 Depth=2
	s_delay_alu instid0(SALU_CYCLE_1)
	s_or_b32 exec_lo, exec_lo, s41
                                        ; implicit-def: $vgpr2
.LBB4_3134:                             ;   in Loop: Header=BB4_2771 Depth=2
	s_and_not1_saveexec_b32 s10, s40
; %bb.3135:                             ;   in Loop: Header=BB4_2771 Depth=2
	v_or_b32_e32 v100, 0x7e, v2
; %bb.3136:                             ;   in Loop: Header=BB4_2771 Depth=2
	s_or_b32 exec_lo, exec_lo, s10
                                        ; implicit-def: $vgpr2
.LBB4_3137:                             ;   in Loop: Header=BB4_2771 Depth=2
	s_and_not1_saveexec_b32 s10, s11
; %bb.3138:                             ;   in Loop: Header=BB4_2771 Depth=2
	v_or_b32_e32 v100, 0x7f, v2
; %bb.3139:                             ;   in Loop: Header=BB4_2771 Depth=2
	s_or_b32 exec_lo, exec_lo, s10
	flat_load_u8 v2, v[10:11] offset:416 th:TH_LOAD_NT
	v_mov_b32_e32 v3, 0
	s_mov_b32 s10, exec_lo
	s_wait_loadcnt_dscnt 0x0
	v_cmpx_ne_u16_e32 0, v2
	s_cbranch_execz .LBB4_3147
; %bb.3140:                             ;   in Loop: Header=BB4_2771 Depth=2
	v_bfrev_b32_e32 v3, 1
	s_mov_b32 s11, exec_lo
	v_cmpx_ne_u16_e32 0x80, v2
	s_cbranch_execz .LBB4_3146
; %bb.3141:                             ;   in Loop: Header=BB4_2771 Depth=2
	v_and_b32_e32 v17, 0xffff, v2
	v_mov_b32_e32 v3, 0x7f800001
	s_mov_b32 s40, exec_lo
	s_delay_alu instid0(VALU_DEP_2) | instskip(NEXT) | instid1(VALU_DEP_1)
	v_and_b32_e32 v16, 0x7f, v17
	v_cmpx_ne_u32_e32 0x7f, v16
	s_cbranch_execz .LBB4_3145
; %bb.3142:                             ;   in Loop: Header=BB4_2771 Depth=2
	v_dual_lshrrev_b32 v3, 3, v16 :: v_dual_bitop2_b32 v38, 7, v17 bitop3:0x40
	v_cmp_gt_u32_e32 vcc_lo, 8, v16
	s_delay_alu instid0(VALU_DEP_2)
	v_mov_b64_e32 v[16:17], v[38:39]
	s_and_saveexec_b32 s41, vcc_lo
; %bb.3143:                             ;   in Loop: Header=BB4_2771 Depth=2
	v_clz_i32_u32_e32 v3, v38
	s_delay_alu instid0(VALU_DEP_1) | instskip(NEXT) | instid1(VALU_DEP_1)
	v_min_u32_e32 v3, 32, v3
	v_subrev_nc_u32_e32 v16, 28, v3
	s_delay_alu instid0(VALU_DEP_1) | instskip(NEXT) | instid1(VALU_DEP_1)
	v_lshlrev_b64_e32 v[16:17], v16, v[38:39]
	v_dual_sub_nc_u32 v3, 29, v3 :: v_dual_bitop2_b32 v16, 7, v16 bitop3:0x40
; %bb.3144:                             ;   in Loop: Header=BB4_2771 Depth=2
	s_or_b32 exec_lo, exec_lo, s41
	s_delay_alu instid0(VALU_DEP_1) | instskip(NEXT) | instid1(VALU_DEP_2)
	v_dual_lshlrev_b32 v2, 24, v2 :: v_dual_lshlrev_b32 v16, 20, v16
	v_lshl_add_u32 v3, v3, 23, 0x3c000000
	s_delay_alu instid0(VALU_DEP_2) | instskip(NEXT) | instid1(VALU_DEP_1)
	v_and_b32_e32 v2, 0x80000000, v2
	v_or3_b32 v3, v16, v2, v3
.LBB4_3145:                             ;   in Loop: Header=BB4_2771 Depth=2
	s_or_b32 exec_lo, exec_lo, s40
.LBB4_3146:                             ;   in Loop: Header=BB4_2771 Depth=2
	s_delay_alu instid0(SALU_CYCLE_1)
	s_or_b32 exec_lo, exec_lo, s11
.LBB4_3147:                             ;   in Loop: Header=BB4_2771 Depth=2
	s_delay_alu instid0(SALU_CYCLE_1) | instskip(NEXT) | instid1(VALU_DEP_1)
	s_or_b32 exec_lo, exec_lo, s10
	v_mul_f32_e32 v3, s29, v3
                                        ; implicit-def: $vgpr99
	s_mov_b32 s10, exec_lo
	s_delay_alu instid0(VALU_DEP_1) | instskip(SKIP_1) | instid1(VALU_DEP_2)
	v_and_b32_e32 v38, 0x7f800000, v3
	v_lshrrev_b32_e32 v2, 24, v3
	v_cmpx_ne_u64_e32 0x7f800000, v[38:39]
	s_xor_b32 s11, exec_lo, s10
	s_cbranch_execz .LBB4_3165
; %bb.3148:                             ;   in Loop: Header=BB4_2771 Depth=2
	v_and_b32_e32 v38, 0x7fffffff, v3
	v_and_b32_e32 v2, 0x80, v2
                                        ; implicit-def: $vgpr99
	s_mov_b32 s10, exec_lo
	s_delay_alu instid0(VALU_DEP_2)
	v_cmpx_gt_u64_e32 0x43e00001, v[38:39]
	s_xor_b32 s40, exec_lo, s10
	s_cbranch_execz .LBB4_3162
; %bb.3149:                             ;   in Loop: Header=BB4_2771 Depth=2
	v_mov_b32_e32 v99, 0
	s_mov_b32 s41, exec_lo
	v_cmpx_ne_u32_e32 0, v3
	s_cbranch_execz .LBB4_3161
; %bb.3150:                             ;   in Loop: Header=BB4_2771 Depth=2
	v_bfe_u32 v84, v3, 23, 8
	v_and_b32_e32 v3, 0x7fffff, v3
	s_delay_alu instid0(VALU_DEP_2) | instskip(SKIP_1) | instid1(VALU_DEP_3)
	v_sub_nc_u32_e32 v16, 0x79, v84
	v_cmp_gt_u32_e32 vcc_lo, 0x7a, v84
	v_or_b32_e32 v20, 0x800000, v3
	s_delay_alu instid0(VALU_DEP_3) | instskip(SKIP_1) | instid1(VALU_DEP_2)
	v_cndmask_b32_e32 v16, 0, v16, vcc_lo
	v_cmp_eq_u32_e32 vcc_lo, 0, v84
	v_cndmask_b32_e64 v85, v16, 0x78, vcc_lo
	s_delay_alu instid0(VALU_DEP_1) | instskip(SKIP_1) | instid1(VALU_DEP_2)
	v_dual_cndmask_b32 v38, v20, v3, vcc_lo :: v_dual_add_nc_u32 v16, 20, v85
	v_add_nc_u32_e32 v21, 19, v85
	v_lshlrev_b64_e64 v[16:17], v16, -1
	s_delay_alu instid0(VALU_DEP_2) | instskip(NEXT) | instid1(VALU_DEP_2)
	v_lshlrev_b64_e64 v[20:21], v21, 1
	v_bfi_b32 v83, v17, 0, 0
	s_delay_alu instid0(VALU_DEP_3) | instskip(SKIP_1) | instid1(VALU_DEP_2)
	v_bfi_b32 v82, v16, 0, v38
	v_lshrrev_b64 v[16:17], v85, v[38:39]
	v_cmp_eq_u64_e64 s10, v[82:83], v[20:21]
	s_delay_alu instid0(VALU_DEP_2)
	v_mov_b64_e32 v[82:83], v[16:17]
	s_and_saveexec_b32 s42, s10
; %bb.3151:                             ;   in Loop: Header=BB4_2771 Depth=2
	v_bfe_u32 v38, v16, 20, 1
	s_delay_alu instid0(VALU_DEP_1) | instskip(NEXT) | instid1(VALU_DEP_1)
	v_add_nc_u64_e32 v[20:21], v[16:17], v[38:39]
	v_add_nc_u64_e32 v[82:83], -1, v[20:21]
; %bb.3152:                             ;   in Loop: Header=BB4_2771 Depth=2
	s_or_b32 exec_lo, exec_lo, s42
	v_add_nc_u32_e32 v3, 0xffffff81, v84
	v_lshrrev_b32_e32 v17, 23, v16
	s_mov_b32 s10, exec_lo
	s_delay_alu instid0(VALU_DEP_2) | instskip(NEXT) | instid1(VALU_DEP_1)
	v_cndmask_b32_e64 v3, v3, 0xffffff82, vcc_lo
	v_add3_u32 v83, v85, v3, v17
	v_and_b32_e32 v3, 0xfffff, v82
	s_delay_alu instid0(VALU_DEP_1) | instskip(NEXT) | instid1(VALU_DEP_1)
	v_dual_add_nc_u32 v82, 6, v83 :: v_dual_add_nc_u32 v38, v3, v16
                                        ; implicit-def: $vgpr16_vgpr17
                                        ; implicit-def: $vgpr3
	v_cmpx_ne_u32_e32 0, v82
	s_xor_b32 s10, exec_lo, s10
; %bb.3153:                             ;   in Loop: Header=BB4_2771 Depth=2
	s_delay_alu instid0(VALU_DEP_2) | instskip(SKIP_2) | instid1(VALU_DEP_2)
	v_cmp_lt_u64_e32 vcc_lo, 0xffffff, v[38:39]
	v_add_nc_u32_e32 v3, 7, v83
	v_cndmask_b32_e64 v16, 0, 1, vcc_lo
	v_cndmask_b32_e32 v3, v82, v3, vcc_lo
	s_delay_alu instid0(VALU_DEP_2)
	v_lshrrev_b64 v[16:17], v16, v[38:39]
; %bb.3154:                             ;   in Loop: Header=BB4_2771 Depth=2
	s_and_not1_saveexec_b32 s10, s10
; %bb.3155:                             ;   in Loop: Header=BB4_2771 Depth=2
	v_mov_b64_e32 v[16:17], v[38:39]
	v_bfe_u32 v3, v38, 23, 1
; %bb.3156:                             ;   in Loop: Header=BB4_2771 Depth=2
	s_or_b32 exec_lo, exec_lo, s10
	s_delay_alu instid0(VALU_DEP_2) | instskip(NEXT) | instid1(VALU_DEP_2)
	v_lshrrev_b64 v[16:17], 20, v[16:17]
	v_cmp_gt_i32_e32 vcc_lo, 16, v3
	v_cmp_ne_u32_e64 s10, 0, v3
                                        ; implicit-def: $vgpr99
	s_delay_alu instid0(VALU_DEP_3) | instskip(NEXT) | instid1(VALU_DEP_1)
	v_dual_cndmask_b32 v17, 0, v17 :: v_dual_cndmask_b32 v16, 7, v16
	v_cmp_ne_u64_e32 vcc_lo, 0, v[16:17]
	s_or_b32 s10, s10, vcc_lo
	s_delay_alu instid0(SALU_CYCLE_1) | instskip(NEXT) | instid1(SALU_CYCLE_1)
	s_and_saveexec_b32 s42, s10
	s_xor_b32 s10, exec_lo, s42
; %bb.3157:                             ;   in Loop: Header=BB4_2771 Depth=2
	v_min_i32_e32 v3, 15, v3
	s_delay_alu instid0(VALU_DEP_1) | instskip(NEXT) | instid1(VALU_DEP_1)
	v_lshl_or_b32 v2, v3, 3, v2
	v_and_or_b32 v99, v16, 7, v2
                                        ; implicit-def: $vgpr2
; %bb.3158:                             ;   in Loop: Header=BB4_2771 Depth=2
	s_and_not1_saveexec_b32 s10, s10
; %bb.3159:                             ;   in Loop: Header=BB4_2771 Depth=2
	v_mov_b32_e32 v99, v2
; %bb.3160:                             ;   in Loop: Header=BB4_2771 Depth=2
	s_or_b32 exec_lo, exec_lo, s10
.LBB4_3161:                             ;   in Loop: Header=BB4_2771 Depth=2
	s_delay_alu instid0(SALU_CYCLE_1)
	s_or_b32 exec_lo, exec_lo, s41
                                        ; implicit-def: $vgpr2
.LBB4_3162:                             ;   in Loop: Header=BB4_2771 Depth=2
	s_and_not1_saveexec_b32 s10, s40
; %bb.3163:                             ;   in Loop: Header=BB4_2771 Depth=2
	v_or_b32_e32 v99, 0x7e, v2
; %bb.3164:                             ;   in Loop: Header=BB4_2771 Depth=2
	s_or_b32 exec_lo, exec_lo, s10
                                        ; implicit-def: $vgpr2
.LBB4_3165:                             ;   in Loop: Header=BB4_2771 Depth=2
	s_and_not1_saveexec_b32 s10, s11
; %bb.3166:                             ;   in Loop: Header=BB4_2771 Depth=2
	v_or_b32_e32 v99, 0x7f, v2
; %bb.3167:                             ;   in Loop: Header=BB4_2771 Depth=2
	s_or_b32 exec_lo, exec_lo, s10
	flat_load_u8 v2, v[10:11] offset:448 th:TH_LOAD_NT
	v_mov_b32_e32 v3, 0
	s_mov_b32 s10, exec_lo
	s_wait_loadcnt_dscnt 0x0
	v_cmpx_ne_u16_e32 0, v2
	s_cbranch_execz .LBB4_3175
; %bb.3168:                             ;   in Loop: Header=BB4_2771 Depth=2
	v_bfrev_b32_e32 v3, 1
	s_mov_b32 s11, exec_lo
	v_cmpx_ne_u16_e32 0x80, v2
	s_cbranch_execz .LBB4_3174
; %bb.3169:                             ;   in Loop: Header=BB4_2771 Depth=2
	v_and_b32_e32 v17, 0xffff, v2
	v_mov_b32_e32 v3, 0x7f800001
	s_mov_b32 s40, exec_lo
	s_delay_alu instid0(VALU_DEP_2) | instskip(NEXT) | instid1(VALU_DEP_1)
	v_and_b32_e32 v16, 0x7f, v17
	v_cmpx_ne_u32_e32 0x7f, v16
	s_cbranch_execz .LBB4_3173
; %bb.3170:                             ;   in Loop: Header=BB4_2771 Depth=2
	v_dual_lshrrev_b32 v3, 3, v16 :: v_dual_bitop2_b32 v38, 7, v17 bitop3:0x40
	v_cmp_gt_u32_e32 vcc_lo, 8, v16
	s_delay_alu instid0(VALU_DEP_2)
	v_mov_b64_e32 v[16:17], v[38:39]
	s_and_saveexec_b32 s41, vcc_lo
; %bb.3171:                             ;   in Loop: Header=BB4_2771 Depth=2
	v_clz_i32_u32_e32 v3, v38
	s_delay_alu instid0(VALU_DEP_1) | instskip(NEXT) | instid1(VALU_DEP_1)
	v_min_u32_e32 v3, 32, v3
	v_subrev_nc_u32_e32 v16, 28, v3
	s_delay_alu instid0(VALU_DEP_1) | instskip(NEXT) | instid1(VALU_DEP_1)
	v_lshlrev_b64_e32 v[16:17], v16, v[38:39]
	v_dual_sub_nc_u32 v3, 29, v3 :: v_dual_bitop2_b32 v16, 7, v16 bitop3:0x40
; %bb.3172:                             ;   in Loop: Header=BB4_2771 Depth=2
	s_or_b32 exec_lo, exec_lo, s41
	s_delay_alu instid0(VALU_DEP_1) | instskip(NEXT) | instid1(VALU_DEP_2)
	v_dual_lshlrev_b32 v2, 24, v2 :: v_dual_lshlrev_b32 v16, 20, v16
	v_lshl_add_u32 v3, v3, 23, 0x3c000000
	s_delay_alu instid0(VALU_DEP_2) | instskip(NEXT) | instid1(VALU_DEP_1)
	v_and_b32_e32 v2, 0x80000000, v2
	v_or3_b32 v3, v16, v2, v3
.LBB4_3173:                             ;   in Loop: Header=BB4_2771 Depth=2
	s_or_b32 exec_lo, exec_lo, s40
.LBB4_3174:                             ;   in Loop: Header=BB4_2771 Depth=2
	s_delay_alu instid0(SALU_CYCLE_1)
	s_or_b32 exec_lo, exec_lo, s11
.LBB4_3175:                             ;   in Loop: Header=BB4_2771 Depth=2
	s_delay_alu instid0(SALU_CYCLE_1) | instskip(NEXT) | instid1(VALU_DEP_1)
	s_or_b32 exec_lo, exec_lo, s10
	v_mul_f32_e32 v3, s29, v3
                                        ; implicit-def: $vgpr97
	s_mov_b32 s10, exec_lo
	s_delay_alu instid0(VALU_DEP_1) | instskip(SKIP_1) | instid1(VALU_DEP_2)
	v_and_b32_e32 v38, 0x7f800000, v3
	v_lshrrev_b32_e32 v2, 24, v3
	v_cmpx_ne_u64_e32 0x7f800000, v[38:39]
	s_xor_b32 s11, exec_lo, s10
	s_cbranch_execz .LBB4_3193
; %bb.3176:                             ;   in Loop: Header=BB4_2771 Depth=2
	v_and_b32_e32 v38, 0x7fffffff, v3
	v_and_b32_e32 v2, 0x80, v2
                                        ; implicit-def: $vgpr97
	s_mov_b32 s10, exec_lo
	s_delay_alu instid0(VALU_DEP_2)
	v_cmpx_gt_u64_e32 0x43e00001, v[38:39]
	s_xor_b32 s40, exec_lo, s10
	s_cbranch_execz .LBB4_3190
; %bb.3177:                             ;   in Loop: Header=BB4_2771 Depth=2
	v_mov_b32_e32 v97, 0
	s_mov_b32 s41, exec_lo
	v_cmpx_ne_u32_e32 0, v3
	s_cbranch_execz .LBB4_3189
; %bb.3178:                             ;   in Loop: Header=BB4_2771 Depth=2
	v_bfe_u32 v84, v3, 23, 8
	v_and_b32_e32 v3, 0x7fffff, v3
	s_delay_alu instid0(VALU_DEP_2) | instskip(SKIP_1) | instid1(VALU_DEP_3)
	v_sub_nc_u32_e32 v16, 0x79, v84
	v_cmp_gt_u32_e32 vcc_lo, 0x7a, v84
	v_or_b32_e32 v20, 0x800000, v3
	s_delay_alu instid0(VALU_DEP_3) | instskip(SKIP_1) | instid1(VALU_DEP_2)
	v_cndmask_b32_e32 v16, 0, v16, vcc_lo
	v_cmp_eq_u32_e32 vcc_lo, 0, v84
	v_cndmask_b32_e64 v85, v16, 0x78, vcc_lo
	s_delay_alu instid0(VALU_DEP_1) | instskip(SKIP_1) | instid1(VALU_DEP_2)
	v_dual_cndmask_b32 v38, v20, v3, vcc_lo :: v_dual_add_nc_u32 v16, 20, v85
	v_add_nc_u32_e32 v21, 19, v85
	v_lshlrev_b64_e64 v[16:17], v16, -1
	s_delay_alu instid0(VALU_DEP_2) | instskip(NEXT) | instid1(VALU_DEP_2)
	v_lshlrev_b64_e64 v[20:21], v21, 1
	v_bfi_b32 v83, v17, 0, 0
	s_delay_alu instid0(VALU_DEP_3) | instskip(SKIP_1) | instid1(VALU_DEP_2)
	v_bfi_b32 v82, v16, 0, v38
	v_lshrrev_b64 v[16:17], v85, v[38:39]
	v_cmp_eq_u64_e64 s10, v[82:83], v[20:21]
	s_delay_alu instid0(VALU_DEP_2)
	v_mov_b64_e32 v[82:83], v[16:17]
	s_and_saveexec_b32 s42, s10
; %bb.3179:                             ;   in Loop: Header=BB4_2771 Depth=2
	v_bfe_u32 v38, v16, 20, 1
	s_delay_alu instid0(VALU_DEP_1) | instskip(NEXT) | instid1(VALU_DEP_1)
	v_add_nc_u64_e32 v[20:21], v[16:17], v[38:39]
	v_add_nc_u64_e32 v[82:83], -1, v[20:21]
; %bb.3180:                             ;   in Loop: Header=BB4_2771 Depth=2
	s_or_b32 exec_lo, exec_lo, s42
	v_add_nc_u32_e32 v3, 0xffffff81, v84
	v_lshrrev_b32_e32 v17, 23, v16
	s_mov_b32 s10, exec_lo
	s_delay_alu instid0(VALU_DEP_2) | instskip(NEXT) | instid1(VALU_DEP_1)
	v_cndmask_b32_e64 v3, v3, 0xffffff82, vcc_lo
	v_add3_u32 v83, v85, v3, v17
	v_and_b32_e32 v3, 0xfffff, v82
	s_delay_alu instid0(VALU_DEP_1) | instskip(NEXT) | instid1(VALU_DEP_1)
	v_dual_add_nc_u32 v82, 6, v83 :: v_dual_add_nc_u32 v38, v3, v16
                                        ; implicit-def: $vgpr16_vgpr17
                                        ; implicit-def: $vgpr3
	v_cmpx_ne_u32_e32 0, v82
	s_xor_b32 s10, exec_lo, s10
; %bb.3181:                             ;   in Loop: Header=BB4_2771 Depth=2
	s_delay_alu instid0(VALU_DEP_2) | instskip(SKIP_2) | instid1(VALU_DEP_2)
	v_cmp_lt_u64_e32 vcc_lo, 0xffffff, v[38:39]
	v_add_nc_u32_e32 v3, 7, v83
	v_cndmask_b32_e64 v16, 0, 1, vcc_lo
	v_cndmask_b32_e32 v3, v82, v3, vcc_lo
	s_delay_alu instid0(VALU_DEP_2)
	v_lshrrev_b64 v[16:17], v16, v[38:39]
; %bb.3182:                             ;   in Loop: Header=BB4_2771 Depth=2
	s_and_not1_saveexec_b32 s10, s10
; %bb.3183:                             ;   in Loop: Header=BB4_2771 Depth=2
	v_mov_b64_e32 v[16:17], v[38:39]
	v_bfe_u32 v3, v38, 23, 1
; %bb.3184:                             ;   in Loop: Header=BB4_2771 Depth=2
	s_or_b32 exec_lo, exec_lo, s10
	s_delay_alu instid0(VALU_DEP_2) | instskip(NEXT) | instid1(VALU_DEP_2)
	v_lshrrev_b64 v[16:17], 20, v[16:17]
	v_cmp_gt_i32_e32 vcc_lo, 16, v3
	v_cmp_ne_u32_e64 s10, 0, v3
                                        ; implicit-def: $vgpr97
	s_delay_alu instid0(VALU_DEP_3) | instskip(NEXT) | instid1(VALU_DEP_1)
	v_dual_cndmask_b32 v17, 0, v17 :: v_dual_cndmask_b32 v16, 7, v16
	v_cmp_ne_u64_e32 vcc_lo, 0, v[16:17]
	s_or_b32 s10, s10, vcc_lo
	s_delay_alu instid0(SALU_CYCLE_1) | instskip(NEXT) | instid1(SALU_CYCLE_1)
	s_and_saveexec_b32 s42, s10
	s_xor_b32 s10, exec_lo, s42
; %bb.3185:                             ;   in Loop: Header=BB4_2771 Depth=2
	v_min_i32_e32 v3, 15, v3
	s_delay_alu instid0(VALU_DEP_1) | instskip(NEXT) | instid1(VALU_DEP_1)
	v_lshl_or_b32 v2, v3, 3, v2
	v_and_or_b32 v97, v16, 7, v2
                                        ; implicit-def: $vgpr2
; %bb.3186:                             ;   in Loop: Header=BB4_2771 Depth=2
	s_and_not1_saveexec_b32 s10, s10
; %bb.3187:                             ;   in Loop: Header=BB4_2771 Depth=2
	v_mov_b32_e32 v97, v2
; %bb.3188:                             ;   in Loop: Header=BB4_2771 Depth=2
	s_or_b32 exec_lo, exec_lo, s10
.LBB4_3189:                             ;   in Loop: Header=BB4_2771 Depth=2
	s_delay_alu instid0(SALU_CYCLE_1)
	s_or_b32 exec_lo, exec_lo, s41
                                        ; implicit-def: $vgpr2
.LBB4_3190:                             ;   in Loop: Header=BB4_2771 Depth=2
	s_and_not1_saveexec_b32 s10, s40
; %bb.3191:                             ;   in Loop: Header=BB4_2771 Depth=2
	v_or_b32_e32 v97, 0x7e, v2
; %bb.3192:                             ;   in Loop: Header=BB4_2771 Depth=2
	s_or_b32 exec_lo, exec_lo, s10
                                        ; implicit-def: $vgpr2
.LBB4_3193:                             ;   in Loop: Header=BB4_2771 Depth=2
	s_and_not1_saveexec_b32 s10, s11
; %bb.3194:                             ;   in Loop: Header=BB4_2771 Depth=2
	v_or_b32_e32 v97, 0x7f, v2
; %bb.3195:                             ;   in Loop: Header=BB4_2771 Depth=2
	s_or_b32 exec_lo, exec_lo, s10
	flat_load_u8 v2, v[10:11] offset:480 th:TH_LOAD_NT
	v_mov_b32_e32 v3, 0
	s_mov_b32 s10, exec_lo
	s_wait_loadcnt_dscnt 0x0
	v_cmpx_ne_u16_e32 0, v2
	s_cbranch_execz .LBB4_3203
; %bb.3196:                             ;   in Loop: Header=BB4_2771 Depth=2
	v_bfrev_b32_e32 v3, 1
	s_mov_b32 s11, exec_lo
	v_cmpx_ne_u16_e32 0x80, v2
	s_cbranch_execz .LBB4_3202
; %bb.3197:                             ;   in Loop: Header=BB4_2771 Depth=2
	v_and_b32_e32 v17, 0xffff, v2
	v_mov_b32_e32 v3, 0x7f800001
	s_mov_b32 s40, exec_lo
	s_delay_alu instid0(VALU_DEP_2) | instskip(NEXT) | instid1(VALU_DEP_1)
	v_and_b32_e32 v16, 0x7f, v17
	v_cmpx_ne_u32_e32 0x7f, v16
	s_cbranch_execz .LBB4_3201
; %bb.3198:                             ;   in Loop: Header=BB4_2771 Depth=2
	v_dual_lshrrev_b32 v3, 3, v16 :: v_dual_bitop2_b32 v38, 7, v17 bitop3:0x40
	v_cmp_gt_u32_e32 vcc_lo, 8, v16
	s_delay_alu instid0(VALU_DEP_2)
	v_mov_b64_e32 v[16:17], v[38:39]
	s_and_saveexec_b32 s41, vcc_lo
; %bb.3199:                             ;   in Loop: Header=BB4_2771 Depth=2
	v_clz_i32_u32_e32 v3, v38
	s_delay_alu instid0(VALU_DEP_1) | instskip(NEXT) | instid1(VALU_DEP_1)
	v_min_u32_e32 v3, 32, v3
	v_subrev_nc_u32_e32 v16, 28, v3
	s_delay_alu instid0(VALU_DEP_1) | instskip(NEXT) | instid1(VALU_DEP_1)
	v_lshlrev_b64_e32 v[16:17], v16, v[38:39]
	v_dual_sub_nc_u32 v3, 29, v3 :: v_dual_bitop2_b32 v16, 7, v16 bitop3:0x40
; %bb.3200:                             ;   in Loop: Header=BB4_2771 Depth=2
	s_or_b32 exec_lo, exec_lo, s41
	s_delay_alu instid0(VALU_DEP_1) | instskip(NEXT) | instid1(VALU_DEP_2)
	v_dual_lshlrev_b32 v2, 24, v2 :: v_dual_lshlrev_b32 v16, 20, v16
	v_lshl_add_u32 v3, v3, 23, 0x3c000000
	s_delay_alu instid0(VALU_DEP_2) | instskip(NEXT) | instid1(VALU_DEP_1)
	v_and_b32_e32 v2, 0x80000000, v2
	v_or3_b32 v3, v16, v2, v3
.LBB4_3201:                             ;   in Loop: Header=BB4_2771 Depth=2
	s_or_b32 exec_lo, exec_lo, s40
.LBB4_3202:                             ;   in Loop: Header=BB4_2771 Depth=2
	s_delay_alu instid0(SALU_CYCLE_1)
	s_or_b32 exec_lo, exec_lo, s11
.LBB4_3203:                             ;   in Loop: Header=BB4_2771 Depth=2
	s_delay_alu instid0(SALU_CYCLE_1) | instskip(NEXT) | instid1(VALU_DEP_1)
	s_or_b32 exec_lo, exec_lo, s10
	v_mul_f32_e32 v3, s29, v3
                                        ; implicit-def: $vgpr84
	s_mov_b32 s10, exec_lo
	s_delay_alu instid0(VALU_DEP_1) | instskip(SKIP_1) | instid1(VALU_DEP_2)
	v_and_b32_e32 v38, 0x7f800000, v3
	v_lshrrev_b32_e32 v2, 24, v3
	v_cmpx_ne_u64_e32 0x7f800000, v[38:39]
	s_xor_b32 s11, exec_lo, s10
	s_cbranch_execz .LBB4_3221
; %bb.3204:                             ;   in Loop: Header=BB4_2771 Depth=2
	v_and_b32_e32 v38, 0x7fffffff, v3
	v_and_b32_e32 v2, 0x80, v2
                                        ; implicit-def: $vgpr84
	s_mov_b32 s10, exec_lo
	s_delay_alu instid0(VALU_DEP_2)
	v_cmpx_gt_u64_e32 0x43e00001, v[38:39]
	s_xor_b32 s29, exec_lo, s10
	s_cbranch_execz .LBB4_3218
; %bb.3205:                             ;   in Loop: Header=BB4_2771 Depth=2
	v_mov_b32_e32 v84, 0
	s_mov_b32 s40, exec_lo
	v_cmpx_ne_u32_e32 0, v3
	s_cbranch_execz .LBB4_3217
; %bb.3206:                             ;   in Loop: Header=BB4_2771 Depth=2
	v_bfe_u32 v84, v3, 23, 8
	v_and_b32_e32 v3, 0x7fffff, v3
	s_delay_alu instid0(VALU_DEP_2) | instskip(SKIP_1) | instid1(VALU_DEP_3)
	v_sub_nc_u32_e32 v16, 0x79, v84
	v_cmp_gt_u32_e32 vcc_lo, 0x7a, v84
	v_or_b32_e32 v20, 0x800000, v3
	s_delay_alu instid0(VALU_DEP_3) | instskip(SKIP_1) | instid1(VALU_DEP_2)
	v_cndmask_b32_e32 v16, 0, v16, vcc_lo
	v_cmp_eq_u32_e32 vcc_lo, 0, v84
	v_cndmask_b32_e64 v85, v16, 0x78, vcc_lo
	s_delay_alu instid0(VALU_DEP_1) | instskip(SKIP_1) | instid1(VALU_DEP_2)
	v_dual_cndmask_b32 v38, v20, v3, vcc_lo :: v_dual_add_nc_u32 v16, 20, v85
	v_add_nc_u32_e32 v21, 19, v85
	v_lshlrev_b64_e64 v[16:17], v16, -1
	s_delay_alu instid0(VALU_DEP_2) | instskip(NEXT) | instid1(VALU_DEP_2)
	v_lshlrev_b64_e64 v[20:21], v21, 1
	v_bfi_b32 v83, v17, 0, 0
	s_delay_alu instid0(VALU_DEP_3) | instskip(SKIP_1) | instid1(VALU_DEP_2)
	v_bfi_b32 v82, v16, 0, v38
	v_lshrrev_b64 v[16:17], v85, v[38:39]
	v_cmp_eq_u64_e64 s10, v[82:83], v[20:21]
	s_delay_alu instid0(VALU_DEP_2)
	v_mov_b64_e32 v[82:83], v[16:17]
	s_and_saveexec_b32 s41, s10
; %bb.3207:                             ;   in Loop: Header=BB4_2771 Depth=2
	v_bfe_u32 v38, v16, 20, 1
	s_delay_alu instid0(VALU_DEP_1) | instskip(NEXT) | instid1(VALU_DEP_1)
	v_add_nc_u64_e32 v[20:21], v[16:17], v[38:39]
	v_add_nc_u64_e32 v[82:83], -1, v[20:21]
; %bb.3208:                             ;   in Loop: Header=BB4_2771 Depth=2
	s_or_b32 exec_lo, exec_lo, s41
	v_add_nc_u32_e32 v3, 0xffffff81, v84
	v_lshrrev_b32_e32 v17, 23, v16
	s_mov_b32 s10, exec_lo
	s_delay_alu instid0(VALU_DEP_2) | instskip(NEXT) | instid1(VALU_DEP_1)
	v_cndmask_b32_e64 v3, v3, 0xffffff82, vcc_lo
	v_add3_u32 v83, v85, v3, v17
	v_and_b32_e32 v3, 0xfffff, v82
	s_delay_alu instid0(VALU_DEP_1) | instskip(NEXT) | instid1(VALU_DEP_1)
	v_dual_add_nc_u32 v82, 6, v83 :: v_dual_add_nc_u32 v38, v3, v16
                                        ; implicit-def: $vgpr16_vgpr17
                                        ; implicit-def: $vgpr3
	v_cmpx_ne_u32_e32 0, v82
	s_xor_b32 s10, exec_lo, s10
; %bb.3209:                             ;   in Loop: Header=BB4_2771 Depth=2
	s_delay_alu instid0(VALU_DEP_2) | instskip(SKIP_2) | instid1(VALU_DEP_2)
	v_cmp_lt_u64_e32 vcc_lo, 0xffffff, v[38:39]
	v_add_nc_u32_e32 v3, 7, v83
	v_cndmask_b32_e64 v16, 0, 1, vcc_lo
	v_cndmask_b32_e32 v3, v82, v3, vcc_lo
	s_delay_alu instid0(VALU_DEP_2)
	v_lshrrev_b64 v[16:17], v16, v[38:39]
; %bb.3210:                             ;   in Loop: Header=BB4_2771 Depth=2
	s_and_not1_saveexec_b32 s10, s10
; %bb.3211:                             ;   in Loop: Header=BB4_2771 Depth=2
	v_mov_b64_e32 v[16:17], v[38:39]
	v_bfe_u32 v3, v38, 23, 1
; %bb.3212:                             ;   in Loop: Header=BB4_2771 Depth=2
	s_or_b32 exec_lo, exec_lo, s10
	s_delay_alu instid0(VALU_DEP_2) | instskip(NEXT) | instid1(VALU_DEP_2)
	v_lshrrev_b64 v[16:17], 20, v[16:17]
	v_cmp_gt_i32_e32 vcc_lo, 16, v3
	v_cmp_ne_u32_e64 s10, 0, v3
                                        ; implicit-def: $vgpr84
	s_delay_alu instid0(VALU_DEP_3) | instskip(NEXT) | instid1(VALU_DEP_1)
	v_dual_cndmask_b32 v17, 0, v17 :: v_dual_cndmask_b32 v16, 7, v16
	v_cmp_ne_u64_e32 vcc_lo, 0, v[16:17]
	s_or_b32 s10, s10, vcc_lo
	s_delay_alu instid0(SALU_CYCLE_1) | instskip(NEXT) | instid1(SALU_CYCLE_1)
	s_and_saveexec_b32 s41, s10
	s_xor_b32 s10, exec_lo, s41
; %bb.3213:                             ;   in Loop: Header=BB4_2771 Depth=2
	v_min_i32_e32 v3, 15, v3
	s_delay_alu instid0(VALU_DEP_1) | instskip(NEXT) | instid1(VALU_DEP_1)
	v_lshl_or_b32 v2, v3, 3, v2
	v_and_or_b32 v84, v16, 7, v2
                                        ; implicit-def: $vgpr2
; %bb.3214:                             ;   in Loop: Header=BB4_2771 Depth=2
	s_and_not1_saveexec_b32 s10, s10
; %bb.3215:                             ;   in Loop: Header=BB4_2771 Depth=2
	v_mov_b32_e32 v84, v2
; %bb.3216:                             ;   in Loop: Header=BB4_2771 Depth=2
	s_or_b32 exec_lo, exec_lo, s10
.LBB4_3217:                             ;   in Loop: Header=BB4_2771 Depth=2
	s_delay_alu instid0(SALU_CYCLE_1)
	s_or_b32 exec_lo, exec_lo, s40
                                        ; implicit-def: $vgpr2
.LBB4_3218:                             ;   in Loop: Header=BB4_2771 Depth=2
	s_and_not1_saveexec_b32 s10, s29
; %bb.3219:                             ;   in Loop: Header=BB4_2771 Depth=2
	v_or_b32_e32 v84, 0x7e, v2
; %bb.3220:                             ;   in Loop: Header=BB4_2771 Depth=2
	s_or_b32 exec_lo, exec_lo, s10
                                        ; implicit-def: $vgpr2
.LBB4_3221:                             ;   in Loop: Header=BB4_2771 Depth=2
	s_and_not1_saveexec_b32 s10, s11
; %bb.3222:                             ;   in Loop: Header=BB4_2771 Depth=2
	v_or_b32_e32 v84, 0x7f, v2
; %bb.3223:                             ;   in Loop: Header=BB4_2771 Depth=2
	s_or_b32 exec_lo, exec_lo, s10
	s_clause 0xf
	flat_load_u8 v3, v[12:13] th:TH_LOAD_NT
	flat_load_u8 v2, v[12:13] offset:32 th:TH_LOAD_NT
	flat_load_u8 v75, v[12:13] offset:64 th:TH_LOAD_NT
	;; [unrolled: 1-line block ×15, first 2 shown]
	v_and_b32_e32 v16, 0xff, v98
	v_dual_mov_b32 v82, 0 :: v_dual_mov_b32 v83, 0
	s_mov_b32 s10, exec_lo
	s_wait_xcnt 0x0
	s_delay_alu instid0(VALU_DEP_2)
	v_cmpx_ne_u16_e32 0, v16
	s_cbranch_execz .LBB4_3231
; %bb.3224:                             ;   in Loop: Header=BB4_2771 Depth=2
	v_bfrev_b32_e32 v83, 1
	s_mov_b32 s11, exec_lo
	v_cmpx_ne_u16_e32 0x80, v16
	s_cbranch_execz .LBB4_3230
; %bb.3225:                             ;   in Loop: Header=BB4_2771 Depth=2
	v_and_b32_e32 v17, 0x7f, v98
	v_mov_b32_e32 v83, 0x7f800001
	s_mov_b32 s29, exec_lo
	s_delay_alu instid0(VALU_DEP_2)
	v_cmpx_ne_u32_e32 0x7f, v17
	s_cbranch_execz .LBB4_3229
; %bb.3226:                             ;   in Loop: Header=BB4_2771 Depth=2
	v_dual_lshrrev_b32 v83, 3, v17 :: v_dual_bitop2_b32 v38, 7, v16 bitop3:0x40
	v_cmp_gt_u32_e32 vcc_lo, 8, v17
	s_delay_alu instid0(VALU_DEP_2)
	v_mov_b64_e32 v[16:17], v[38:39]
	s_and_saveexec_b32 s40, vcc_lo
; %bb.3227:                             ;   in Loop: Header=BB4_2771 Depth=2
	v_clz_i32_u32_e32 v16, v38
	s_delay_alu instid0(VALU_DEP_1) | instskip(NEXT) | instid1(VALU_DEP_1)
	v_min_u32_e32 v20, 32, v16
	v_subrev_nc_u32_e32 v16, 28, v20
	v_sub_nc_u32_e32 v83, 29, v20
	s_delay_alu instid0(VALU_DEP_2) | instskip(NEXT) | instid1(VALU_DEP_1)
	v_lshlrev_b64_e32 v[16:17], v16, v[38:39]
	v_and_b32_e32 v16, 7, v16
; %bb.3228:                             ;   in Loop: Header=BB4_2771 Depth=2
	s_or_b32 exec_lo, exec_lo, s40
	s_delay_alu instid0(VALU_DEP_1) | instskip(SKIP_1) | instid1(VALU_DEP_2)
	v_dual_lshlrev_b32 v17, 24, v98 :: v_dual_lshlrev_b32 v16, 20, v16
	v_lshl_add_u32 v20, v83, 23, 0x3c000000
	v_and_b32_e32 v17, 0x80000000, v17
	s_delay_alu instid0(VALU_DEP_1)
	v_or3_b32 v83, v16, v17, v20
.LBB4_3229:                             ;   in Loop: Header=BB4_2771 Depth=2
	s_or_b32 exec_lo, exec_lo, s29
.LBB4_3230:                             ;   in Loop: Header=BB4_2771 Depth=2
	s_delay_alu instid0(SALU_CYCLE_1)
	s_or_b32 exec_lo, exec_lo, s11
.LBB4_3231:                             ;   in Loop: Header=BB4_2771 Depth=2
	s_delay_alu instid0(SALU_CYCLE_1) | instskip(SKIP_3) | instid1(VALU_DEP_1)
	s_or_b32 exec_lo, exec_lo, s10
	s_wait_loadcnt_dscnt 0xf0f
	v_and_b32_e32 v16, 0xff, v3
	s_mov_b32 s10, exec_lo
	v_cmpx_ne_u16_e32 0, v16
	s_cbranch_execz .LBB4_3239
; %bb.3232:                             ;   in Loop: Header=BB4_2771 Depth=2
	v_bfrev_b32_e32 v82, 1
	s_mov_b32 s11, exec_lo
	v_cmpx_ne_u16_e32 0x80, v16
	s_cbranch_execz .LBB4_3238
; %bb.3233:                             ;   in Loop: Header=BB4_2771 Depth=2
	v_and_b32_e32 v17, 0x7f, v3
	v_mov_b32_e32 v82, 0x7f800001
	s_mov_b32 s29, exec_lo
	s_delay_alu instid0(VALU_DEP_2)
	v_cmpx_ne_u32_e32 0x7f, v17
	s_cbranch_execz .LBB4_3237
; %bb.3234:                             ;   in Loop: Header=BB4_2771 Depth=2
	v_dual_lshrrev_b32 v82, 3, v17 :: v_dual_bitop2_b32 v38, 7, v16 bitop3:0x40
	v_cmp_gt_u32_e32 vcc_lo, 8, v17
	s_delay_alu instid0(VALU_DEP_2)
	v_mov_b64_e32 v[16:17], v[38:39]
	s_and_saveexec_b32 s40, vcc_lo
; %bb.3235:                             ;   in Loop: Header=BB4_2771 Depth=2
	v_clz_i32_u32_e32 v16, v38
	s_delay_alu instid0(VALU_DEP_1) | instskip(NEXT) | instid1(VALU_DEP_1)
	v_min_u32_e32 v20, 32, v16
	v_subrev_nc_u32_e32 v16, 28, v20
	v_sub_nc_u32_e32 v82, 29, v20
	s_delay_alu instid0(VALU_DEP_2) | instskip(NEXT) | instid1(VALU_DEP_1)
	v_lshlrev_b64_e32 v[16:17], v16, v[38:39]
	v_and_b32_e32 v16, 7, v16
; %bb.3236:                             ;   in Loop: Header=BB4_2771 Depth=2
	s_or_b32 exec_lo, exec_lo, s40
	s_delay_alu instid0(VALU_DEP_1) | instskip(SKIP_1) | instid1(VALU_DEP_2)
	v_dual_lshlrev_b32 v3, 24, v3 :: v_dual_lshlrev_b32 v16, 20, v16
	v_lshl_add_u32 v17, v82, 23, 0x3c000000
	v_and_b32_e32 v3, 0x80000000, v3
	s_delay_alu instid0(VALU_DEP_1)
	v_or3_b32 v82, v16, v3, v17
.LBB4_3237:                             ;   in Loop: Header=BB4_2771 Depth=2
	s_or_b32 exec_lo, exec_lo, s29
.LBB4_3238:                             ;   in Loop: Header=BB4_2771 Depth=2
	s_delay_alu instid0(SALU_CYCLE_1)
	s_or_b32 exec_lo, exec_lo, s11
.LBB4_3239:                             ;   in Loop: Header=BB4_2771 Depth=2
	s_delay_alu instid0(SALU_CYCLE_1) | instskip(NEXT) | instid1(VALU_DEP_1)
	s_or_b32 exec_lo, exec_lo, s10
	v_add_f32_e32 v16, v83, v82
                                        ; implicit-def: $vgpr98
	s_mov_b32 s10, exec_lo
	s_delay_alu instid0(VALU_DEP_1) | instskip(SKIP_1) | instid1(VALU_DEP_2)
	v_and_b32_e32 v38, 0x7f800000, v16
	v_lshrrev_b32_e32 v3, 24, v16
	v_cmpx_ne_u64_e32 0x7f800000, v[38:39]
	s_xor_b32 s11, exec_lo, s10
	s_cbranch_execz .LBB4_3257
; %bb.3240:                             ;   in Loop: Header=BB4_2771 Depth=2
	v_and_b32_e32 v38, 0x7fffffff, v16
	v_and_b32_e32 v3, 0x80, v3
                                        ; implicit-def: $vgpr98
	s_mov_b32 s10, exec_lo
	s_delay_alu instid0(VALU_DEP_2)
	v_cmpx_gt_u64_e32 0x43e00001, v[38:39]
	s_xor_b32 s29, exec_lo, s10
	s_cbranch_execz .LBB4_3254
; %bb.3241:                             ;   in Loop: Header=BB4_2771 Depth=2
	v_mov_b32_e32 v98, 0
	s_mov_b32 s40, exec_lo
	v_cmpx_ne_u32_e32 0, v16
	s_cbranch_execz .LBB4_3253
; %bb.3242:                             ;   in Loop: Header=BB4_2771 Depth=2
	v_bfe_u32 v98, v16, 23, 8
	v_and_b32_e32 v20, 0x7fffff, v16
	s_delay_alu instid0(VALU_DEP_2) | instskip(NEXT) | instid1(VALU_DEP_2)
	v_cmp_gt_u32_e32 vcc_lo, 0x7a, v98
	v_or_b32_e32 v21, 0x800000, v20
	v_sub_nc_u32_e32 v17, 0x79, v98
	s_delay_alu instid0(VALU_DEP_1) | instskip(SKIP_1) | instid1(VALU_DEP_2)
	v_cndmask_b32_e32 v17, 0, v17, vcc_lo
	v_cmp_eq_u32_e32 vcc_lo, 0, v98
	v_cndmask_b32_e64 v113, v17, 0x78, vcc_lo
	s_delay_alu instid0(VALU_DEP_1) | instskip(SKIP_1) | instid1(VALU_DEP_2)
	v_dual_cndmask_b32 v38, v21, v20, vcc_lo :: v_dual_add_nc_u32 v16, 20, v113
	v_add_nc_u32_e32 v82, 19, v113
	v_lshlrev_b64_e64 v[16:17], v16, -1
	s_delay_alu instid0(VALU_DEP_2) | instskip(NEXT) | instid1(VALU_DEP_2)
	v_lshlrev_b64_e64 v[20:21], v82, 1
	v_bfi_b32 v83, v17, 0, 0
	s_delay_alu instid0(VALU_DEP_3) | instskip(SKIP_1) | instid1(VALU_DEP_2)
	v_bfi_b32 v82, v16, 0, v38
	v_lshrrev_b64 v[16:17], v113, v[38:39]
	v_cmp_eq_u64_e64 s10, v[82:83], v[20:21]
	s_delay_alu instid0(VALU_DEP_2)
	v_mov_b64_e32 v[82:83], v[16:17]
	s_and_saveexec_b32 s41, s10
; %bb.3243:                             ;   in Loop: Header=BB4_2771 Depth=2
	v_bfe_u32 v38, v16, 20, 1
	s_delay_alu instid0(VALU_DEP_1) | instskip(NEXT) | instid1(VALU_DEP_1)
	v_add_nc_u64_e32 v[20:21], v[16:17], v[38:39]
	v_add_nc_u64_e32 v[82:83], -1, v[20:21]
; %bb.3244:                             ;   in Loop: Header=BB4_2771 Depth=2
	s_or_b32 exec_lo, exec_lo, s41
	v_add_nc_u32_e32 v17, 0xffffff81, v98
	v_lshrrev_b32_e32 v20, 23, v16
	s_mov_b32 s10, exec_lo
	s_delay_alu instid0(VALU_DEP_2) | instskip(NEXT) | instid1(VALU_DEP_1)
	v_cndmask_b32_e64 v17, v17, 0xffffff82, vcc_lo
	v_add3_u32 v83, v113, v17, v20
	v_and_b32_e32 v17, 0xfffff, v82
                                        ; implicit-def: $vgpr82
	s_delay_alu instid0(VALU_DEP_1) | instskip(NEXT) | instid1(VALU_DEP_1)
	v_dual_add_nc_u32 v98, 6, v83 :: v_dual_add_nc_u32 v38, v17, v16
                                        ; implicit-def: $vgpr16_vgpr17
	v_cmpx_ne_u32_e32 0, v98
	s_xor_b32 s10, exec_lo, s10
; %bb.3245:                             ;   in Loop: Header=BB4_2771 Depth=2
	s_delay_alu instid0(VALU_DEP_2) | instskip(SKIP_1) | instid1(VALU_DEP_1)
	v_cmp_lt_u64_e32 vcc_lo, 0xffffff, v[38:39]
	v_add_nc_u32_e32 v16, 7, v83
	v_cndmask_b32_e32 v82, v98, v16, vcc_lo
	v_cndmask_b32_e64 v16, 0, 1, vcc_lo
	s_delay_alu instid0(VALU_DEP_1)
	v_lshrrev_b64 v[16:17], v16, v[38:39]
; %bb.3246:                             ;   in Loop: Header=BB4_2771 Depth=2
	s_and_not1_saveexec_b32 s10, s10
; %bb.3247:                             ;   in Loop: Header=BB4_2771 Depth=2
	v_mov_b64_e32 v[16:17], v[38:39]
	v_bfe_u32 v82, v38, 23, 1
; %bb.3248:                             ;   in Loop: Header=BB4_2771 Depth=2
	s_or_b32 exec_lo, exec_lo, s10
	s_delay_alu instid0(VALU_DEP_2) | instskip(NEXT) | instid1(VALU_DEP_2)
	v_lshrrev_b64 v[16:17], 20, v[16:17]
	v_cmp_gt_i32_e32 vcc_lo, 16, v82
	v_cmp_ne_u32_e64 s10, 0, v82
                                        ; implicit-def: $vgpr98
	s_delay_alu instid0(VALU_DEP_3) | instskip(NEXT) | instid1(VALU_DEP_1)
	v_dual_cndmask_b32 v17, 0, v17 :: v_dual_cndmask_b32 v16, 7, v16
	v_cmp_ne_u64_e32 vcc_lo, 0, v[16:17]
	s_or_b32 s10, s10, vcc_lo
	s_delay_alu instid0(SALU_CYCLE_1) | instskip(NEXT) | instid1(SALU_CYCLE_1)
	s_and_saveexec_b32 s41, s10
	s_xor_b32 s10, exec_lo, s41
; %bb.3249:                             ;   in Loop: Header=BB4_2771 Depth=2
	v_min_i32_e32 v17, 15, v82
	s_delay_alu instid0(VALU_DEP_1) | instskip(NEXT) | instid1(VALU_DEP_1)
	v_lshl_or_b32 v3, v17, 3, v3
	v_and_or_b32 v98, v16, 7, v3
                                        ; implicit-def: $vgpr3
; %bb.3250:                             ;   in Loop: Header=BB4_2771 Depth=2
	s_and_not1_saveexec_b32 s10, s10
; %bb.3251:                             ;   in Loop: Header=BB4_2771 Depth=2
	v_mov_b32_e32 v98, v3
; %bb.3252:                             ;   in Loop: Header=BB4_2771 Depth=2
	s_or_b32 exec_lo, exec_lo, s10
.LBB4_3253:                             ;   in Loop: Header=BB4_2771 Depth=2
	s_delay_alu instid0(SALU_CYCLE_1)
	s_or_b32 exec_lo, exec_lo, s40
                                        ; implicit-def: $vgpr3
.LBB4_3254:                             ;   in Loop: Header=BB4_2771 Depth=2
	s_and_not1_saveexec_b32 s10, s29
; %bb.3255:                             ;   in Loop: Header=BB4_2771 Depth=2
	v_or_b32_e32 v98, 0x7e, v3
; %bb.3256:                             ;   in Loop: Header=BB4_2771 Depth=2
	s_or_b32 exec_lo, exec_lo, s10
                                        ; implicit-def: $vgpr3
.LBB4_3257:                             ;   in Loop: Header=BB4_2771 Depth=2
	s_and_not1_saveexec_b32 s10, s11
; %bb.3258:                             ;   in Loop: Header=BB4_2771 Depth=2
	v_or_b32_e32 v98, 0x7f, v3
; %bb.3259:                             ;   in Loop: Header=BB4_2771 Depth=2
	s_or_b32 exec_lo, exec_lo, s10
	v_and_b32_e32 v16, 0xff, v119
	v_dual_mov_b32 v3, 0 :: v_dual_mov_b32 v82, 0
	s_mov_b32 s10, exec_lo
	s_delay_alu instid0(VALU_DEP_2)
	v_cmpx_ne_u16_e32 0, v16
	s_cbranch_execz .LBB4_3267
; %bb.3260:                             ;   in Loop: Header=BB4_2771 Depth=2
	v_bfrev_b32_e32 v82, 1
	s_mov_b32 s11, exec_lo
	v_cmpx_ne_u16_e32 0x80, v16
	s_cbranch_execz .LBB4_3266
; %bb.3261:                             ;   in Loop: Header=BB4_2771 Depth=2
	v_and_b32_e32 v17, 0x7f, v119
	v_mov_b32_e32 v82, 0x7f800001
	s_mov_b32 s29, exec_lo
	s_delay_alu instid0(VALU_DEP_2)
	v_cmpx_ne_u32_e32 0x7f, v17
	s_cbranch_execz .LBB4_3265
; %bb.3262:                             ;   in Loop: Header=BB4_2771 Depth=2
	v_dual_lshrrev_b32 v82, 3, v17 :: v_dual_bitop2_b32 v38, 7, v16 bitop3:0x40
	v_cmp_gt_u32_e32 vcc_lo, 8, v17
	s_delay_alu instid0(VALU_DEP_2)
	v_mov_b64_e32 v[16:17], v[38:39]
	s_and_saveexec_b32 s40, vcc_lo
; %bb.3263:                             ;   in Loop: Header=BB4_2771 Depth=2
	v_clz_i32_u32_e32 v16, v38
	s_delay_alu instid0(VALU_DEP_1) | instskip(NEXT) | instid1(VALU_DEP_1)
	v_min_u32_e32 v20, 32, v16
	v_subrev_nc_u32_e32 v16, 28, v20
	v_sub_nc_u32_e32 v82, 29, v20
	s_delay_alu instid0(VALU_DEP_2) | instskip(NEXT) | instid1(VALU_DEP_1)
	v_lshlrev_b64_e32 v[16:17], v16, v[38:39]
	v_and_b32_e32 v16, 7, v16
; %bb.3264:                             ;   in Loop: Header=BB4_2771 Depth=2
	s_or_b32 exec_lo, exec_lo, s40
	s_delay_alu instid0(VALU_DEP_1) | instskip(SKIP_1) | instid1(VALU_DEP_2)
	v_dual_lshlrev_b32 v17, 24, v119 :: v_dual_lshlrev_b32 v16, 20, v16
	v_lshl_add_u32 v20, v82, 23, 0x3c000000
	v_and_b32_e32 v17, 0x80000000, v17
	s_delay_alu instid0(VALU_DEP_1)
	v_or3_b32 v82, v16, v17, v20
.LBB4_3265:                             ;   in Loop: Header=BB4_2771 Depth=2
	s_or_b32 exec_lo, exec_lo, s29
.LBB4_3266:                             ;   in Loop: Header=BB4_2771 Depth=2
	s_delay_alu instid0(SALU_CYCLE_1)
	s_or_b32 exec_lo, exec_lo, s11
.LBB4_3267:                             ;   in Loop: Header=BB4_2771 Depth=2
	s_delay_alu instid0(SALU_CYCLE_1) | instskip(SKIP_3) | instid1(VALU_DEP_1)
	s_or_b32 exec_lo, exec_lo, s10
	s_wait_loadcnt_dscnt 0xe0e
	v_and_b32_e32 v16, 0xff, v2
	s_mov_b32 s10, exec_lo
	v_cmpx_ne_u16_e32 0, v16
	s_cbranch_execz .LBB4_3275
; %bb.3268:                             ;   in Loop: Header=BB4_2771 Depth=2
	v_bfrev_b32_e32 v3, 1
	s_mov_b32 s11, exec_lo
	v_cmpx_ne_u16_e32 0x80, v16
	s_cbranch_execz .LBB4_3274
; %bb.3269:                             ;   in Loop: Header=BB4_2771 Depth=2
	v_and_b32_e32 v17, 0x7f, v2
	v_mov_b32_e32 v3, 0x7f800001
	s_mov_b32 s29, exec_lo
	s_delay_alu instid0(VALU_DEP_2)
	v_cmpx_ne_u32_e32 0x7f, v17
	s_cbranch_execz .LBB4_3273
; %bb.3270:                             ;   in Loop: Header=BB4_2771 Depth=2
	v_dual_lshrrev_b32 v3, 3, v17 :: v_dual_bitop2_b32 v38, 7, v16 bitop3:0x40
	v_cmp_gt_u32_e32 vcc_lo, 8, v17
	s_delay_alu instid0(VALU_DEP_2)
	v_mov_b64_e32 v[16:17], v[38:39]
	s_and_saveexec_b32 s40, vcc_lo
; %bb.3271:                             ;   in Loop: Header=BB4_2771 Depth=2
	v_clz_i32_u32_e32 v3, v38
	s_delay_alu instid0(VALU_DEP_1) | instskip(NEXT) | instid1(VALU_DEP_1)
	v_min_u32_e32 v3, 32, v3
	v_subrev_nc_u32_e32 v16, 28, v3
	s_delay_alu instid0(VALU_DEP_1) | instskip(NEXT) | instid1(VALU_DEP_1)
	v_lshlrev_b64_e32 v[16:17], v16, v[38:39]
	v_dual_sub_nc_u32 v3, 29, v3 :: v_dual_bitop2_b32 v16, 7, v16 bitop3:0x40
; %bb.3272:                             ;   in Loop: Header=BB4_2771 Depth=2
	s_or_b32 exec_lo, exec_lo, s40
	s_delay_alu instid0(VALU_DEP_1) | instskip(NEXT) | instid1(VALU_DEP_2)
	v_dual_lshlrev_b32 v2, 24, v2 :: v_dual_lshlrev_b32 v16, 20, v16
	v_lshl_add_u32 v3, v3, 23, 0x3c000000
	s_delay_alu instid0(VALU_DEP_2) | instskip(NEXT) | instid1(VALU_DEP_1)
	v_and_b32_e32 v2, 0x80000000, v2
	v_or3_b32 v3, v16, v2, v3
.LBB4_3273:                             ;   in Loop: Header=BB4_2771 Depth=2
	s_or_b32 exec_lo, exec_lo, s29
.LBB4_3274:                             ;   in Loop: Header=BB4_2771 Depth=2
	s_delay_alu instid0(SALU_CYCLE_1)
	s_or_b32 exec_lo, exec_lo, s11
.LBB4_3275:                             ;   in Loop: Header=BB4_2771 Depth=2
	s_delay_alu instid0(SALU_CYCLE_1) | instskip(NEXT) | instid1(VALU_DEP_1)
	s_or_b32 exec_lo, exec_lo, s10
	v_add_f32_e32 v3, v82, v3
                                        ; implicit-def: $vgpr119
	s_mov_b32 s10, exec_lo
	s_delay_alu instid0(VALU_DEP_1) | instskip(SKIP_1) | instid1(VALU_DEP_2)
	v_and_b32_e32 v38, 0x7f800000, v3
	v_lshrrev_b32_e32 v2, 24, v3
	v_cmpx_ne_u64_e32 0x7f800000, v[38:39]
	s_xor_b32 s11, exec_lo, s10
	s_cbranch_execz .LBB4_3293
; %bb.3276:                             ;   in Loop: Header=BB4_2771 Depth=2
	v_and_b32_e32 v38, 0x7fffffff, v3
	v_and_b32_e32 v2, 0x80, v2
                                        ; implicit-def: $vgpr119
	s_mov_b32 s10, exec_lo
	s_delay_alu instid0(VALU_DEP_2)
	v_cmpx_gt_u64_e32 0x43e00001, v[38:39]
	s_xor_b32 s29, exec_lo, s10
	s_cbranch_execz .LBB4_3290
; %bb.3277:                             ;   in Loop: Header=BB4_2771 Depth=2
	v_mov_b32_e32 v119, 0
	s_mov_b32 s40, exec_lo
	v_cmpx_ne_u32_e32 0, v3
	s_cbranch_execz .LBB4_3289
; %bb.3278:                             ;   in Loop: Header=BB4_2771 Depth=2
	v_bfe_u32 v113, v3, 23, 8
	v_and_b32_e32 v3, 0x7fffff, v3
	s_delay_alu instid0(VALU_DEP_2) | instskip(SKIP_1) | instid1(VALU_DEP_3)
	v_sub_nc_u32_e32 v16, 0x79, v113
	v_cmp_gt_u32_e32 vcc_lo, 0x7a, v113
	v_or_b32_e32 v20, 0x800000, v3
	s_delay_alu instid0(VALU_DEP_3) | instskip(SKIP_1) | instid1(VALU_DEP_2)
	v_cndmask_b32_e32 v16, 0, v16, vcc_lo
	v_cmp_eq_u32_e32 vcc_lo, 0, v113
	v_cndmask_b32_e64 v119, v16, 0x78, vcc_lo
	s_delay_alu instid0(VALU_DEP_4) | instskip(NEXT) | instid1(VALU_DEP_2)
	v_cndmask_b32_e32 v38, v20, v3, vcc_lo
	v_dual_add_nc_u32 v16, 20, v119 :: v_dual_add_nc_u32 v21, 19, v119
	s_delay_alu instid0(VALU_DEP_1) | instskip(NEXT) | instid1(VALU_DEP_2)
	v_lshlrev_b64_e64 v[16:17], v16, -1
	v_lshlrev_b64_e64 v[20:21], v21, 1
	s_delay_alu instid0(VALU_DEP_2) | instskip(NEXT) | instid1(VALU_DEP_3)
	v_bfi_b32 v83, v17, 0, 0
	v_bfi_b32 v82, v16, 0, v38
	v_lshrrev_b64 v[16:17], v119, v[38:39]
	s_delay_alu instid0(VALU_DEP_2) | instskip(NEXT) | instid1(VALU_DEP_2)
	v_cmp_eq_u64_e64 s10, v[82:83], v[20:21]
	v_mov_b64_e32 v[82:83], v[16:17]
	s_and_saveexec_b32 s41, s10
; %bb.3279:                             ;   in Loop: Header=BB4_2771 Depth=2
	v_bfe_u32 v38, v16, 20, 1
	s_delay_alu instid0(VALU_DEP_1) | instskip(NEXT) | instid1(VALU_DEP_1)
	v_add_nc_u64_e32 v[20:21], v[16:17], v[38:39]
	v_add_nc_u64_e32 v[82:83], -1, v[20:21]
; %bb.3280:                             ;   in Loop: Header=BB4_2771 Depth=2
	s_or_b32 exec_lo, exec_lo, s41
	v_add_nc_u32_e32 v3, 0xffffff81, v113
	v_lshrrev_b32_e32 v17, 23, v16
	s_mov_b32 s10, exec_lo
	s_delay_alu instid0(VALU_DEP_2) | instskip(NEXT) | instid1(VALU_DEP_1)
	v_cndmask_b32_e64 v3, v3, 0xffffff82, vcc_lo
	v_add3_u32 v83, v119, v3, v17
	v_and_b32_e32 v3, 0xfffff, v82
	s_delay_alu instid0(VALU_DEP_1) | instskip(NEXT) | instid1(VALU_DEP_1)
	v_dual_add_nc_u32 v82, 6, v83 :: v_dual_add_nc_u32 v38, v3, v16
                                        ; implicit-def: $vgpr16_vgpr17
                                        ; implicit-def: $vgpr3
	v_cmpx_ne_u32_e32 0, v82
	s_xor_b32 s10, exec_lo, s10
; %bb.3281:                             ;   in Loop: Header=BB4_2771 Depth=2
	s_delay_alu instid0(VALU_DEP_2) | instskip(SKIP_2) | instid1(VALU_DEP_2)
	v_cmp_lt_u64_e32 vcc_lo, 0xffffff, v[38:39]
	v_add_nc_u32_e32 v3, 7, v83
	v_cndmask_b32_e64 v16, 0, 1, vcc_lo
	v_cndmask_b32_e32 v3, v82, v3, vcc_lo
	s_delay_alu instid0(VALU_DEP_2)
	v_lshrrev_b64 v[16:17], v16, v[38:39]
; %bb.3282:                             ;   in Loop: Header=BB4_2771 Depth=2
	s_and_not1_saveexec_b32 s10, s10
; %bb.3283:                             ;   in Loop: Header=BB4_2771 Depth=2
	v_mov_b64_e32 v[16:17], v[38:39]
	v_bfe_u32 v3, v38, 23, 1
; %bb.3284:                             ;   in Loop: Header=BB4_2771 Depth=2
	s_or_b32 exec_lo, exec_lo, s10
	s_delay_alu instid0(VALU_DEP_2) | instskip(NEXT) | instid1(VALU_DEP_2)
	v_lshrrev_b64 v[16:17], 20, v[16:17]
	v_cmp_gt_i32_e32 vcc_lo, 16, v3
	v_cmp_ne_u32_e64 s10, 0, v3
                                        ; implicit-def: $vgpr119
	s_delay_alu instid0(VALU_DEP_3) | instskip(NEXT) | instid1(VALU_DEP_1)
	v_dual_cndmask_b32 v17, 0, v17 :: v_dual_cndmask_b32 v16, 7, v16
	v_cmp_ne_u64_e32 vcc_lo, 0, v[16:17]
	s_or_b32 s10, s10, vcc_lo
	s_delay_alu instid0(SALU_CYCLE_1) | instskip(NEXT) | instid1(SALU_CYCLE_1)
	s_and_saveexec_b32 s41, s10
	s_xor_b32 s10, exec_lo, s41
; %bb.3285:                             ;   in Loop: Header=BB4_2771 Depth=2
	v_min_i32_e32 v3, 15, v3
	s_delay_alu instid0(VALU_DEP_1) | instskip(NEXT) | instid1(VALU_DEP_1)
	v_lshl_or_b32 v2, v3, 3, v2
	v_and_or_b32 v119, v16, 7, v2
                                        ; implicit-def: $vgpr2
; %bb.3286:                             ;   in Loop: Header=BB4_2771 Depth=2
	s_and_not1_saveexec_b32 s10, s10
; %bb.3287:                             ;   in Loop: Header=BB4_2771 Depth=2
	v_mov_b32_e32 v119, v2
; %bb.3288:                             ;   in Loop: Header=BB4_2771 Depth=2
	s_or_b32 exec_lo, exec_lo, s10
.LBB4_3289:                             ;   in Loop: Header=BB4_2771 Depth=2
	s_delay_alu instid0(SALU_CYCLE_1)
	s_or_b32 exec_lo, exec_lo, s40
                                        ; implicit-def: $vgpr2
.LBB4_3290:                             ;   in Loop: Header=BB4_2771 Depth=2
	s_and_not1_saveexec_b32 s10, s29
; %bb.3291:                             ;   in Loop: Header=BB4_2771 Depth=2
	v_or_b32_e32 v119, 0x7e, v2
; %bb.3292:                             ;   in Loop: Header=BB4_2771 Depth=2
	s_or_b32 exec_lo, exec_lo, s10
                                        ; implicit-def: $vgpr2
.LBB4_3293:                             ;   in Loop: Header=BB4_2771 Depth=2
	s_and_not1_saveexec_b32 s10, s11
; %bb.3294:                             ;   in Loop: Header=BB4_2771 Depth=2
	v_or_b32_e32 v119, 0x7f, v2
; %bb.3295:                             ;   in Loop: Header=BB4_2771 Depth=2
	s_or_b32 exec_lo, exec_lo, s10
	v_and_b32_e32 v16, 0xff, v46
	v_dual_mov_b32 v2, 0 :: v_dual_mov_b32 v3, 0
	s_mov_b32 s10, exec_lo
	s_delay_alu instid0(VALU_DEP_2)
	v_cmpx_ne_u16_e32 0, v16
	s_cbranch_execz .LBB4_3303
; %bb.3296:                             ;   in Loop: Header=BB4_2771 Depth=2
	v_bfrev_b32_e32 v3, 1
	s_mov_b32 s11, exec_lo
	v_cmpx_ne_u16_e32 0x80, v16
	s_cbranch_execz .LBB4_3302
; %bb.3297:                             ;   in Loop: Header=BB4_2771 Depth=2
	v_and_b32_e32 v17, 0x7f, v46
	v_mov_b32_e32 v3, 0x7f800001
	s_mov_b32 s29, exec_lo
	s_delay_alu instid0(VALU_DEP_2)
	v_cmpx_ne_u32_e32 0x7f, v17
	s_cbranch_execz .LBB4_3301
; %bb.3298:                             ;   in Loop: Header=BB4_2771 Depth=2
	v_dual_lshrrev_b32 v3, 3, v17 :: v_dual_bitop2_b32 v38, 7, v16 bitop3:0x40
	v_cmp_gt_u32_e32 vcc_lo, 8, v17
	s_delay_alu instid0(VALU_DEP_2)
	v_mov_b64_e32 v[16:17], v[38:39]
	s_and_saveexec_b32 s40, vcc_lo
; %bb.3299:                             ;   in Loop: Header=BB4_2771 Depth=2
	v_clz_i32_u32_e32 v3, v38
	s_delay_alu instid0(VALU_DEP_1) | instskip(NEXT) | instid1(VALU_DEP_1)
	v_min_u32_e32 v3, 32, v3
	v_subrev_nc_u32_e32 v16, 28, v3
	s_delay_alu instid0(VALU_DEP_1) | instskip(NEXT) | instid1(VALU_DEP_1)
	v_lshlrev_b64_e32 v[16:17], v16, v[38:39]
	v_dual_sub_nc_u32 v3, 29, v3 :: v_dual_bitop2_b32 v16, 7, v16 bitop3:0x40
; %bb.3300:                             ;   in Loop: Header=BB4_2771 Depth=2
	s_or_b32 exec_lo, exec_lo, s40
	s_delay_alu instid0(VALU_DEP_1) | instskip(NEXT) | instid1(VALU_DEP_2)
	v_dual_lshlrev_b32 v17, 24, v46 :: v_dual_lshlrev_b32 v16, 20, v16
	v_lshl_add_u32 v3, v3, 23, 0x3c000000
	s_delay_alu instid0(VALU_DEP_2) | instskip(NEXT) | instid1(VALU_DEP_1)
	v_and_b32_e32 v17, 0x80000000, v17
	v_or3_b32 v3, v16, v17, v3
.LBB4_3301:                             ;   in Loop: Header=BB4_2771 Depth=2
	s_or_b32 exec_lo, exec_lo, s29
.LBB4_3302:                             ;   in Loop: Header=BB4_2771 Depth=2
	s_delay_alu instid0(SALU_CYCLE_1)
	s_or_b32 exec_lo, exec_lo, s11
.LBB4_3303:                             ;   in Loop: Header=BB4_2771 Depth=2
	s_delay_alu instid0(SALU_CYCLE_1) | instskip(SKIP_3) | instid1(VALU_DEP_1)
	s_or_b32 exec_lo, exec_lo, s10
	s_wait_loadcnt_dscnt 0xd0d
	v_and_b32_e32 v16, 0xff, v75
	s_mov_b32 s10, exec_lo
	v_cmpx_ne_u16_e32 0, v16
	s_cbranch_execz .LBB4_3311
; %bb.3304:                             ;   in Loop: Header=BB4_2771 Depth=2
	v_bfrev_b32_e32 v2, 1
	s_mov_b32 s11, exec_lo
	v_cmpx_ne_u16_e32 0x80, v16
	s_cbranch_execz .LBB4_3310
; %bb.3305:                             ;   in Loop: Header=BB4_2771 Depth=2
	v_and_b32_e32 v17, 0x7f, v75
	v_mov_b32_e32 v2, 0x7f800001
	s_mov_b32 s29, exec_lo
	s_delay_alu instid0(VALU_DEP_2)
	v_cmpx_ne_u32_e32 0x7f, v17
	s_cbranch_execz .LBB4_3309
; %bb.3306:                             ;   in Loop: Header=BB4_2771 Depth=2
	v_dual_lshrrev_b32 v2, 3, v17 :: v_dual_bitop2_b32 v38, 7, v16 bitop3:0x40
	v_cmp_gt_u32_e32 vcc_lo, 8, v17
	s_delay_alu instid0(VALU_DEP_2)
	v_mov_b64_e32 v[16:17], v[38:39]
	s_and_saveexec_b32 s40, vcc_lo
; %bb.3307:                             ;   in Loop: Header=BB4_2771 Depth=2
	v_clz_i32_u32_e32 v2, v38
	s_delay_alu instid0(VALU_DEP_1) | instskip(NEXT) | instid1(VALU_DEP_1)
	v_min_u32_e32 v2, 32, v2
	v_subrev_nc_u32_e32 v16, 28, v2
	s_delay_alu instid0(VALU_DEP_1) | instskip(NEXT) | instid1(VALU_DEP_1)
	v_lshlrev_b64_e32 v[16:17], v16, v[38:39]
	v_dual_sub_nc_u32 v2, 29, v2 :: v_dual_bitop2_b32 v16, 7, v16 bitop3:0x40
; %bb.3308:                             ;   in Loop: Header=BB4_2771 Depth=2
	s_or_b32 exec_lo, exec_lo, s40
	s_delay_alu instid0(VALU_DEP_1) | instskip(NEXT) | instid1(VALU_DEP_2)
	v_dual_lshlrev_b32 v17, 24, v75 :: v_dual_lshlrev_b32 v16, 20, v16
	v_lshl_add_u32 v2, v2, 23, 0x3c000000
	s_delay_alu instid0(VALU_DEP_2) | instskip(NEXT) | instid1(VALU_DEP_1)
	v_and_b32_e32 v17, 0x80000000, v17
	v_or3_b32 v2, v16, v17, v2
.LBB4_3309:                             ;   in Loop: Header=BB4_2771 Depth=2
	s_or_b32 exec_lo, exec_lo, s29
.LBB4_3310:                             ;   in Loop: Header=BB4_2771 Depth=2
	s_delay_alu instid0(SALU_CYCLE_1)
	s_or_b32 exec_lo, exec_lo, s11
.LBB4_3311:                             ;   in Loop: Header=BB4_2771 Depth=2
	s_delay_alu instid0(SALU_CYCLE_1) | instskip(NEXT) | instid1(VALU_DEP_1)
	s_or_b32 exec_lo, exec_lo, s10
	v_add_f32_e32 v3, v3, v2
                                        ; implicit-def: $vgpr46
	s_mov_b32 s10, exec_lo
	s_delay_alu instid0(VALU_DEP_1) | instskip(SKIP_1) | instid1(VALU_DEP_2)
	v_and_b32_e32 v38, 0x7f800000, v3
	v_lshrrev_b32_e32 v2, 24, v3
	v_cmpx_ne_u64_e32 0x7f800000, v[38:39]
	s_xor_b32 s11, exec_lo, s10
	s_cbranch_execz .LBB4_3329
; %bb.3312:                             ;   in Loop: Header=BB4_2771 Depth=2
	v_and_b32_e32 v38, 0x7fffffff, v3
	v_and_b32_e32 v2, 0x80, v2
                                        ; implicit-def: $vgpr46
	s_mov_b32 s10, exec_lo
	s_delay_alu instid0(VALU_DEP_2)
	v_cmpx_gt_u64_e32 0x43e00001, v[38:39]
	s_xor_b32 s29, exec_lo, s10
	s_cbranch_execz .LBB4_3326
; %bb.3313:                             ;   in Loop: Header=BB4_2771 Depth=2
	v_mov_b32_e32 v46, 0
	s_mov_b32 s40, exec_lo
	v_cmpx_ne_u32_e32 0, v3
	s_cbranch_execz .LBB4_3325
; %bb.3314:                             ;   in Loop: Header=BB4_2771 Depth=2
	v_bfe_u32 v113, v3, 23, 8
	v_and_b32_e32 v3, 0x7fffff, v3
	s_delay_alu instid0(VALU_DEP_2) | instskip(SKIP_1) | instid1(VALU_DEP_3)
	v_sub_nc_u32_e32 v16, 0x79, v113
	v_cmp_gt_u32_e32 vcc_lo, 0x7a, v113
	v_or_b32_e32 v20, 0x800000, v3
	s_delay_alu instid0(VALU_DEP_3) | instskip(SKIP_1) | instid1(VALU_DEP_2)
	v_cndmask_b32_e32 v16, 0, v16, vcc_lo
	v_cmp_eq_u32_e32 vcc_lo, 0, v113
	v_cndmask_b32_e64 v46, v16, 0x78, vcc_lo
	s_delay_alu instid0(VALU_DEP_1) | instskip(SKIP_1) | instid1(VALU_DEP_2)
	v_dual_cndmask_b32 v38, v20, v3, vcc_lo :: v_dual_add_nc_u32 v16, 20, v46
	v_add_nc_u32_e32 v21, 19, v46
	v_lshlrev_b64_e64 v[16:17], v16, -1
	s_delay_alu instid0(VALU_DEP_2) | instskip(NEXT) | instid1(VALU_DEP_2)
	v_lshlrev_b64_e64 v[20:21], v21, 1
	v_bfi_b32 v83, v17, 0, 0
	s_delay_alu instid0(VALU_DEP_3) | instskip(SKIP_1) | instid1(VALU_DEP_2)
	v_bfi_b32 v82, v16, 0, v38
	v_lshrrev_b64 v[16:17], v46, v[38:39]
	v_cmp_eq_u64_e64 s10, v[82:83], v[20:21]
	s_delay_alu instid0(VALU_DEP_2)
	v_mov_b64_e32 v[82:83], v[16:17]
	s_and_saveexec_b32 s41, s10
; %bb.3315:                             ;   in Loop: Header=BB4_2771 Depth=2
	v_bfe_u32 v38, v16, 20, 1
	s_delay_alu instid0(VALU_DEP_1) | instskip(NEXT) | instid1(VALU_DEP_1)
	v_add_nc_u64_e32 v[20:21], v[16:17], v[38:39]
	v_add_nc_u64_e32 v[82:83], -1, v[20:21]
; %bb.3316:                             ;   in Loop: Header=BB4_2771 Depth=2
	s_or_b32 exec_lo, exec_lo, s41
	v_add_nc_u32_e32 v3, 0xffffff81, v113
	v_lshrrev_b32_e32 v17, 23, v16
	s_mov_b32 s10, exec_lo
	s_delay_alu instid0(VALU_DEP_2) | instskip(NEXT) | instid1(VALU_DEP_1)
	v_cndmask_b32_e64 v3, v3, 0xffffff82, vcc_lo
	v_add3_u32 v83, v46, v3, v17
	v_and_b32_e32 v3, 0xfffff, v82
	s_delay_alu instid0(VALU_DEP_1) | instskip(NEXT) | instid1(VALU_DEP_1)
	v_dual_add_nc_u32 v82, 6, v83 :: v_dual_add_nc_u32 v38, v3, v16
                                        ; implicit-def: $vgpr16_vgpr17
                                        ; implicit-def: $vgpr3
	v_cmpx_ne_u32_e32 0, v82
	s_xor_b32 s10, exec_lo, s10
; %bb.3317:                             ;   in Loop: Header=BB4_2771 Depth=2
	s_delay_alu instid0(VALU_DEP_2) | instskip(SKIP_2) | instid1(VALU_DEP_2)
	v_cmp_lt_u64_e32 vcc_lo, 0xffffff, v[38:39]
	v_add_nc_u32_e32 v3, 7, v83
	v_cndmask_b32_e64 v16, 0, 1, vcc_lo
	v_cndmask_b32_e32 v3, v82, v3, vcc_lo
	s_delay_alu instid0(VALU_DEP_2)
	v_lshrrev_b64 v[16:17], v16, v[38:39]
; %bb.3318:                             ;   in Loop: Header=BB4_2771 Depth=2
	s_and_not1_saveexec_b32 s10, s10
; %bb.3319:                             ;   in Loop: Header=BB4_2771 Depth=2
	v_mov_b64_e32 v[16:17], v[38:39]
	v_bfe_u32 v3, v38, 23, 1
; %bb.3320:                             ;   in Loop: Header=BB4_2771 Depth=2
	s_or_b32 exec_lo, exec_lo, s10
	s_delay_alu instid0(VALU_DEP_2) | instskip(NEXT) | instid1(VALU_DEP_2)
	v_lshrrev_b64 v[16:17], 20, v[16:17]
	v_cmp_gt_i32_e32 vcc_lo, 16, v3
	v_cmp_ne_u32_e64 s10, 0, v3
                                        ; implicit-def: $vgpr46
	s_delay_alu instid0(VALU_DEP_3) | instskip(NEXT) | instid1(VALU_DEP_1)
	v_dual_cndmask_b32 v17, 0, v17 :: v_dual_cndmask_b32 v16, 7, v16
	v_cmp_ne_u64_e32 vcc_lo, 0, v[16:17]
	s_or_b32 s10, s10, vcc_lo
	s_delay_alu instid0(SALU_CYCLE_1) | instskip(NEXT) | instid1(SALU_CYCLE_1)
	s_and_saveexec_b32 s41, s10
	s_xor_b32 s10, exec_lo, s41
; %bb.3321:                             ;   in Loop: Header=BB4_2771 Depth=2
	v_min_i32_e32 v3, 15, v3
	s_delay_alu instid0(VALU_DEP_1) | instskip(NEXT) | instid1(VALU_DEP_1)
	v_lshl_or_b32 v2, v3, 3, v2
	v_and_or_b32 v46, v16, 7, v2
                                        ; implicit-def: $vgpr2
; %bb.3322:                             ;   in Loop: Header=BB4_2771 Depth=2
	s_and_not1_saveexec_b32 s10, s10
; %bb.3323:                             ;   in Loop: Header=BB4_2771 Depth=2
	v_mov_b32_e32 v46, v2
; %bb.3324:                             ;   in Loop: Header=BB4_2771 Depth=2
	s_or_b32 exec_lo, exec_lo, s10
.LBB4_3325:                             ;   in Loop: Header=BB4_2771 Depth=2
	s_delay_alu instid0(SALU_CYCLE_1)
	s_or_b32 exec_lo, exec_lo, s40
                                        ; implicit-def: $vgpr2
.LBB4_3326:                             ;   in Loop: Header=BB4_2771 Depth=2
	s_and_not1_saveexec_b32 s10, s29
; %bb.3327:                             ;   in Loop: Header=BB4_2771 Depth=2
	v_or_b32_e32 v46, 0x7e, v2
; %bb.3328:                             ;   in Loop: Header=BB4_2771 Depth=2
	s_or_b32 exec_lo, exec_lo, s10
                                        ; implicit-def: $vgpr2
.LBB4_3329:                             ;   in Loop: Header=BB4_2771 Depth=2
	s_and_not1_saveexec_b32 s10, s11
; %bb.3330:                             ;   in Loop: Header=BB4_2771 Depth=2
	v_or_b32_e32 v46, 0x7f, v2
; %bb.3331:                             ;   in Loop: Header=BB4_2771 Depth=2
	s_or_b32 exec_lo, exec_lo, s10
	v_and_b32_e32 v16, 0xff, v56
	v_dual_mov_b32 v2, 0 :: v_dual_mov_b32 v3, 0
	s_mov_b32 s10, exec_lo
	s_delay_alu instid0(VALU_DEP_2)
	v_cmpx_ne_u16_e32 0, v16
	s_cbranch_execz .LBB4_3339
; %bb.3332:                             ;   in Loop: Header=BB4_2771 Depth=2
	v_bfrev_b32_e32 v3, 1
	s_mov_b32 s11, exec_lo
	v_cmpx_ne_u16_e32 0x80, v16
	s_cbranch_execz .LBB4_3338
; %bb.3333:                             ;   in Loop: Header=BB4_2771 Depth=2
	v_and_b32_e32 v17, 0x7f, v56
	v_mov_b32_e32 v3, 0x7f800001
	s_mov_b32 s29, exec_lo
	s_delay_alu instid0(VALU_DEP_2)
	v_cmpx_ne_u32_e32 0x7f, v17
	s_cbranch_execz .LBB4_3337
; %bb.3334:                             ;   in Loop: Header=BB4_2771 Depth=2
	v_dual_lshrrev_b32 v3, 3, v17 :: v_dual_bitop2_b32 v38, 7, v16 bitop3:0x40
	v_cmp_gt_u32_e32 vcc_lo, 8, v17
	s_delay_alu instid0(VALU_DEP_2)
	v_mov_b64_e32 v[16:17], v[38:39]
	s_and_saveexec_b32 s40, vcc_lo
; %bb.3335:                             ;   in Loop: Header=BB4_2771 Depth=2
	v_clz_i32_u32_e32 v3, v38
	s_delay_alu instid0(VALU_DEP_1) | instskip(NEXT) | instid1(VALU_DEP_1)
	v_min_u32_e32 v3, 32, v3
	v_subrev_nc_u32_e32 v16, 28, v3
	s_delay_alu instid0(VALU_DEP_1) | instskip(NEXT) | instid1(VALU_DEP_1)
	v_lshlrev_b64_e32 v[16:17], v16, v[38:39]
	v_dual_sub_nc_u32 v3, 29, v3 :: v_dual_bitop2_b32 v16, 7, v16 bitop3:0x40
; %bb.3336:                             ;   in Loop: Header=BB4_2771 Depth=2
	s_or_b32 exec_lo, exec_lo, s40
	v_lshlrev_b32_e32 v17, 24, v56
	s_delay_alu instid0(VALU_DEP_2) | instskip(NEXT) | instid1(VALU_DEP_3)
	v_lshlrev_b32_e32 v16, 20, v16
	v_lshl_add_u32 v3, v3, 23, 0x3c000000
	s_delay_alu instid0(VALU_DEP_3) | instskip(NEXT) | instid1(VALU_DEP_1)
	v_and_b32_e32 v17, 0x80000000, v17
	v_or3_b32 v3, v16, v17, v3
.LBB4_3337:                             ;   in Loop: Header=BB4_2771 Depth=2
	s_or_b32 exec_lo, exec_lo, s29
.LBB4_3338:                             ;   in Loop: Header=BB4_2771 Depth=2
	s_delay_alu instid0(SALU_CYCLE_1)
	s_or_b32 exec_lo, exec_lo, s11
.LBB4_3339:                             ;   in Loop: Header=BB4_2771 Depth=2
	s_delay_alu instid0(SALU_CYCLE_1) | instskip(SKIP_3) | instid1(VALU_DEP_1)
	s_or_b32 exec_lo, exec_lo, s10
	s_wait_loadcnt_dscnt 0xc0c
	v_and_b32_e32 v16, 0xff, v74
	s_mov_b32 s10, exec_lo
	v_cmpx_ne_u16_e32 0, v16
	s_cbranch_execz .LBB4_3347
; %bb.3340:                             ;   in Loop: Header=BB4_2771 Depth=2
	v_bfrev_b32_e32 v2, 1
	s_mov_b32 s11, exec_lo
	v_cmpx_ne_u16_e32 0x80, v16
	s_cbranch_execz .LBB4_3346
; %bb.3341:                             ;   in Loop: Header=BB4_2771 Depth=2
	v_and_b32_e32 v17, 0x7f, v74
	v_mov_b32_e32 v2, 0x7f800001
	s_mov_b32 s29, exec_lo
	s_delay_alu instid0(VALU_DEP_2)
	v_cmpx_ne_u32_e32 0x7f, v17
	s_cbranch_execz .LBB4_3345
; %bb.3342:                             ;   in Loop: Header=BB4_2771 Depth=2
	v_dual_lshrrev_b32 v2, 3, v17 :: v_dual_bitop2_b32 v38, 7, v16 bitop3:0x40
	v_cmp_gt_u32_e32 vcc_lo, 8, v17
	s_delay_alu instid0(VALU_DEP_2)
	v_mov_b64_e32 v[16:17], v[38:39]
	s_and_saveexec_b32 s40, vcc_lo
; %bb.3343:                             ;   in Loop: Header=BB4_2771 Depth=2
	v_clz_i32_u32_e32 v2, v38
	s_delay_alu instid0(VALU_DEP_1) | instskip(NEXT) | instid1(VALU_DEP_1)
	v_min_u32_e32 v2, 32, v2
	v_subrev_nc_u32_e32 v16, 28, v2
	s_delay_alu instid0(VALU_DEP_1) | instskip(NEXT) | instid1(VALU_DEP_1)
	v_lshlrev_b64_e32 v[16:17], v16, v[38:39]
	v_dual_sub_nc_u32 v2, 29, v2 :: v_dual_bitop2_b32 v16, 7, v16 bitop3:0x40
; %bb.3344:                             ;   in Loop: Header=BB4_2771 Depth=2
	s_or_b32 exec_lo, exec_lo, s40
	s_delay_alu instid0(VALU_DEP_1) | instskip(NEXT) | instid1(VALU_DEP_2)
	v_dual_lshlrev_b32 v17, 24, v74 :: v_dual_lshlrev_b32 v16, 20, v16
	v_lshl_add_u32 v2, v2, 23, 0x3c000000
	s_delay_alu instid0(VALU_DEP_2) | instskip(NEXT) | instid1(VALU_DEP_1)
	v_and_b32_e32 v17, 0x80000000, v17
	v_or3_b32 v2, v16, v17, v2
.LBB4_3345:                             ;   in Loop: Header=BB4_2771 Depth=2
	s_or_b32 exec_lo, exec_lo, s29
.LBB4_3346:                             ;   in Loop: Header=BB4_2771 Depth=2
	s_delay_alu instid0(SALU_CYCLE_1)
	s_or_b32 exec_lo, exec_lo, s11
.LBB4_3347:                             ;   in Loop: Header=BB4_2771 Depth=2
	s_delay_alu instid0(SALU_CYCLE_1) | instskip(NEXT) | instid1(VALU_DEP_1)
	s_or_b32 exec_lo, exec_lo, s10
	v_add_f32_e32 v3, v3, v2
                                        ; implicit-def: $vgpr56
	s_mov_b32 s10, exec_lo
	s_delay_alu instid0(VALU_DEP_1) | instskip(SKIP_1) | instid1(VALU_DEP_2)
	v_and_b32_e32 v38, 0x7f800000, v3
	v_lshrrev_b32_e32 v2, 24, v3
	v_cmpx_ne_u64_e32 0x7f800000, v[38:39]
	s_xor_b32 s11, exec_lo, s10
	s_cbranch_execz .LBB4_3365
; %bb.3348:                             ;   in Loop: Header=BB4_2771 Depth=2
	v_and_b32_e32 v38, 0x7fffffff, v3
	v_and_b32_e32 v2, 0x80, v2
                                        ; implicit-def: $vgpr56
	s_mov_b32 s10, exec_lo
	s_delay_alu instid0(VALU_DEP_2)
	v_cmpx_gt_u64_e32 0x43e00001, v[38:39]
	s_xor_b32 s29, exec_lo, s10
	s_cbranch_execz .LBB4_3362
; %bb.3349:                             ;   in Loop: Header=BB4_2771 Depth=2
	v_mov_b32_e32 v56, 0
	s_mov_b32 s40, exec_lo
	v_cmpx_ne_u32_e32 0, v3
	s_cbranch_execz .LBB4_3361
; %bb.3350:                             ;   in Loop: Header=BB4_2771 Depth=2
	v_bfe_u32 v113, v3, 23, 8
	v_and_b32_e32 v3, 0x7fffff, v3
	s_delay_alu instid0(VALU_DEP_2) | instskip(SKIP_1) | instid1(VALU_DEP_3)
	v_sub_nc_u32_e32 v16, 0x79, v113
	v_cmp_gt_u32_e32 vcc_lo, 0x7a, v113
	v_or_b32_e32 v20, 0x800000, v3
	s_delay_alu instid0(VALU_DEP_3) | instskip(SKIP_1) | instid1(VALU_DEP_3)
	v_cndmask_b32_e32 v16, 0, v16, vcc_lo
	v_cmp_eq_u32_e32 vcc_lo, 0, v113
	v_cndmask_b32_e32 v38, v20, v3, vcc_lo
	s_delay_alu instid0(VALU_DEP_3) | instskip(NEXT) | instid1(VALU_DEP_1)
	v_cndmask_b32_e64 v56, v16, 0x78, vcc_lo
	v_dual_add_nc_u32 v16, 20, v56 :: v_dual_add_nc_u32 v21, 19, v56
	s_delay_alu instid0(VALU_DEP_1) | instskip(NEXT) | instid1(VALU_DEP_2)
	v_lshlrev_b64_e64 v[16:17], v16, -1
	v_lshlrev_b64_e64 v[20:21], v21, 1
	s_delay_alu instid0(VALU_DEP_2) | instskip(NEXT) | instid1(VALU_DEP_3)
	v_bfi_b32 v83, v17, 0, 0
	v_bfi_b32 v82, v16, 0, v38
	v_lshrrev_b64 v[16:17], v56, v[38:39]
	s_delay_alu instid0(VALU_DEP_2) | instskip(NEXT) | instid1(VALU_DEP_2)
	v_cmp_eq_u64_e64 s10, v[82:83], v[20:21]
	v_mov_b64_e32 v[82:83], v[16:17]
	s_and_saveexec_b32 s41, s10
; %bb.3351:                             ;   in Loop: Header=BB4_2771 Depth=2
	v_bfe_u32 v38, v16, 20, 1
	s_delay_alu instid0(VALU_DEP_1) | instskip(NEXT) | instid1(VALU_DEP_1)
	v_add_nc_u64_e32 v[20:21], v[16:17], v[38:39]
	v_add_nc_u64_e32 v[82:83], -1, v[20:21]
; %bb.3352:                             ;   in Loop: Header=BB4_2771 Depth=2
	s_or_b32 exec_lo, exec_lo, s41
	v_add_nc_u32_e32 v3, 0xffffff81, v113
	v_lshrrev_b32_e32 v17, 23, v16
	s_mov_b32 s10, exec_lo
	s_delay_alu instid0(VALU_DEP_2) | instskip(NEXT) | instid1(VALU_DEP_1)
	v_cndmask_b32_e64 v3, v3, 0xffffff82, vcc_lo
	v_add3_u32 v83, v56, v3, v17
	v_and_b32_e32 v3, 0xfffff, v82
	s_delay_alu instid0(VALU_DEP_1) | instskip(NEXT) | instid1(VALU_DEP_1)
	v_dual_add_nc_u32 v82, 6, v83 :: v_dual_add_nc_u32 v38, v3, v16
                                        ; implicit-def: $vgpr16_vgpr17
                                        ; implicit-def: $vgpr3
	v_cmpx_ne_u32_e32 0, v82
	s_xor_b32 s10, exec_lo, s10
; %bb.3353:                             ;   in Loop: Header=BB4_2771 Depth=2
	s_delay_alu instid0(VALU_DEP_2) | instskip(SKIP_2) | instid1(VALU_DEP_2)
	v_cmp_lt_u64_e32 vcc_lo, 0xffffff, v[38:39]
	v_add_nc_u32_e32 v3, 7, v83
	v_cndmask_b32_e64 v16, 0, 1, vcc_lo
	v_cndmask_b32_e32 v3, v82, v3, vcc_lo
	s_delay_alu instid0(VALU_DEP_2)
	v_lshrrev_b64 v[16:17], v16, v[38:39]
; %bb.3354:                             ;   in Loop: Header=BB4_2771 Depth=2
	s_and_not1_saveexec_b32 s10, s10
; %bb.3355:                             ;   in Loop: Header=BB4_2771 Depth=2
	v_mov_b64_e32 v[16:17], v[38:39]
	v_bfe_u32 v3, v38, 23, 1
; %bb.3356:                             ;   in Loop: Header=BB4_2771 Depth=2
	s_or_b32 exec_lo, exec_lo, s10
	s_delay_alu instid0(VALU_DEP_2) | instskip(NEXT) | instid1(VALU_DEP_2)
	v_lshrrev_b64 v[16:17], 20, v[16:17]
	v_cmp_gt_i32_e32 vcc_lo, 16, v3
	v_cmp_ne_u32_e64 s10, 0, v3
                                        ; implicit-def: $vgpr56
	s_delay_alu instid0(VALU_DEP_3) | instskip(NEXT) | instid1(VALU_DEP_1)
	v_dual_cndmask_b32 v17, 0, v17 :: v_dual_cndmask_b32 v16, 7, v16
	v_cmp_ne_u64_e32 vcc_lo, 0, v[16:17]
	s_or_b32 s10, s10, vcc_lo
	s_delay_alu instid0(SALU_CYCLE_1) | instskip(NEXT) | instid1(SALU_CYCLE_1)
	s_and_saveexec_b32 s41, s10
	s_xor_b32 s10, exec_lo, s41
; %bb.3357:                             ;   in Loop: Header=BB4_2771 Depth=2
	v_min_i32_e32 v3, 15, v3
	s_delay_alu instid0(VALU_DEP_1) | instskip(NEXT) | instid1(VALU_DEP_1)
	v_lshl_or_b32 v2, v3, 3, v2
	v_and_or_b32 v56, v16, 7, v2
                                        ; implicit-def: $vgpr2
; %bb.3358:                             ;   in Loop: Header=BB4_2771 Depth=2
	s_and_not1_saveexec_b32 s10, s10
; %bb.3359:                             ;   in Loop: Header=BB4_2771 Depth=2
	v_mov_b32_e32 v56, v2
; %bb.3360:                             ;   in Loop: Header=BB4_2771 Depth=2
	s_or_b32 exec_lo, exec_lo, s10
.LBB4_3361:                             ;   in Loop: Header=BB4_2771 Depth=2
	s_delay_alu instid0(SALU_CYCLE_1)
	s_or_b32 exec_lo, exec_lo, s40
                                        ; implicit-def: $vgpr2
.LBB4_3362:                             ;   in Loop: Header=BB4_2771 Depth=2
	s_and_not1_saveexec_b32 s10, s29
; %bb.3363:                             ;   in Loop: Header=BB4_2771 Depth=2
	v_or_b32_e32 v56, 0x7e, v2
; %bb.3364:                             ;   in Loop: Header=BB4_2771 Depth=2
	s_or_b32 exec_lo, exec_lo, s10
                                        ; implicit-def: $vgpr2
.LBB4_3365:                             ;   in Loop: Header=BB4_2771 Depth=2
	s_and_not1_saveexec_b32 s10, s11
; %bb.3366:                             ;   in Loop: Header=BB4_2771 Depth=2
	v_or_b32_e32 v56, 0x7f, v2
; %bb.3367:                             ;   in Loop: Header=BB4_2771 Depth=2
	s_or_b32 exec_lo, exec_lo, s10
	v_and_b32_e32 v16, 0xff, v47
	v_dual_mov_b32 v2, 0 :: v_dual_mov_b32 v3, 0
	s_mov_b32 s10, exec_lo
	s_delay_alu instid0(VALU_DEP_2)
	v_cmpx_ne_u16_e32 0, v16
	s_cbranch_execz .LBB4_3375
; %bb.3368:                             ;   in Loop: Header=BB4_2771 Depth=2
	v_bfrev_b32_e32 v3, 1
	s_mov_b32 s11, exec_lo
	v_cmpx_ne_u16_e32 0x80, v16
	s_cbranch_execz .LBB4_3374
; %bb.3369:                             ;   in Loop: Header=BB4_2771 Depth=2
	v_and_b32_e32 v17, 0x7f, v47
	v_mov_b32_e32 v3, 0x7f800001
	s_mov_b32 s29, exec_lo
	s_delay_alu instid0(VALU_DEP_2)
	v_cmpx_ne_u32_e32 0x7f, v17
	s_cbranch_execz .LBB4_3373
; %bb.3370:                             ;   in Loop: Header=BB4_2771 Depth=2
	v_dual_lshrrev_b32 v3, 3, v17 :: v_dual_bitop2_b32 v38, 7, v16 bitop3:0x40
	v_cmp_gt_u32_e32 vcc_lo, 8, v17
	s_delay_alu instid0(VALU_DEP_2)
	v_mov_b64_e32 v[16:17], v[38:39]
	s_and_saveexec_b32 s40, vcc_lo
; %bb.3371:                             ;   in Loop: Header=BB4_2771 Depth=2
	v_clz_i32_u32_e32 v3, v38
	s_delay_alu instid0(VALU_DEP_1) | instskip(NEXT) | instid1(VALU_DEP_1)
	v_min_u32_e32 v3, 32, v3
	v_subrev_nc_u32_e32 v16, 28, v3
	s_delay_alu instid0(VALU_DEP_1) | instskip(NEXT) | instid1(VALU_DEP_1)
	v_lshlrev_b64_e32 v[16:17], v16, v[38:39]
	v_dual_sub_nc_u32 v3, 29, v3 :: v_dual_bitop2_b32 v16, 7, v16 bitop3:0x40
; %bb.3372:                             ;   in Loop: Header=BB4_2771 Depth=2
	s_or_b32 exec_lo, exec_lo, s40
	s_delay_alu instid0(VALU_DEP_1) | instskip(NEXT) | instid1(VALU_DEP_2)
	v_dual_lshlrev_b32 v17, 24, v47 :: v_dual_lshlrev_b32 v16, 20, v16
	v_lshl_add_u32 v3, v3, 23, 0x3c000000
	s_delay_alu instid0(VALU_DEP_2) | instskip(NEXT) | instid1(VALU_DEP_1)
	v_and_b32_e32 v17, 0x80000000, v17
	v_or3_b32 v3, v16, v17, v3
.LBB4_3373:                             ;   in Loop: Header=BB4_2771 Depth=2
	s_or_b32 exec_lo, exec_lo, s29
.LBB4_3374:                             ;   in Loop: Header=BB4_2771 Depth=2
	s_delay_alu instid0(SALU_CYCLE_1)
	s_or_b32 exec_lo, exec_lo, s11
.LBB4_3375:                             ;   in Loop: Header=BB4_2771 Depth=2
	s_delay_alu instid0(SALU_CYCLE_1) | instskip(SKIP_3) | instid1(VALU_DEP_1)
	s_or_b32 exec_lo, exec_lo, s10
	s_wait_loadcnt_dscnt 0xb0b
	v_and_b32_e32 v16, 0xff, v73
	s_mov_b32 s10, exec_lo
	v_cmpx_ne_u16_e32 0, v16
	s_cbranch_execz .LBB4_3383
; %bb.3376:                             ;   in Loop: Header=BB4_2771 Depth=2
	v_bfrev_b32_e32 v2, 1
	s_mov_b32 s11, exec_lo
	v_cmpx_ne_u16_e32 0x80, v16
	s_cbranch_execz .LBB4_3382
; %bb.3377:                             ;   in Loop: Header=BB4_2771 Depth=2
	v_and_b32_e32 v17, 0x7f, v73
	v_mov_b32_e32 v2, 0x7f800001
	s_mov_b32 s29, exec_lo
	s_delay_alu instid0(VALU_DEP_2)
	v_cmpx_ne_u32_e32 0x7f, v17
	s_cbranch_execz .LBB4_3381
; %bb.3378:                             ;   in Loop: Header=BB4_2771 Depth=2
	v_dual_lshrrev_b32 v2, 3, v17 :: v_dual_bitop2_b32 v38, 7, v16 bitop3:0x40
	v_cmp_gt_u32_e32 vcc_lo, 8, v17
	s_delay_alu instid0(VALU_DEP_2)
	v_mov_b64_e32 v[16:17], v[38:39]
	s_and_saveexec_b32 s40, vcc_lo
; %bb.3379:                             ;   in Loop: Header=BB4_2771 Depth=2
	v_clz_i32_u32_e32 v2, v38
	s_delay_alu instid0(VALU_DEP_1) | instskip(NEXT) | instid1(VALU_DEP_1)
	v_min_u32_e32 v2, 32, v2
	v_subrev_nc_u32_e32 v16, 28, v2
	s_delay_alu instid0(VALU_DEP_1) | instskip(NEXT) | instid1(VALU_DEP_1)
	v_lshlrev_b64_e32 v[16:17], v16, v[38:39]
	v_dual_sub_nc_u32 v2, 29, v2 :: v_dual_bitop2_b32 v16, 7, v16 bitop3:0x40
; %bb.3380:                             ;   in Loop: Header=BB4_2771 Depth=2
	s_or_b32 exec_lo, exec_lo, s40
	s_delay_alu instid0(VALU_DEP_1) | instskip(NEXT) | instid1(VALU_DEP_2)
	v_dual_lshlrev_b32 v17, 24, v73 :: v_dual_lshlrev_b32 v16, 20, v16
	v_lshl_add_u32 v2, v2, 23, 0x3c000000
	s_delay_alu instid0(VALU_DEP_2) | instskip(NEXT) | instid1(VALU_DEP_1)
	v_and_b32_e32 v17, 0x80000000, v17
	v_or3_b32 v2, v16, v17, v2
.LBB4_3381:                             ;   in Loop: Header=BB4_2771 Depth=2
	s_or_b32 exec_lo, exec_lo, s29
.LBB4_3382:                             ;   in Loop: Header=BB4_2771 Depth=2
	s_delay_alu instid0(SALU_CYCLE_1)
	s_or_b32 exec_lo, exec_lo, s11
.LBB4_3383:                             ;   in Loop: Header=BB4_2771 Depth=2
	s_delay_alu instid0(SALU_CYCLE_1) | instskip(NEXT) | instid1(VALU_DEP_1)
	s_or_b32 exec_lo, exec_lo, s10
	v_add_f32_e32 v3, v3, v2
                                        ; implicit-def: $vgpr47
	s_mov_b32 s10, exec_lo
	s_delay_alu instid0(VALU_DEP_1) | instskip(SKIP_1) | instid1(VALU_DEP_2)
	v_and_b32_e32 v38, 0x7f800000, v3
	v_lshrrev_b32_e32 v2, 24, v3
	v_cmpx_ne_u64_e32 0x7f800000, v[38:39]
	s_xor_b32 s11, exec_lo, s10
	s_cbranch_execz .LBB4_3401
; %bb.3384:                             ;   in Loop: Header=BB4_2771 Depth=2
	v_and_b32_e32 v38, 0x7fffffff, v3
	v_and_b32_e32 v2, 0x80, v2
                                        ; implicit-def: $vgpr47
	s_mov_b32 s10, exec_lo
	s_delay_alu instid0(VALU_DEP_2)
	v_cmpx_gt_u64_e32 0x43e00001, v[38:39]
	s_xor_b32 s29, exec_lo, s10
	s_cbranch_execz .LBB4_3398
; %bb.3385:                             ;   in Loop: Header=BB4_2771 Depth=2
	v_mov_b32_e32 v47, 0
	s_mov_b32 s40, exec_lo
	v_cmpx_ne_u32_e32 0, v3
	s_cbranch_execz .LBB4_3397
; %bb.3386:                             ;   in Loop: Header=BB4_2771 Depth=2
	v_bfe_u32 v113, v3, 23, 8
	v_and_b32_e32 v3, 0x7fffff, v3
	s_delay_alu instid0(VALU_DEP_2) | instskip(SKIP_1) | instid1(VALU_DEP_3)
	v_sub_nc_u32_e32 v16, 0x79, v113
	v_cmp_gt_u32_e32 vcc_lo, 0x7a, v113
	v_or_b32_e32 v20, 0x800000, v3
	s_delay_alu instid0(VALU_DEP_3) | instskip(SKIP_1) | instid1(VALU_DEP_2)
	v_cndmask_b32_e32 v16, 0, v16, vcc_lo
	v_cmp_eq_u32_e32 vcc_lo, 0, v113
	v_cndmask_b32_e64 v47, v16, 0x78, vcc_lo
	s_delay_alu instid0(VALU_DEP_4) | instskip(NEXT) | instid1(VALU_DEP_2)
	v_cndmask_b32_e32 v38, v20, v3, vcc_lo
	v_dual_add_nc_u32 v16, 20, v47 :: v_dual_add_nc_u32 v21, 19, v47
	s_delay_alu instid0(VALU_DEP_1) | instskip(NEXT) | instid1(VALU_DEP_2)
	v_lshlrev_b64_e64 v[16:17], v16, -1
	v_lshlrev_b64_e64 v[20:21], v21, 1
	s_delay_alu instid0(VALU_DEP_2) | instskip(NEXT) | instid1(VALU_DEP_3)
	v_bfi_b32 v83, v17, 0, 0
	v_bfi_b32 v82, v16, 0, v38
	v_lshrrev_b64 v[16:17], v47, v[38:39]
	s_delay_alu instid0(VALU_DEP_2) | instskip(NEXT) | instid1(VALU_DEP_2)
	v_cmp_eq_u64_e64 s10, v[82:83], v[20:21]
	v_mov_b64_e32 v[82:83], v[16:17]
	s_and_saveexec_b32 s41, s10
; %bb.3387:                             ;   in Loop: Header=BB4_2771 Depth=2
	v_bfe_u32 v38, v16, 20, 1
	s_delay_alu instid0(VALU_DEP_1) | instskip(NEXT) | instid1(VALU_DEP_1)
	v_add_nc_u64_e32 v[20:21], v[16:17], v[38:39]
	v_add_nc_u64_e32 v[82:83], -1, v[20:21]
; %bb.3388:                             ;   in Loop: Header=BB4_2771 Depth=2
	s_or_b32 exec_lo, exec_lo, s41
	v_add_nc_u32_e32 v3, 0xffffff81, v113
	v_lshrrev_b32_e32 v17, 23, v16
	s_mov_b32 s10, exec_lo
	s_delay_alu instid0(VALU_DEP_2) | instskip(NEXT) | instid1(VALU_DEP_1)
	v_cndmask_b32_e64 v3, v3, 0xffffff82, vcc_lo
	v_add3_u32 v83, v47, v3, v17
	v_and_b32_e32 v3, 0xfffff, v82
	s_delay_alu instid0(VALU_DEP_1) | instskip(NEXT) | instid1(VALU_DEP_1)
	v_dual_add_nc_u32 v82, 6, v83 :: v_dual_add_nc_u32 v38, v3, v16
                                        ; implicit-def: $vgpr16_vgpr17
                                        ; implicit-def: $vgpr3
	v_cmpx_ne_u32_e32 0, v82
	s_xor_b32 s10, exec_lo, s10
; %bb.3389:                             ;   in Loop: Header=BB4_2771 Depth=2
	s_delay_alu instid0(VALU_DEP_2) | instskip(SKIP_2) | instid1(VALU_DEP_2)
	v_cmp_lt_u64_e32 vcc_lo, 0xffffff, v[38:39]
	v_add_nc_u32_e32 v3, 7, v83
	v_cndmask_b32_e64 v16, 0, 1, vcc_lo
	v_cndmask_b32_e32 v3, v82, v3, vcc_lo
	s_delay_alu instid0(VALU_DEP_2)
	v_lshrrev_b64 v[16:17], v16, v[38:39]
; %bb.3390:                             ;   in Loop: Header=BB4_2771 Depth=2
	s_and_not1_saveexec_b32 s10, s10
; %bb.3391:                             ;   in Loop: Header=BB4_2771 Depth=2
	v_mov_b64_e32 v[16:17], v[38:39]
	v_bfe_u32 v3, v38, 23, 1
; %bb.3392:                             ;   in Loop: Header=BB4_2771 Depth=2
	s_or_b32 exec_lo, exec_lo, s10
	s_delay_alu instid0(VALU_DEP_2) | instskip(NEXT) | instid1(VALU_DEP_2)
	v_lshrrev_b64 v[16:17], 20, v[16:17]
	v_cmp_gt_i32_e32 vcc_lo, 16, v3
	v_cmp_ne_u32_e64 s10, 0, v3
                                        ; implicit-def: $vgpr47
	s_delay_alu instid0(VALU_DEP_3) | instskip(NEXT) | instid1(VALU_DEP_1)
	v_dual_cndmask_b32 v17, 0, v17 :: v_dual_cndmask_b32 v16, 7, v16
	v_cmp_ne_u64_e32 vcc_lo, 0, v[16:17]
	s_or_b32 s10, s10, vcc_lo
	s_delay_alu instid0(SALU_CYCLE_1) | instskip(NEXT) | instid1(SALU_CYCLE_1)
	s_and_saveexec_b32 s41, s10
	s_xor_b32 s10, exec_lo, s41
; %bb.3393:                             ;   in Loop: Header=BB4_2771 Depth=2
	v_min_i32_e32 v3, 15, v3
	s_delay_alu instid0(VALU_DEP_1) | instskip(NEXT) | instid1(VALU_DEP_1)
	v_lshl_or_b32 v2, v3, 3, v2
	v_and_or_b32 v47, v16, 7, v2
                                        ; implicit-def: $vgpr2
; %bb.3394:                             ;   in Loop: Header=BB4_2771 Depth=2
	s_and_not1_saveexec_b32 s10, s10
; %bb.3395:                             ;   in Loop: Header=BB4_2771 Depth=2
	v_mov_b32_e32 v47, v2
; %bb.3396:                             ;   in Loop: Header=BB4_2771 Depth=2
	s_or_b32 exec_lo, exec_lo, s10
.LBB4_3397:                             ;   in Loop: Header=BB4_2771 Depth=2
	s_delay_alu instid0(SALU_CYCLE_1)
	s_or_b32 exec_lo, exec_lo, s40
                                        ; implicit-def: $vgpr2
.LBB4_3398:                             ;   in Loop: Header=BB4_2771 Depth=2
	s_and_not1_saveexec_b32 s10, s29
; %bb.3399:                             ;   in Loop: Header=BB4_2771 Depth=2
	v_or_b32_e32 v47, 0x7e, v2
; %bb.3400:                             ;   in Loop: Header=BB4_2771 Depth=2
	s_or_b32 exec_lo, exec_lo, s10
                                        ; implicit-def: $vgpr2
.LBB4_3401:                             ;   in Loop: Header=BB4_2771 Depth=2
	s_and_not1_saveexec_b32 s10, s11
; %bb.3402:                             ;   in Loop: Header=BB4_2771 Depth=2
	v_or_b32_e32 v47, 0x7f, v2
; %bb.3403:                             ;   in Loop: Header=BB4_2771 Depth=2
	s_or_b32 exec_lo, exec_lo, s10
	v_and_b32_e32 v16, 0xff, v44
	v_dual_mov_b32 v2, 0 :: v_dual_mov_b32 v3, 0
	s_mov_b32 s10, exec_lo
	s_delay_alu instid0(VALU_DEP_2)
	v_cmpx_ne_u16_e32 0, v16
	s_cbranch_execz .LBB4_3411
; %bb.3404:                             ;   in Loop: Header=BB4_2771 Depth=2
	v_bfrev_b32_e32 v3, 1
	s_mov_b32 s11, exec_lo
	v_cmpx_ne_u16_e32 0x80, v16
	s_cbranch_execz .LBB4_3410
; %bb.3405:                             ;   in Loop: Header=BB4_2771 Depth=2
	v_and_b32_e32 v17, 0x7f, v44
	v_mov_b32_e32 v3, 0x7f800001
	s_mov_b32 s29, exec_lo
	s_delay_alu instid0(VALU_DEP_2)
	v_cmpx_ne_u32_e32 0x7f, v17
	s_cbranch_execz .LBB4_3409
; %bb.3406:                             ;   in Loop: Header=BB4_2771 Depth=2
	v_dual_lshrrev_b32 v3, 3, v17 :: v_dual_bitop2_b32 v38, 7, v16 bitop3:0x40
	v_cmp_gt_u32_e32 vcc_lo, 8, v17
	s_delay_alu instid0(VALU_DEP_2)
	v_mov_b64_e32 v[16:17], v[38:39]
	s_and_saveexec_b32 s40, vcc_lo
; %bb.3407:                             ;   in Loop: Header=BB4_2771 Depth=2
	v_clz_i32_u32_e32 v3, v38
	s_delay_alu instid0(VALU_DEP_1) | instskip(NEXT) | instid1(VALU_DEP_1)
	v_min_u32_e32 v3, 32, v3
	v_subrev_nc_u32_e32 v16, 28, v3
	s_delay_alu instid0(VALU_DEP_1) | instskip(NEXT) | instid1(VALU_DEP_1)
	v_lshlrev_b64_e32 v[16:17], v16, v[38:39]
	v_dual_sub_nc_u32 v3, 29, v3 :: v_dual_bitop2_b32 v16, 7, v16 bitop3:0x40
; %bb.3408:                             ;   in Loop: Header=BB4_2771 Depth=2
	s_or_b32 exec_lo, exec_lo, s40
	v_lshlrev_b32_e32 v17, 24, v44
	s_delay_alu instid0(VALU_DEP_2) | instskip(NEXT) | instid1(VALU_DEP_3)
	v_lshlrev_b32_e32 v16, 20, v16
	v_lshl_add_u32 v3, v3, 23, 0x3c000000
	s_delay_alu instid0(VALU_DEP_3) | instskip(NEXT) | instid1(VALU_DEP_1)
	v_and_b32_e32 v17, 0x80000000, v17
	v_or3_b32 v3, v16, v17, v3
.LBB4_3409:                             ;   in Loop: Header=BB4_2771 Depth=2
	s_or_b32 exec_lo, exec_lo, s29
.LBB4_3410:                             ;   in Loop: Header=BB4_2771 Depth=2
	s_delay_alu instid0(SALU_CYCLE_1)
	s_or_b32 exec_lo, exec_lo, s11
.LBB4_3411:                             ;   in Loop: Header=BB4_2771 Depth=2
	s_delay_alu instid0(SALU_CYCLE_1) | instskip(SKIP_3) | instid1(VALU_DEP_1)
	s_or_b32 exec_lo, exec_lo, s10
	s_wait_loadcnt_dscnt 0xa0a
	v_and_b32_e32 v16, 0xff, v72
	s_mov_b32 s10, exec_lo
	v_cmpx_ne_u16_e32 0, v16
	s_cbranch_execz .LBB4_3419
; %bb.3412:                             ;   in Loop: Header=BB4_2771 Depth=2
	v_bfrev_b32_e32 v2, 1
	s_mov_b32 s11, exec_lo
	v_cmpx_ne_u16_e32 0x80, v16
	s_cbranch_execz .LBB4_3418
; %bb.3413:                             ;   in Loop: Header=BB4_2771 Depth=2
	v_and_b32_e32 v17, 0x7f, v72
	v_mov_b32_e32 v2, 0x7f800001
	s_mov_b32 s29, exec_lo
	s_delay_alu instid0(VALU_DEP_2)
	v_cmpx_ne_u32_e32 0x7f, v17
	s_cbranch_execz .LBB4_3417
; %bb.3414:                             ;   in Loop: Header=BB4_2771 Depth=2
	v_dual_lshrrev_b32 v2, 3, v17 :: v_dual_bitop2_b32 v38, 7, v16 bitop3:0x40
	v_cmp_gt_u32_e32 vcc_lo, 8, v17
	s_delay_alu instid0(VALU_DEP_2)
	v_mov_b64_e32 v[16:17], v[38:39]
	s_and_saveexec_b32 s40, vcc_lo
; %bb.3415:                             ;   in Loop: Header=BB4_2771 Depth=2
	v_clz_i32_u32_e32 v2, v38
	s_delay_alu instid0(VALU_DEP_1) | instskip(NEXT) | instid1(VALU_DEP_1)
	v_min_u32_e32 v2, 32, v2
	v_subrev_nc_u32_e32 v16, 28, v2
	s_delay_alu instid0(VALU_DEP_1) | instskip(NEXT) | instid1(VALU_DEP_1)
	v_lshlrev_b64_e32 v[16:17], v16, v[38:39]
	v_dual_sub_nc_u32 v2, 29, v2 :: v_dual_bitop2_b32 v16, 7, v16 bitop3:0x40
; %bb.3416:                             ;   in Loop: Header=BB4_2771 Depth=2
	s_or_b32 exec_lo, exec_lo, s40
	v_lshlrev_b32_e32 v17, 24, v72
	s_delay_alu instid0(VALU_DEP_2) | instskip(NEXT) | instid1(VALU_DEP_3)
	v_lshlrev_b32_e32 v16, 20, v16
	v_lshl_add_u32 v2, v2, 23, 0x3c000000
	s_delay_alu instid0(VALU_DEP_3) | instskip(NEXT) | instid1(VALU_DEP_1)
	v_and_b32_e32 v17, 0x80000000, v17
	v_or3_b32 v2, v16, v17, v2
.LBB4_3417:                             ;   in Loop: Header=BB4_2771 Depth=2
	s_or_b32 exec_lo, exec_lo, s29
.LBB4_3418:                             ;   in Loop: Header=BB4_2771 Depth=2
	s_delay_alu instid0(SALU_CYCLE_1)
	s_or_b32 exec_lo, exec_lo, s11
.LBB4_3419:                             ;   in Loop: Header=BB4_2771 Depth=2
	s_delay_alu instid0(SALU_CYCLE_1) | instskip(NEXT) | instid1(VALU_DEP_1)
	s_or_b32 exec_lo, exec_lo, s10
	v_add_f32_e32 v3, v3, v2
                                        ; implicit-def: $vgpr44
	s_mov_b32 s10, exec_lo
	s_delay_alu instid0(VALU_DEP_1) | instskip(SKIP_1) | instid1(VALU_DEP_2)
	v_and_b32_e32 v38, 0x7f800000, v3
	v_lshrrev_b32_e32 v2, 24, v3
	v_cmpx_ne_u64_e32 0x7f800000, v[38:39]
	s_xor_b32 s11, exec_lo, s10
	s_cbranch_execz .LBB4_3437
; %bb.3420:                             ;   in Loop: Header=BB4_2771 Depth=2
	v_and_b32_e32 v38, 0x7fffffff, v3
	v_and_b32_e32 v2, 0x80, v2
                                        ; implicit-def: $vgpr44
	s_mov_b32 s10, exec_lo
	s_delay_alu instid0(VALU_DEP_2)
	v_cmpx_gt_u64_e32 0x43e00001, v[38:39]
	s_xor_b32 s29, exec_lo, s10
	s_cbranch_execz .LBB4_3434
; %bb.3421:                             ;   in Loop: Header=BB4_2771 Depth=2
	v_mov_b32_e32 v44, 0
	s_mov_b32 s40, exec_lo
	v_cmpx_ne_u32_e32 0, v3
	s_cbranch_execz .LBB4_3433
; %bb.3422:                             ;   in Loop: Header=BB4_2771 Depth=2
	v_bfe_u32 v113, v3, 23, 8
	v_and_b32_e32 v3, 0x7fffff, v3
	s_delay_alu instid0(VALU_DEP_2) | instskip(SKIP_1) | instid1(VALU_DEP_3)
	v_sub_nc_u32_e32 v16, 0x79, v113
	v_cmp_gt_u32_e32 vcc_lo, 0x7a, v113
	v_or_b32_e32 v20, 0x800000, v3
	s_delay_alu instid0(VALU_DEP_3) | instskip(SKIP_1) | instid1(VALU_DEP_3)
	v_cndmask_b32_e32 v16, 0, v16, vcc_lo
	v_cmp_eq_u32_e32 vcc_lo, 0, v113
	v_cndmask_b32_e32 v38, v20, v3, vcc_lo
	s_delay_alu instid0(VALU_DEP_3) | instskip(NEXT) | instid1(VALU_DEP_1)
	v_cndmask_b32_e64 v44, v16, 0x78, vcc_lo
	v_dual_add_nc_u32 v16, 20, v44 :: v_dual_add_nc_u32 v21, 19, v44
	s_delay_alu instid0(VALU_DEP_1) | instskip(NEXT) | instid1(VALU_DEP_2)
	v_lshlrev_b64_e64 v[16:17], v16, -1
	v_lshlrev_b64_e64 v[20:21], v21, 1
	s_delay_alu instid0(VALU_DEP_2) | instskip(NEXT) | instid1(VALU_DEP_3)
	v_bfi_b32 v83, v17, 0, 0
	v_bfi_b32 v82, v16, 0, v38
	v_lshrrev_b64 v[16:17], v44, v[38:39]
	s_delay_alu instid0(VALU_DEP_2) | instskip(NEXT) | instid1(VALU_DEP_2)
	v_cmp_eq_u64_e64 s10, v[82:83], v[20:21]
	v_mov_b64_e32 v[82:83], v[16:17]
	s_and_saveexec_b32 s41, s10
; %bb.3423:                             ;   in Loop: Header=BB4_2771 Depth=2
	v_bfe_u32 v38, v16, 20, 1
	s_delay_alu instid0(VALU_DEP_1) | instskip(NEXT) | instid1(VALU_DEP_1)
	v_add_nc_u64_e32 v[20:21], v[16:17], v[38:39]
	v_add_nc_u64_e32 v[82:83], -1, v[20:21]
; %bb.3424:                             ;   in Loop: Header=BB4_2771 Depth=2
	s_or_b32 exec_lo, exec_lo, s41
	v_add_nc_u32_e32 v3, 0xffffff81, v113
	v_lshrrev_b32_e32 v17, 23, v16
	s_mov_b32 s10, exec_lo
	s_delay_alu instid0(VALU_DEP_2) | instskip(NEXT) | instid1(VALU_DEP_1)
	v_cndmask_b32_e64 v3, v3, 0xffffff82, vcc_lo
	v_add3_u32 v83, v44, v3, v17
	v_and_b32_e32 v3, 0xfffff, v82
	s_delay_alu instid0(VALU_DEP_1) | instskip(NEXT) | instid1(VALU_DEP_1)
	v_dual_add_nc_u32 v82, 6, v83 :: v_dual_add_nc_u32 v38, v3, v16
                                        ; implicit-def: $vgpr16_vgpr17
                                        ; implicit-def: $vgpr3
	v_cmpx_ne_u32_e32 0, v82
	s_xor_b32 s10, exec_lo, s10
; %bb.3425:                             ;   in Loop: Header=BB4_2771 Depth=2
	s_delay_alu instid0(VALU_DEP_2) | instskip(SKIP_2) | instid1(VALU_DEP_2)
	v_cmp_lt_u64_e32 vcc_lo, 0xffffff, v[38:39]
	v_add_nc_u32_e32 v3, 7, v83
	v_cndmask_b32_e64 v16, 0, 1, vcc_lo
	v_cndmask_b32_e32 v3, v82, v3, vcc_lo
	s_delay_alu instid0(VALU_DEP_2)
	v_lshrrev_b64 v[16:17], v16, v[38:39]
; %bb.3426:                             ;   in Loop: Header=BB4_2771 Depth=2
	s_and_not1_saveexec_b32 s10, s10
; %bb.3427:                             ;   in Loop: Header=BB4_2771 Depth=2
	v_mov_b64_e32 v[16:17], v[38:39]
	v_bfe_u32 v3, v38, 23, 1
; %bb.3428:                             ;   in Loop: Header=BB4_2771 Depth=2
	s_or_b32 exec_lo, exec_lo, s10
	s_delay_alu instid0(VALU_DEP_2) | instskip(NEXT) | instid1(VALU_DEP_2)
	v_lshrrev_b64 v[16:17], 20, v[16:17]
	v_cmp_gt_i32_e32 vcc_lo, 16, v3
	v_cmp_ne_u32_e64 s10, 0, v3
                                        ; implicit-def: $vgpr44
	s_delay_alu instid0(VALU_DEP_3) | instskip(NEXT) | instid1(VALU_DEP_1)
	v_dual_cndmask_b32 v17, 0, v17 :: v_dual_cndmask_b32 v16, 7, v16
	v_cmp_ne_u64_e32 vcc_lo, 0, v[16:17]
	s_or_b32 s10, s10, vcc_lo
	s_delay_alu instid0(SALU_CYCLE_1) | instskip(NEXT) | instid1(SALU_CYCLE_1)
	s_and_saveexec_b32 s41, s10
	s_xor_b32 s10, exec_lo, s41
; %bb.3429:                             ;   in Loop: Header=BB4_2771 Depth=2
	v_min_i32_e32 v3, 15, v3
	s_delay_alu instid0(VALU_DEP_1) | instskip(NEXT) | instid1(VALU_DEP_1)
	v_lshl_or_b32 v2, v3, 3, v2
	v_and_or_b32 v44, v16, 7, v2
                                        ; implicit-def: $vgpr2
; %bb.3430:                             ;   in Loop: Header=BB4_2771 Depth=2
	s_and_not1_saveexec_b32 s10, s10
; %bb.3431:                             ;   in Loop: Header=BB4_2771 Depth=2
	v_mov_b32_e32 v44, v2
; %bb.3432:                             ;   in Loop: Header=BB4_2771 Depth=2
	s_or_b32 exec_lo, exec_lo, s10
.LBB4_3433:                             ;   in Loop: Header=BB4_2771 Depth=2
	s_delay_alu instid0(SALU_CYCLE_1)
	s_or_b32 exec_lo, exec_lo, s40
                                        ; implicit-def: $vgpr2
.LBB4_3434:                             ;   in Loop: Header=BB4_2771 Depth=2
	s_and_not1_saveexec_b32 s10, s29
; %bb.3435:                             ;   in Loop: Header=BB4_2771 Depth=2
	v_or_b32_e32 v44, 0x7e, v2
; %bb.3436:                             ;   in Loop: Header=BB4_2771 Depth=2
	s_or_b32 exec_lo, exec_lo, s10
                                        ; implicit-def: $vgpr2
.LBB4_3437:                             ;   in Loop: Header=BB4_2771 Depth=2
	s_and_not1_saveexec_b32 s10, s11
; %bb.3438:                             ;   in Loop: Header=BB4_2771 Depth=2
	v_or_b32_e32 v44, 0x7f, v2
; %bb.3439:                             ;   in Loop: Header=BB4_2771 Depth=2
	s_or_b32 exec_lo, exec_lo, s10
	v_and_b32_e32 v16, 0xff, v43
	v_dual_mov_b32 v2, 0 :: v_dual_mov_b32 v3, 0
	s_mov_b32 s10, exec_lo
	s_delay_alu instid0(VALU_DEP_2)
	v_cmpx_ne_u16_e32 0, v16
	s_cbranch_execz .LBB4_3447
; %bb.3440:                             ;   in Loop: Header=BB4_2771 Depth=2
	v_bfrev_b32_e32 v3, 1
	s_mov_b32 s11, exec_lo
	v_cmpx_ne_u16_e32 0x80, v16
	s_cbranch_execz .LBB4_3446
; %bb.3441:                             ;   in Loop: Header=BB4_2771 Depth=2
	v_and_b32_e32 v17, 0x7f, v43
	v_mov_b32_e32 v3, 0x7f800001
	s_mov_b32 s29, exec_lo
	s_delay_alu instid0(VALU_DEP_2)
	v_cmpx_ne_u32_e32 0x7f, v17
	s_cbranch_execz .LBB4_3445
; %bb.3442:                             ;   in Loop: Header=BB4_2771 Depth=2
	v_dual_lshrrev_b32 v3, 3, v17 :: v_dual_bitop2_b32 v38, 7, v16 bitop3:0x40
	v_cmp_gt_u32_e32 vcc_lo, 8, v17
	s_delay_alu instid0(VALU_DEP_2)
	v_mov_b64_e32 v[16:17], v[38:39]
	s_and_saveexec_b32 s40, vcc_lo
; %bb.3443:                             ;   in Loop: Header=BB4_2771 Depth=2
	v_clz_i32_u32_e32 v3, v38
	s_delay_alu instid0(VALU_DEP_1) | instskip(NEXT) | instid1(VALU_DEP_1)
	v_min_u32_e32 v3, 32, v3
	v_subrev_nc_u32_e32 v16, 28, v3
	s_delay_alu instid0(VALU_DEP_1) | instskip(NEXT) | instid1(VALU_DEP_1)
	v_lshlrev_b64_e32 v[16:17], v16, v[38:39]
	v_dual_sub_nc_u32 v3, 29, v3 :: v_dual_bitop2_b32 v16, 7, v16 bitop3:0x40
; %bb.3444:                             ;   in Loop: Header=BB4_2771 Depth=2
	s_or_b32 exec_lo, exec_lo, s40
	s_delay_alu instid0(VALU_DEP_1) | instskip(NEXT) | instid1(VALU_DEP_2)
	v_dual_lshlrev_b32 v17, 24, v43 :: v_dual_lshlrev_b32 v16, 20, v16
	v_lshl_add_u32 v3, v3, 23, 0x3c000000
	s_delay_alu instid0(VALU_DEP_2) | instskip(NEXT) | instid1(VALU_DEP_1)
	v_and_b32_e32 v17, 0x80000000, v17
	v_or3_b32 v3, v16, v17, v3
.LBB4_3445:                             ;   in Loop: Header=BB4_2771 Depth=2
	s_or_b32 exec_lo, exec_lo, s29
.LBB4_3446:                             ;   in Loop: Header=BB4_2771 Depth=2
	s_delay_alu instid0(SALU_CYCLE_1)
	s_or_b32 exec_lo, exec_lo, s11
.LBB4_3447:                             ;   in Loop: Header=BB4_2771 Depth=2
	s_delay_alu instid0(SALU_CYCLE_1) | instskip(SKIP_3) | instid1(VALU_DEP_1)
	s_or_b32 exec_lo, exec_lo, s10
	s_wait_loadcnt_dscnt 0x909
	v_and_b32_e32 v16, 0xff, v63
	s_mov_b32 s10, exec_lo
	v_cmpx_ne_u16_e32 0, v16
	s_cbranch_execz .LBB4_3455
; %bb.3448:                             ;   in Loop: Header=BB4_2771 Depth=2
	v_bfrev_b32_e32 v2, 1
	s_mov_b32 s11, exec_lo
	v_cmpx_ne_u16_e32 0x80, v16
	s_cbranch_execz .LBB4_3454
; %bb.3449:                             ;   in Loop: Header=BB4_2771 Depth=2
	v_and_b32_e32 v17, 0x7f, v63
	v_mov_b32_e32 v2, 0x7f800001
	s_mov_b32 s29, exec_lo
	s_delay_alu instid0(VALU_DEP_2)
	v_cmpx_ne_u32_e32 0x7f, v17
	s_cbranch_execz .LBB4_3453
; %bb.3450:                             ;   in Loop: Header=BB4_2771 Depth=2
	v_dual_lshrrev_b32 v2, 3, v17 :: v_dual_bitop2_b32 v38, 7, v16 bitop3:0x40
	v_cmp_gt_u32_e32 vcc_lo, 8, v17
	s_delay_alu instid0(VALU_DEP_2)
	v_mov_b64_e32 v[16:17], v[38:39]
	s_and_saveexec_b32 s40, vcc_lo
; %bb.3451:                             ;   in Loop: Header=BB4_2771 Depth=2
	v_clz_i32_u32_e32 v2, v38
	s_delay_alu instid0(VALU_DEP_1) | instskip(NEXT) | instid1(VALU_DEP_1)
	v_min_u32_e32 v2, 32, v2
	v_subrev_nc_u32_e32 v16, 28, v2
	s_delay_alu instid0(VALU_DEP_1) | instskip(NEXT) | instid1(VALU_DEP_1)
	v_lshlrev_b64_e32 v[16:17], v16, v[38:39]
	v_dual_sub_nc_u32 v2, 29, v2 :: v_dual_bitop2_b32 v16, 7, v16 bitop3:0x40
; %bb.3452:                             ;   in Loop: Header=BB4_2771 Depth=2
	s_or_b32 exec_lo, exec_lo, s40
	s_delay_alu instid0(VALU_DEP_1) | instskip(NEXT) | instid1(VALU_DEP_2)
	v_dual_lshlrev_b32 v17, 24, v63 :: v_dual_lshlrev_b32 v16, 20, v16
	v_lshl_add_u32 v2, v2, 23, 0x3c000000
	s_delay_alu instid0(VALU_DEP_2) | instskip(NEXT) | instid1(VALU_DEP_1)
	v_and_b32_e32 v17, 0x80000000, v17
	v_or3_b32 v2, v16, v17, v2
.LBB4_3453:                             ;   in Loop: Header=BB4_2771 Depth=2
	s_or_b32 exec_lo, exec_lo, s29
.LBB4_3454:                             ;   in Loop: Header=BB4_2771 Depth=2
	s_delay_alu instid0(SALU_CYCLE_1)
	s_or_b32 exec_lo, exec_lo, s11
.LBB4_3455:                             ;   in Loop: Header=BB4_2771 Depth=2
	s_delay_alu instid0(SALU_CYCLE_1) | instskip(NEXT) | instid1(VALU_DEP_1)
	s_or_b32 exec_lo, exec_lo, s10
	v_add_f32_e32 v3, v3, v2
                                        ; implicit-def: $vgpr43
	s_mov_b32 s10, exec_lo
	s_delay_alu instid0(VALU_DEP_1) | instskip(SKIP_1) | instid1(VALU_DEP_2)
	v_and_b32_e32 v38, 0x7f800000, v3
	v_lshrrev_b32_e32 v2, 24, v3
	v_cmpx_ne_u64_e32 0x7f800000, v[38:39]
	s_xor_b32 s11, exec_lo, s10
	s_cbranch_execz .LBB4_3473
; %bb.3456:                             ;   in Loop: Header=BB4_2771 Depth=2
	v_and_b32_e32 v38, 0x7fffffff, v3
	v_and_b32_e32 v2, 0x80, v2
                                        ; implicit-def: $vgpr43
	s_mov_b32 s10, exec_lo
	s_delay_alu instid0(VALU_DEP_2)
	v_cmpx_gt_u64_e32 0x43e00001, v[38:39]
	s_xor_b32 s29, exec_lo, s10
	s_cbranch_execz .LBB4_3470
; %bb.3457:                             ;   in Loop: Header=BB4_2771 Depth=2
	v_mov_b32_e32 v43, 0
	s_mov_b32 s40, exec_lo
	v_cmpx_ne_u32_e32 0, v3
	s_cbranch_execz .LBB4_3469
; %bb.3458:                             ;   in Loop: Header=BB4_2771 Depth=2
	v_bfe_u32 v113, v3, 23, 8
	v_and_b32_e32 v3, 0x7fffff, v3
	s_delay_alu instid0(VALU_DEP_2) | instskip(SKIP_1) | instid1(VALU_DEP_3)
	v_sub_nc_u32_e32 v16, 0x79, v113
	v_cmp_gt_u32_e32 vcc_lo, 0x7a, v113
	v_or_b32_e32 v20, 0x800000, v3
	s_delay_alu instid0(VALU_DEP_3) | instskip(SKIP_1) | instid1(VALU_DEP_2)
	v_cndmask_b32_e32 v16, 0, v16, vcc_lo
	v_cmp_eq_u32_e32 vcc_lo, 0, v113
	v_cndmask_b32_e64 v43, v16, 0x78, vcc_lo
	s_delay_alu instid0(VALU_DEP_4) | instskip(NEXT) | instid1(VALU_DEP_2)
	v_cndmask_b32_e32 v38, v20, v3, vcc_lo
	v_dual_add_nc_u32 v16, 20, v43 :: v_dual_add_nc_u32 v21, 19, v43
	s_delay_alu instid0(VALU_DEP_1) | instskip(NEXT) | instid1(VALU_DEP_2)
	v_lshlrev_b64_e64 v[16:17], v16, -1
	v_lshlrev_b64_e64 v[20:21], v21, 1
	s_delay_alu instid0(VALU_DEP_2) | instskip(NEXT) | instid1(VALU_DEP_3)
	v_bfi_b32 v83, v17, 0, 0
	v_bfi_b32 v82, v16, 0, v38
	v_lshrrev_b64 v[16:17], v43, v[38:39]
	s_delay_alu instid0(VALU_DEP_2) | instskip(NEXT) | instid1(VALU_DEP_2)
	v_cmp_eq_u64_e64 s10, v[82:83], v[20:21]
	v_mov_b64_e32 v[82:83], v[16:17]
	s_and_saveexec_b32 s41, s10
; %bb.3459:                             ;   in Loop: Header=BB4_2771 Depth=2
	v_bfe_u32 v38, v16, 20, 1
	s_delay_alu instid0(VALU_DEP_1) | instskip(NEXT) | instid1(VALU_DEP_1)
	v_add_nc_u64_e32 v[20:21], v[16:17], v[38:39]
	v_add_nc_u64_e32 v[82:83], -1, v[20:21]
; %bb.3460:                             ;   in Loop: Header=BB4_2771 Depth=2
	s_or_b32 exec_lo, exec_lo, s41
	v_add_nc_u32_e32 v3, 0xffffff81, v113
	v_lshrrev_b32_e32 v17, 23, v16
	s_mov_b32 s10, exec_lo
	s_delay_alu instid0(VALU_DEP_2) | instskip(NEXT) | instid1(VALU_DEP_1)
	v_cndmask_b32_e64 v3, v3, 0xffffff82, vcc_lo
	v_add3_u32 v83, v43, v3, v17
	v_and_b32_e32 v3, 0xfffff, v82
	s_delay_alu instid0(VALU_DEP_1) | instskip(NEXT) | instid1(VALU_DEP_1)
	v_dual_add_nc_u32 v82, 6, v83 :: v_dual_add_nc_u32 v38, v3, v16
                                        ; implicit-def: $vgpr16_vgpr17
                                        ; implicit-def: $vgpr3
	v_cmpx_ne_u32_e32 0, v82
	s_xor_b32 s10, exec_lo, s10
; %bb.3461:                             ;   in Loop: Header=BB4_2771 Depth=2
	s_delay_alu instid0(VALU_DEP_2) | instskip(SKIP_2) | instid1(VALU_DEP_2)
	v_cmp_lt_u64_e32 vcc_lo, 0xffffff, v[38:39]
	v_add_nc_u32_e32 v3, 7, v83
	v_cndmask_b32_e64 v16, 0, 1, vcc_lo
	v_cndmask_b32_e32 v3, v82, v3, vcc_lo
	s_delay_alu instid0(VALU_DEP_2)
	v_lshrrev_b64 v[16:17], v16, v[38:39]
; %bb.3462:                             ;   in Loop: Header=BB4_2771 Depth=2
	s_and_not1_saveexec_b32 s10, s10
; %bb.3463:                             ;   in Loop: Header=BB4_2771 Depth=2
	v_mov_b64_e32 v[16:17], v[38:39]
	v_bfe_u32 v3, v38, 23, 1
; %bb.3464:                             ;   in Loop: Header=BB4_2771 Depth=2
	s_or_b32 exec_lo, exec_lo, s10
	s_delay_alu instid0(VALU_DEP_2) | instskip(NEXT) | instid1(VALU_DEP_2)
	v_lshrrev_b64 v[16:17], 20, v[16:17]
	v_cmp_gt_i32_e32 vcc_lo, 16, v3
	v_cmp_ne_u32_e64 s10, 0, v3
                                        ; implicit-def: $vgpr43
	s_delay_alu instid0(VALU_DEP_3) | instskip(NEXT) | instid1(VALU_DEP_1)
	v_dual_cndmask_b32 v17, 0, v17 :: v_dual_cndmask_b32 v16, 7, v16
	v_cmp_ne_u64_e32 vcc_lo, 0, v[16:17]
	s_or_b32 s10, s10, vcc_lo
	s_delay_alu instid0(SALU_CYCLE_1) | instskip(NEXT) | instid1(SALU_CYCLE_1)
	s_and_saveexec_b32 s41, s10
	s_xor_b32 s10, exec_lo, s41
; %bb.3465:                             ;   in Loop: Header=BB4_2771 Depth=2
	v_min_i32_e32 v3, 15, v3
	s_delay_alu instid0(VALU_DEP_1) | instskip(NEXT) | instid1(VALU_DEP_1)
	v_lshl_or_b32 v2, v3, 3, v2
	v_and_or_b32 v43, v16, 7, v2
                                        ; implicit-def: $vgpr2
; %bb.3466:                             ;   in Loop: Header=BB4_2771 Depth=2
	s_and_not1_saveexec_b32 s10, s10
; %bb.3467:                             ;   in Loop: Header=BB4_2771 Depth=2
	v_mov_b32_e32 v43, v2
; %bb.3468:                             ;   in Loop: Header=BB4_2771 Depth=2
	s_or_b32 exec_lo, exec_lo, s10
.LBB4_3469:                             ;   in Loop: Header=BB4_2771 Depth=2
	s_delay_alu instid0(SALU_CYCLE_1)
	s_or_b32 exec_lo, exec_lo, s40
                                        ; implicit-def: $vgpr2
.LBB4_3470:                             ;   in Loop: Header=BB4_2771 Depth=2
	s_and_not1_saveexec_b32 s10, s29
; %bb.3471:                             ;   in Loop: Header=BB4_2771 Depth=2
	v_or_b32_e32 v43, 0x7e, v2
; %bb.3472:                             ;   in Loop: Header=BB4_2771 Depth=2
	s_or_b32 exec_lo, exec_lo, s10
                                        ; implicit-def: $vgpr2
.LBB4_3473:                             ;   in Loop: Header=BB4_2771 Depth=2
	s_and_not1_saveexec_b32 s10, s11
; %bb.3474:                             ;   in Loop: Header=BB4_2771 Depth=2
	v_or_b32_e32 v43, 0x7f, v2
; %bb.3475:                             ;   in Loop: Header=BB4_2771 Depth=2
	s_or_b32 exec_lo, exec_lo, s10
	v_and_b32_e32 v16, 0xff, v42
	v_dual_mov_b32 v2, 0 :: v_dual_mov_b32 v3, 0
	s_mov_b32 s10, exec_lo
	s_delay_alu instid0(VALU_DEP_2)
	v_cmpx_ne_u16_e32 0, v16
	s_cbranch_execz .LBB4_3483
; %bb.3476:                             ;   in Loop: Header=BB4_2771 Depth=2
	v_bfrev_b32_e32 v3, 1
	s_mov_b32 s11, exec_lo
	v_cmpx_ne_u16_e32 0x80, v16
	s_cbranch_execz .LBB4_3482
; %bb.3477:                             ;   in Loop: Header=BB4_2771 Depth=2
	v_and_b32_e32 v17, 0x7f, v42
	v_mov_b32_e32 v3, 0x7f800001
	s_mov_b32 s29, exec_lo
	s_delay_alu instid0(VALU_DEP_2)
	v_cmpx_ne_u32_e32 0x7f, v17
	s_cbranch_execz .LBB4_3481
; %bb.3478:                             ;   in Loop: Header=BB4_2771 Depth=2
	v_dual_lshrrev_b32 v3, 3, v17 :: v_dual_bitop2_b32 v38, 7, v16 bitop3:0x40
	v_cmp_gt_u32_e32 vcc_lo, 8, v17
	s_delay_alu instid0(VALU_DEP_2)
	v_mov_b64_e32 v[16:17], v[38:39]
	s_and_saveexec_b32 s40, vcc_lo
; %bb.3479:                             ;   in Loop: Header=BB4_2771 Depth=2
	v_clz_i32_u32_e32 v3, v38
	s_delay_alu instid0(VALU_DEP_1) | instskip(NEXT) | instid1(VALU_DEP_1)
	v_min_u32_e32 v3, 32, v3
	v_subrev_nc_u32_e32 v16, 28, v3
	s_delay_alu instid0(VALU_DEP_1) | instskip(NEXT) | instid1(VALU_DEP_1)
	v_lshlrev_b64_e32 v[16:17], v16, v[38:39]
	v_dual_sub_nc_u32 v3, 29, v3 :: v_dual_bitop2_b32 v16, 7, v16 bitop3:0x40
; %bb.3480:                             ;   in Loop: Header=BB4_2771 Depth=2
	s_or_b32 exec_lo, exec_lo, s40
	s_delay_alu instid0(VALU_DEP_1) | instskip(NEXT) | instid1(VALU_DEP_2)
	v_dual_lshlrev_b32 v17, 24, v42 :: v_dual_lshlrev_b32 v16, 20, v16
	v_lshl_add_u32 v3, v3, 23, 0x3c000000
	s_delay_alu instid0(VALU_DEP_2) | instskip(NEXT) | instid1(VALU_DEP_1)
	v_and_b32_e32 v17, 0x80000000, v17
	v_or3_b32 v3, v16, v17, v3
.LBB4_3481:                             ;   in Loop: Header=BB4_2771 Depth=2
	s_or_b32 exec_lo, exec_lo, s29
.LBB4_3482:                             ;   in Loop: Header=BB4_2771 Depth=2
	s_delay_alu instid0(SALU_CYCLE_1)
	s_or_b32 exec_lo, exec_lo, s11
.LBB4_3483:                             ;   in Loop: Header=BB4_2771 Depth=2
	s_delay_alu instid0(SALU_CYCLE_1) | instskip(SKIP_3) | instid1(VALU_DEP_1)
	s_or_b32 exec_lo, exec_lo, s10
	s_wait_loadcnt_dscnt 0x808
	v_and_b32_e32 v16, 0xff, v62
	s_mov_b32 s10, exec_lo
	v_cmpx_ne_u16_e32 0, v16
	s_cbranch_execz .LBB4_3491
; %bb.3484:                             ;   in Loop: Header=BB4_2771 Depth=2
	v_bfrev_b32_e32 v2, 1
	s_mov_b32 s11, exec_lo
	v_cmpx_ne_u16_e32 0x80, v16
	s_cbranch_execz .LBB4_3490
; %bb.3485:                             ;   in Loop: Header=BB4_2771 Depth=2
	v_and_b32_e32 v17, 0x7f, v62
	v_mov_b32_e32 v2, 0x7f800001
	s_mov_b32 s29, exec_lo
	s_delay_alu instid0(VALU_DEP_2)
	v_cmpx_ne_u32_e32 0x7f, v17
	s_cbranch_execz .LBB4_3489
; %bb.3486:                             ;   in Loop: Header=BB4_2771 Depth=2
	v_dual_lshrrev_b32 v2, 3, v17 :: v_dual_bitop2_b32 v38, 7, v16 bitop3:0x40
	v_cmp_gt_u32_e32 vcc_lo, 8, v17
	s_delay_alu instid0(VALU_DEP_2)
	v_mov_b64_e32 v[16:17], v[38:39]
	s_and_saveexec_b32 s40, vcc_lo
; %bb.3487:                             ;   in Loop: Header=BB4_2771 Depth=2
	v_clz_i32_u32_e32 v2, v38
	s_delay_alu instid0(VALU_DEP_1) | instskip(NEXT) | instid1(VALU_DEP_1)
	v_min_u32_e32 v2, 32, v2
	v_subrev_nc_u32_e32 v16, 28, v2
	s_delay_alu instid0(VALU_DEP_1) | instskip(NEXT) | instid1(VALU_DEP_1)
	v_lshlrev_b64_e32 v[16:17], v16, v[38:39]
	v_dual_sub_nc_u32 v2, 29, v2 :: v_dual_bitop2_b32 v16, 7, v16 bitop3:0x40
; %bb.3488:                             ;   in Loop: Header=BB4_2771 Depth=2
	s_or_b32 exec_lo, exec_lo, s40
	s_delay_alu instid0(VALU_DEP_1) | instskip(NEXT) | instid1(VALU_DEP_2)
	v_dual_lshlrev_b32 v17, 24, v62 :: v_dual_lshlrev_b32 v16, 20, v16
	v_lshl_add_u32 v2, v2, 23, 0x3c000000
	s_delay_alu instid0(VALU_DEP_2) | instskip(NEXT) | instid1(VALU_DEP_1)
	v_and_b32_e32 v17, 0x80000000, v17
	v_or3_b32 v2, v16, v17, v2
.LBB4_3489:                             ;   in Loop: Header=BB4_2771 Depth=2
	s_or_b32 exec_lo, exec_lo, s29
.LBB4_3490:                             ;   in Loop: Header=BB4_2771 Depth=2
	s_delay_alu instid0(SALU_CYCLE_1)
	s_or_b32 exec_lo, exec_lo, s11
.LBB4_3491:                             ;   in Loop: Header=BB4_2771 Depth=2
	s_delay_alu instid0(SALU_CYCLE_1) | instskip(NEXT) | instid1(VALU_DEP_1)
	s_or_b32 exec_lo, exec_lo, s10
	v_add_f32_e32 v3, v3, v2
                                        ; implicit-def: $vgpr42
	s_mov_b32 s10, exec_lo
	s_delay_alu instid0(VALU_DEP_1) | instskip(SKIP_1) | instid1(VALU_DEP_2)
	v_and_b32_e32 v38, 0x7f800000, v3
	v_lshrrev_b32_e32 v2, 24, v3
	v_cmpx_ne_u64_e32 0x7f800000, v[38:39]
	s_xor_b32 s11, exec_lo, s10
	s_cbranch_execz .LBB4_3509
; %bb.3492:                             ;   in Loop: Header=BB4_2771 Depth=2
	v_and_b32_e32 v38, 0x7fffffff, v3
	v_and_b32_e32 v2, 0x80, v2
                                        ; implicit-def: $vgpr42
	s_mov_b32 s10, exec_lo
	s_delay_alu instid0(VALU_DEP_2)
	v_cmpx_gt_u64_e32 0x43e00001, v[38:39]
	s_xor_b32 s29, exec_lo, s10
	s_cbranch_execz .LBB4_3506
; %bb.3493:                             ;   in Loop: Header=BB4_2771 Depth=2
	v_mov_b32_e32 v42, 0
	s_mov_b32 s40, exec_lo
	v_cmpx_ne_u32_e32 0, v3
	s_cbranch_execz .LBB4_3505
; %bb.3494:                             ;   in Loop: Header=BB4_2771 Depth=2
	v_bfe_u32 v113, v3, 23, 8
	v_and_b32_e32 v3, 0x7fffff, v3
	s_delay_alu instid0(VALU_DEP_2) | instskip(SKIP_1) | instid1(VALU_DEP_3)
	v_sub_nc_u32_e32 v16, 0x79, v113
	v_cmp_gt_u32_e32 vcc_lo, 0x7a, v113
	v_or_b32_e32 v20, 0x800000, v3
	s_delay_alu instid0(VALU_DEP_3) | instskip(SKIP_1) | instid1(VALU_DEP_2)
	v_cndmask_b32_e32 v16, 0, v16, vcc_lo
	v_cmp_eq_u32_e32 vcc_lo, 0, v113
	v_cndmask_b32_e64 v42, v16, 0x78, vcc_lo
	s_delay_alu instid0(VALU_DEP_1) | instskip(SKIP_1) | instid1(VALU_DEP_2)
	v_dual_cndmask_b32 v38, v20, v3, vcc_lo :: v_dual_add_nc_u32 v16, 20, v42
	v_add_nc_u32_e32 v21, 19, v42
	v_lshlrev_b64_e64 v[16:17], v16, -1
	s_delay_alu instid0(VALU_DEP_2) | instskip(NEXT) | instid1(VALU_DEP_2)
	v_lshlrev_b64_e64 v[20:21], v21, 1
	v_bfi_b32 v83, v17, 0, 0
	s_delay_alu instid0(VALU_DEP_3) | instskip(SKIP_1) | instid1(VALU_DEP_2)
	v_bfi_b32 v82, v16, 0, v38
	v_lshrrev_b64 v[16:17], v42, v[38:39]
	v_cmp_eq_u64_e64 s10, v[82:83], v[20:21]
	s_delay_alu instid0(VALU_DEP_2)
	v_mov_b64_e32 v[82:83], v[16:17]
	s_and_saveexec_b32 s41, s10
; %bb.3495:                             ;   in Loop: Header=BB4_2771 Depth=2
	v_bfe_u32 v38, v16, 20, 1
	s_delay_alu instid0(VALU_DEP_1) | instskip(NEXT) | instid1(VALU_DEP_1)
	v_add_nc_u64_e32 v[20:21], v[16:17], v[38:39]
	v_add_nc_u64_e32 v[82:83], -1, v[20:21]
; %bb.3496:                             ;   in Loop: Header=BB4_2771 Depth=2
	s_or_b32 exec_lo, exec_lo, s41
	v_add_nc_u32_e32 v3, 0xffffff81, v113
	v_lshrrev_b32_e32 v17, 23, v16
	s_mov_b32 s10, exec_lo
	s_delay_alu instid0(VALU_DEP_2) | instskip(NEXT) | instid1(VALU_DEP_1)
	v_cndmask_b32_e64 v3, v3, 0xffffff82, vcc_lo
	v_add3_u32 v83, v42, v3, v17
	v_and_b32_e32 v3, 0xfffff, v82
	s_delay_alu instid0(VALU_DEP_1) | instskip(NEXT) | instid1(VALU_DEP_1)
	v_dual_add_nc_u32 v82, 6, v83 :: v_dual_add_nc_u32 v38, v3, v16
                                        ; implicit-def: $vgpr16_vgpr17
                                        ; implicit-def: $vgpr3
	v_cmpx_ne_u32_e32 0, v82
	s_xor_b32 s10, exec_lo, s10
; %bb.3497:                             ;   in Loop: Header=BB4_2771 Depth=2
	s_delay_alu instid0(VALU_DEP_2) | instskip(SKIP_2) | instid1(VALU_DEP_2)
	v_cmp_lt_u64_e32 vcc_lo, 0xffffff, v[38:39]
	v_add_nc_u32_e32 v3, 7, v83
	v_cndmask_b32_e64 v16, 0, 1, vcc_lo
	v_cndmask_b32_e32 v3, v82, v3, vcc_lo
	s_delay_alu instid0(VALU_DEP_2)
	v_lshrrev_b64 v[16:17], v16, v[38:39]
; %bb.3498:                             ;   in Loop: Header=BB4_2771 Depth=2
	s_and_not1_saveexec_b32 s10, s10
; %bb.3499:                             ;   in Loop: Header=BB4_2771 Depth=2
	v_mov_b64_e32 v[16:17], v[38:39]
	v_bfe_u32 v3, v38, 23, 1
; %bb.3500:                             ;   in Loop: Header=BB4_2771 Depth=2
	s_or_b32 exec_lo, exec_lo, s10
	s_delay_alu instid0(VALU_DEP_2) | instskip(NEXT) | instid1(VALU_DEP_2)
	v_lshrrev_b64 v[16:17], 20, v[16:17]
	v_cmp_gt_i32_e32 vcc_lo, 16, v3
	v_cmp_ne_u32_e64 s10, 0, v3
                                        ; implicit-def: $vgpr42
	s_delay_alu instid0(VALU_DEP_3) | instskip(NEXT) | instid1(VALU_DEP_1)
	v_dual_cndmask_b32 v17, 0, v17 :: v_dual_cndmask_b32 v16, 7, v16
	v_cmp_ne_u64_e32 vcc_lo, 0, v[16:17]
	s_or_b32 s10, s10, vcc_lo
	s_delay_alu instid0(SALU_CYCLE_1) | instskip(NEXT) | instid1(SALU_CYCLE_1)
	s_and_saveexec_b32 s41, s10
	s_xor_b32 s10, exec_lo, s41
; %bb.3501:                             ;   in Loop: Header=BB4_2771 Depth=2
	v_min_i32_e32 v3, 15, v3
	s_delay_alu instid0(VALU_DEP_1) | instskip(NEXT) | instid1(VALU_DEP_1)
	v_lshl_or_b32 v2, v3, 3, v2
	v_and_or_b32 v42, v16, 7, v2
                                        ; implicit-def: $vgpr2
; %bb.3502:                             ;   in Loop: Header=BB4_2771 Depth=2
	s_and_not1_saveexec_b32 s10, s10
; %bb.3503:                             ;   in Loop: Header=BB4_2771 Depth=2
	v_mov_b32_e32 v42, v2
; %bb.3504:                             ;   in Loop: Header=BB4_2771 Depth=2
	s_or_b32 exec_lo, exec_lo, s10
.LBB4_3505:                             ;   in Loop: Header=BB4_2771 Depth=2
	s_delay_alu instid0(SALU_CYCLE_1)
	s_or_b32 exec_lo, exec_lo, s40
                                        ; implicit-def: $vgpr2
.LBB4_3506:                             ;   in Loop: Header=BB4_2771 Depth=2
	s_and_not1_saveexec_b32 s10, s29
; %bb.3507:                             ;   in Loop: Header=BB4_2771 Depth=2
	v_or_b32_e32 v42, 0x7e, v2
; %bb.3508:                             ;   in Loop: Header=BB4_2771 Depth=2
	s_or_b32 exec_lo, exec_lo, s10
                                        ; implicit-def: $vgpr2
.LBB4_3509:                             ;   in Loop: Header=BB4_2771 Depth=2
	s_and_not1_saveexec_b32 s10, s11
; %bb.3510:                             ;   in Loop: Header=BB4_2771 Depth=2
	v_or_b32_e32 v42, 0x7f, v2
; %bb.3511:                             ;   in Loop: Header=BB4_2771 Depth=2
	s_or_b32 exec_lo, exec_lo, s10
	v_and_b32_e32 v16, 0xff, v41
	v_dual_mov_b32 v2, 0 :: v_dual_mov_b32 v3, 0
	s_mov_b32 s10, exec_lo
	s_delay_alu instid0(VALU_DEP_2)
	v_cmpx_ne_u16_e32 0, v16
	s_cbranch_execz .LBB4_3519
; %bb.3512:                             ;   in Loop: Header=BB4_2771 Depth=2
	v_bfrev_b32_e32 v3, 1
	s_mov_b32 s11, exec_lo
	v_cmpx_ne_u16_e32 0x80, v16
	s_cbranch_execz .LBB4_3518
; %bb.3513:                             ;   in Loop: Header=BB4_2771 Depth=2
	v_and_b32_e32 v17, 0x7f, v41
	v_mov_b32_e32 v3, 0x7f800001
	s_mov_b32 s29, exec_lo
	s_delay_alu instid0(VALU_DEP_2)
	v_cmpx_ne_u32_e32 0x7f, v17
	s_cbranch_execz .LBB4_3517
; %bb.3514:                             ;   in Loop: Header=BB4_2771 Depth=2
	v_dual_lshrrev_b32 v3, 3, v17 :: v_dual_bitop2_b32 v38, 7, v16 bitop3:0x40
	v_cmp_gt_u32_e32 vcc_lo, 8, v17
	s_delay_alu instid0(VALU_DEP_2)
	v_mov_b64_e32 v[16:17], v[38:39]
	s_and_saveexec_b32 s40, vcc_lo
; %bb.3515:                             ;   in Loop: Header=BB4_2771 Depth=2
	v_clz_i32_u32_e32 v3, v38
	s_delay_alu instid0(VALU_DEP_1) | instskip(NEXT) | instid1(VALU_DEP_1)
	v_min_u32_e32 v3, 32, v3
	v_subrev_nc_u32_e32 v16, 28, v3
	s_delay_alu instid0(VALU_DEP_1) | instskip(NEXT) | instid1(VALU_DEP_1)
	v_lshlrev_b64_e32 v[16:17], v16, v[38:39]
	v_dual_sub_nc_u32 v3, 29, v3 :: v_dual_bitop2_b32 v16, 7, v16 bitop3:0x40
; %bb.3516:                             ;   in Loop: Header=BB4_2771 Depth=2
	s_or_b32 exec_lo, exec_lo, s40
	s_delay_alu instid0(VALU_DEP_1) | instskip(NEXT) | instid1(VALU_DEP_2)
	v_dual_lshlrev_b32 v17, 24, v41 :: v_dual_lshlrev_b32 v16, 20, v16
	v_lshl_add_u32 v3, v3, 23, 0x3c000000
	s_delay_alu instid0(VALU_DEP_2) | instskip(NEXT) | instid1(VALU_DEP_1)
	v_and_b32_e32 v17, 0x80000000, v17
	v_or3_b32 v3, v16, v17, v3
.LBB4_3517:                             ;   in Loop: Header=BB4_2771 Depth=2
	s_or_b32 exec_lo, exec_lo, s29
.LBB4_3518:                             ;   in Loop: Header=BB4_2771 Depth=2
	s_delay_alu instid0(SALU_CYCLE_1)
	s_or_b32 exec_lo, exec_lo, s11
.LBB4_3519:                             ;   in Loop: Header=BB4_2771 Depth=2
	s_delay_alu instid0(SALU_CYCLE_1) | instskip(SKIP_3) | instid1(VALU_DEP_1)
	s_or_b32 exec_lo, exec_lo, s10
	s_wait_loadcnt_dscnt 0x707
	v_and_b32_e32 v16, 0xff, v61
	s_mov_b32 s10, exec_lo
	v_cmpx_ne_u16_e32 0, v16
	s_cbranch_execz .LBB4_3527
; %bb.3520:                             ;   in Loop: Header=BB4_2771 Depth=2
	v_bfrev_b32_e32 v2, 1
	s_mov_b32 s11, exec_lo
	v_cmpx_ne_u16_e32 0x80, v16
	s_cbranch_execz .LBB4_3526
; %bb.3521:                             ;   in Loop: Header=BB4_2771 Depth=2
	v_and_b32_e32 v17, 0x7f, v61
	v_mov_b32_e32 v2, 0x7f800001
	s_mov_b32 s29, exec_lo
	s_delay_alu instid0(VALU_DEP_2)
	v_cmpx_ne_u32_e32 0x7f, v17
	s_cbranch_execz .LBB4_3525
; %bb.3522:                             ;   in Loop: Header=BB4_2771 Depth=2
	v_dual_lshrrev_b32 v2, 3, v17 :: v_dual_bitop2_b32 v38, 7, v16 bitop3:0x40
	v_cmp_gt_u32_e32 vcc_lo, 8, v17
	s_delay_alu instid0(VALU_DEP_2)
	v_mov_b64_e32 v[16:17], v[38:39]
	s_and_saveexec_b32 s40, vcc_lo
; %bb.3523:                             ;   in Loop: Header=BB4_2771 Depth=2
	v_clz_i32_u32_e32 v2, v38
	s_delay_alu instid0(VALU_DEP_1) | instskip(NEXT) | instid1(VALU_DEP_1)
	v_min_u32_e32 v2, 32, v2
	v_subrev_nc_u32_e32 v16, 28, v2
	s_delay_alu instid0(VALU_DEP_1) | instskip(NEXT) | instid1(VALU_DEP_1)
	v_lshlrev_b64_e32 v[16:17], v16, v[38:39]
	v_dual_sub_nc_u32 v2, 29, v2 :: v_dual_bitop2_b32 v16, 7, v16 bitop3:0x40
; %bb.3524:                             ;   in Loop: Header=BB4_2771 Depth=2
	s_or_b32 exec_lo, exec_lo, s40
	s_delay_alu instid0(VALU_DEP_1) | instskip(NEXT) | instid1(VALU_DEP_2)
	v_dual_lshlrev_b32 v17, 24, v61 :: v_dual_lshlrev_b32 v16, 20, v16
	v_lshl_add_u32 v2, v2, 23, 0x3c000000
	s_delay_alu instid0(VALU_DEP_2) | instskip(NEXT) | instid1(VALU_DEP_1)
	v_and_b32_e32 v17, 0x80000000, v17
	v_or3_b32 v2, v16, v17, v2
.LBB4_3525:                             ;   in Loop: Header=BB4_2771 Depth=2
	s_or_b32 exec_lo, exec_lo, s29
.LBB4_3526:                             ;   in Loop: Header=BB4_2771 Depth=2
	s_delay_alu instid0(SALU_CYCLE_1)
	s_or_b32 exec_lo, exec_lo, s11
.LBB4_3527:                             ;   in Loop: Header=BB4_2771 Depth=2
	s_delay_alu instid0(SALU_CYCLE_1) | instskip(NEXT) | instid1(VALU_DEP_1)
	s_or_b32 exec_lo, exec_lo, s10
	v_add_f32_e32 v3, v3, v2
                                        ; implicit-def: $vgpr41
	s_mov_b32 s10, exec_lo
	s_delay_alu instid0(VALU_DEP_1) | instskip(SKIP_1) | instid1(VALU_DEP_2)
	v_and_b32_e32 v38, 0x7f800000, v3
	v_lshrrev_b32_e32 v2, 24, v3
	v_cmpx_ne_u64_e32 0x7f800000, v[38:39]
	s_xor_b32 s11, exec_lo, s10
	s_cbranch_execz .LBB4_3545
; %bb.3528:                             ;   in Loop: Header=BB4_2771 Depth=2
	v_and_b32_e32 v38, 0x7fffffff, v3
	v_and_b32_e32 v2, 0x80, v2
                                        ; implicit-def: $vgpr41
	s_mov_b32 s10, exec_lo
	s_delay_alu instid0(VALU_DEP_2)
	v_cmpx_gt_u64_e32 0x43e00001, v[38:39]
	s_xor_b32 s29, exec_lo, s10
	s_cbranch_execz .LBB4_3542
; %bb.3529:                             ;   in Loop: Header=BB4_2771 Depth=2
	v_mov_b32_e32 v41, 0
	s_mov_b32 s40, exec_lo
	v_cmpx_ne_u32_e32 0, v3
	s_cbranch_execz .LBB4_3541
; %bb.3530:                             ;   in Loop: Header=BB4_2771 Depth=2
	v_bfe_u32 v113, v3, 23, 8
	v_and_b32_e32 v3, 0x7fffff, v3
	s_delay_alu instid0(VALU_DEP_2) | instskip(SKIP_1) | instid1(VALU_DEP_3)
	v_sub_nc_u32_e32 v16, 0x79, v113
	v_cmp_gt_u32_e32 vcc_lo, 0x7a, v113
	v_or_b32_e32 v20, 0x800000, v3
	s_delay_alu instid0(VALU_DEP_3) | instskip(SKIP_1) | instid1(VALU_DEP_2)
	v_cndmask_b32_e32 v16, 0, v16, vcc_lo
	v_cmp_eq_u32_e32 vcc_lo, 0, v113
	v_cndmask_b32_e64 v41, v16, 0x78, vcc_lo
	s_delay_alu instid0(VALU_DEP_1) | instskip(SKIP_1) | instid1(VALU_DEP_2)
	v_dual_cndmask_b32 v38, v20, v3, vcc_lo :: v_dual_add_nc_u32 v16, 20, v41
	v_add_nc_u32_e32 v21, 19, v41
	v_lshlrev_b64_e64 v[16:17], v16, -1
	s_delay_alu instid0(VALU_DEP_2) | instskip(NEXT) | instid1(VALU_DEP_2)
	v_lshlrev_b64_e64 v[20:21], v21, 1
	v_bfi_b32 v83, v17, 0, 0
	s_delay_alu instid0(VALU_DEP_3) | instskip(SKIP_1) | instid1(VALU_DEP_2)
	v_bfi_b32 v82, v16, 0, v38
	v_lshrrev_b64 v[16:17], v41, v[38:39]
	v_cmp_eq_u64_e64 s10, v[82:83], v[20:21]
	s_delay_alu instid0(VALU_DEP_2)
	v_mov_b64_e32 v[82:83], v[16:17]
	s_and_saveexec_b32 s41, s10
; %bb.3531:                             ;   in Loop: Header=BB4_2771 Depth=2
	v_bfe_u32 v38, v16, 20, 1
	s_delay_alu instid0(VALU_DEP_1) | instskip(NEXT) | instid1(VALU_DEP_1)
	v_add_nc_u64_e32 v[20:21], v[16:17], v[38:39]
	v_add_nc_u64_e32 v[82:83], -1, v[20:21]
; %bb.3532:                             ;   in Loop: Header=BB4_2771 Depth=2
	s_or_b32 exec_lo, exec_lo, s41
	v_add_nc_u32_e32 v3, 0xffffff81, v113
	v_lshrrev_b32_e32 v17, 23, v16
	s_mov_b32 s10, exec_lo
	s_delay_alu instid0(VALU_DEP_2) | instskip(NEXT) | instid1(VALU_DEP_1)
	v_cndmask_b32_e64 v3, v3, 0xffffff82, vcc_lo
	v_add3_u32 v83, v41, v3, v17
	v_and_b32_e32 v3, 0xfffff, v82
	s_delay_alu instid0(VALU_DEP_1) | instskip(NEXT) | instid1(VALU_DEP_1)
	v_dual_add_nc_u32 v82, 6, v83 :: v_dual_add_nc_u32 v38, v3, v16
                                        ; implicit-def: $vgpr16_vgpr17
                                        ; implicit-def: $vgpr3
	v_cmpx_ne_u32_e32 0, v82
	s_xor_b32 s10, exec_lo, s10
; %bb.3533:                             ;   in Loop: Header=BB4_2771 Depth=2
	s_delay_alu instid0(VALU_DEP_2) | instskip(SKIP_2) | instid1(VALU_DEP_2)
	v_cmp_lt_u64_e32 vcc_lo, 0xffffff, v[38:39]
	v_add_nc_u32_e32 v3, 7, v83
	v_cndmask_b32_e64 v16, 0, 1, vcc_lo
	v_cndmask_b32_e32 v3, v82, v3, vcc_lo
	s_delay_alu instid0(VALU_DEP_2)
	v_lshrrev_b64 v[16:17], v16, v[38:39]
; %bb.3534:                             ;   in Loop: Header=BB4_2771 Depth=2
	s_and_not1_saveexec_b32 s10, s10
; %bb.3535:                             ;   in Loop: Header=BB4_2771 Depth=2
	v_mov_b64_e32 v[16:17], v[38:39]
	v_bfe_u32 v3, v38, 23, 1
; %bb.3536:                             ;   in Loop: Header=BB4_2771 Depth=2
	s_or_b32 exec_lo, exec_lo, s10
	s_delay_alu instid0(VALU_DEP_2) | instskip(NEXT) | instid1(VALU_DEP_2)
	v_lshrrev_b64 v[16:17], 20, v[16:17]
	v_cmp_gt_i32_e32 vcc_lo, 16, v3
	v_cmp_ne_u32_e64 s10, 0, v3
                                        ; implicit-def: $vgpr41
	s_delay_alu instid0(VALU_DEP_3) | instskip(NEXT) | instid1(VALU_DEP_1)
	v_dual_cndmask_b32 v17, 0, v17 :: v_dual_cndmask_b32 v16, 7, v16
	v_cmp_ne_u64_e32 vcc_lo, 0, v[16:17]
	s_or_b32 s10, s10, vcc_lo
	s_delay_alu instid0(SALU_CYCLE_1) | instskip(NEXT) | instid1(SALU_CYCLE_1)
	s_and_saveexec_b32 s41, s10
	s_xor_b32 s10, exec_lo, s41
; %bb.3537:                             ;   in Loop: Header=BB4_2771 Depth=2
	v_min_i32_e32 v3, 15, v3
	s_delay_alu instid0(VALU_DEP_1) | instskip(NEXT) | instid1(VALU_DEP_1)
	v_lshl_or_b32 v2, v3, 3, v2
	v_and_or_b32 v41, v16, 7, v2
                                        ; implicit-def: $vgpr2
; %bb.3538:                             ;   in Loop: Header=BB4_2771 Depth=2
	s_and_not1_saveexec_b32 s10, s10
; %bb.3539:                             ;   in Loop: Header=BB4_2771 Depth=2
	v_mov_b32_e32 v41, v2
; %bb.3540:                             ;   in Loop: Header=BB4_2771 Depth=2
	s_or_b32 exec_lo, exec_lo, s10
.LBB4_3541:                             ;   in Loop: Header=BB4_2771 Depth=2
	s_delay_alu instid0(SALU_CYCLE_1)
	s_or_b32 exec_lo, exec_lo, s40
                                        ; implicit-def: $vgpr2
.LBB4_3542:                             ;   in Loop: Header=BB4_2771 Depth=2
	s_and_not1_saveexec_b32 s10, s29
; %bb.3543:                             ;   in Loop: Header=BB4_2771 Depth=2
	v_or_b32_e32 v41, 0x7e, v2
; %bb.3544:                             ;   in Loop: Header=BB4_2771 Depth=2
	s_or_b32 exec_lo, exec_lo, s10
                                        ; implicit-def: $vgpr2
.LBB4_3545:                             ;   in Loop: Header=BB4_2771 Depth=2
	s_and_not1_saveexec_b32 s10, s11
; %bb.3546:                             ;   in Loop: Header=BB4_2771 Depth=2
	v_or_b32_e32 v41, 0x7f, v2
; %bb.3547:                             ;   in Loop: Header=BB4_2771 Depth=2
	s_or_b32 exec_lo, exec_lo, s10
	v_and_b32_e32 v16, 0xff, v40
	v_dual_mov_b32 v2, 0 :: v_dual_mov_b32 v3, 0
	s_mov_b32 s10, exec_lo
	s_delay_alu instid0(VALU_DEP_2)
	v_cmpx_ne_u16_e32 0, v16
	s_cbranch_execz .LBB4_3555
; %bb.3548:                             ;   in Loop: Header=BB4_2771 Depth=2
	v_bfrev_b32_e32 v3, 1
	s_mov_b32 s11, exec_lo
	v_cmpx_ne_u16_e32 0x80, v16
	s_cbranch_execz .LBB4_3554
; %bb.3549:                             ;   in Loop: Header=BB4_2771 Depth=2
	v_and_b32_e32 v17, 0x7f, v40
	v_mov_b32_e32 v3, 0x7f800001
	s_mov_b32 s29, exec_lo
	s_delay_alu instid0(VALU_DEP_2)
	v_cmpx_ne_u32_e32 0x7f, v17
	s_cbranch_execz .LBB4_3553
; %bb.3550:                             ;   in Loop: Header=BB4_2771 Depth=2
	v_dual_lshrrev_b32 v3, 3, v17 :: v_dual_bitop2_b32 v38, 7, v16 bitop3:0x40
	v_cmp_gt_u32_e32 vcc_lo, 8, v17
	s_delay_alu instid0(VALU_DEP_2)
	v_mov_b64_e32 v[16:17], v[38:39]
	s_and_saveexec_b32 s40, vcc_lo
; %bb.3551:                             ;   in Loop: Header=BB4_2771 Depth=2
	v_clz_i32_u32_e32 v3, v38
	s_delay_alu instid0(VALU_DEP_1) | instskip(NEXT) | instid1(VALU_DEP_1)
	v_min_u32_e32 v3, 32, v3
	v_subrev_nc_u32_e32 v16, 28, v3
	s_delay_alu instid0(VALU_DEP_1) | instskip(NEXT) | instid1(VALU_DEP_1)
	v_lshlrev_b64_e32 v[16:17], v16, v[38:39]
	v_dual_sub_nc_u32 v3, 29, v3 :: v_dual_bitop2_b32 v16, 7, v16 bitop3:0x40
; %bb.3552:                             ;   in Loop: Header=BB4_2771 Depth=2
	s_or_b32 exec_lo, exec_lo, s40
	v_lshlrev_b32_e32 v17, 24, v40
	s_delay_alu instid0(VALU_DEP_2) | instskip(NEXT) | instid1(VALU_DEP_3)
	v_lshlrev_b32_e32 v16, 20, v16
	v_lshl_add_u32 v3, v3, 23, 0x3c000000
	s_delay_alu instid0(VALU_DEP_3) | instskip(NEXT) | instid1(VALU_DEP_1)
	v_and_b32_e32 v17, 0x80000000, v17
	v_or3_b32 v3, v16, v17, v3
.LBB4_3553:                             ;   in Loop: Header=BB4_2771 Depth=2
	s_or_b32 exec_lo, exec_lo, s29
.LBB4_3554:                             ;   in Loop: Header=BB4_2771 Depth=2
	s_delay_alu instid0(SALU_CYCLE_1)
	s_or_b32 exec_lo, exec_lo, s11
.LBB4_3555:                             ;   in Loop: Header=BB4_2771 Depth=2
	s_delay_alu instid0(SALU_CYCLE_1) | instskip(SKIP_3) | instid1(VALU_DEP_1)
	s_or_b32 exec_lo, exec_lo, s10
	s_wait_loadcnt_dscnt 0x606
	v_and_b32_e32 v16, 0xff, v60
	s_mov_b32 s10, exec_lo
	v_cmpx_ne_u16_e32 0, v16
	s_cbranch_execz .LBB4_3563
; %bb.3556:                             ;   in Loop: Header=BB4_2771 Depth=2
	v_bfrev_b32_e32 v2, 1
	s_mov_b32 s11, exec_lo
	v_cmpx_ne_u16_e32 0x80, v16
	s_cbranch_execz .LBB4_3562
; %bb.3557:                             ;   in Loop: Header=BB4_2771 Depth=2
	v_and_b32_e32 v17, 0x7f, v60
	v_mov_b32_e32 v2, 0x7f800001
	s_mov_b32 s29, exec_lo
	s_delay_alu instid0(VALU_DEP_2)
	v_cmpx_ne_u32_e32 0x7f, v17
	s_cbranch_execz .LBB4_3561
; %bb.3558:                             ;   in Loop: Header=BB4_2771 Depth=2
	v_dual_lshrrev_b32 v2, 3, v17 :: v_dual_bitop2_b32 v38, 7, v16 bitop3:0x40
	v_cmp_gt_u32_e32 vcc_lo, 8, v17
	s_delay_alu instid0(VALU_DEP_2)
	v_mov_b64_e32 v[16:17], v[38:39]
	s_and_saveexec_b32 s40, vcc_lo
; %bb.3559:                             ;   in Loop: Header=BB4_2771 Depth=2
	v_clz_i32_u32_e32 v2, v38
	s_delay_alu instid0(VALU_DEP_1) | instskip(NEXT) | instid1(VALU_DEP_1)
	v_min_u32_e32 v2, 32, v2
	v_subrev_nc_u32_e32 v16, 28, v2
	s_delay_alu instid0(VALU_DEP_1) | instskip(NEXT) | instid1(VALU_DEP_1)
	v_lshlrev_b64_e32 v[16:17], v16, v[38:39]
	v_dual_sub_nc_u32 v2, 29, v2 :: v_dual_bitop2_b32 v16, 7, v16 bitop3:0x40
; %bb.3560:                             ;   in Loop: Header=BB4_2771 Depth=2
	s_or_b32 exec_lo, exec_lo, s40
	v_lshlrev_b32_e32 v17, 24, v60
	s_delay_alu instid0(VALU_DEP_2) | instskip(NEXT) | instid1(VALU_DEP_3)
	v_lshlrev_b32_e32 v16, 20, v16
	v_lshl_add_u32 v2, v2, 23, 0x3c000000
	s_delay_alu instid0(VALU_DEP_3) | instskip(NEXT) | instid1(VALU_DEP_1)
	v_and_b32_e32 v17, 0x80000000, v17
	v_or3_b32 v2, v16, v17, v2
.LBB4_3561:                             ;   in Loop: Header=BB4_2771 Depth=2
	s_or_b32 exec_lo, exec_lo, s29
.LBB4_3562:                             ;   in Loop: Header=BB4_2771 Depth=2
	s_delay_alu instid0(SALU_CYCLE_1)
	s_or_b32 exec_lo, exec_lo, s11
.LBB4_3563:                             ;   in Loop: Header=BB4_2771 Depth=2
	s_delay_alu instid0(SALU_CYCLE_1) | instskip(NEXT) | instid1(VALU_DEP_1)
	s_or_b32 exec_lo, exec_lo, s10
	v_add_f32_e32 v3, v3, v2
                                        ; implicit-def: $vgpr40
	s_mov_b32 s10, exec_lo
	s_delay_alu instid0(VALU_DEP_1) | instskip(SKIP_1) | instid1(VALU_DEP_2)
	v_and_b32_e32 v38, 0x7f800000, v3
	v_lshrrev_b32_e32 v2, 24, v3
	v_cmpx_ne_u64_e32 0x7f800000, v[38:39]
	s_xor_b32 s11, exec_lo, s10
	s_cbranch_execz .LBB4_3581
; %bb.3564:                             ;   in Loop: Header=BB4_2771 Depth=2
	v_and_b32_e32 v38, 0x7fffffff, v3
	v_and_b32_e32 v2, 0x80, v2
                                        ; implicit-def: $vgpr40
	s_mov_b32 s10, exec_lo
	s_delay_alu instid0(VALU_DEP_2)
	v_cmpx_gt_u64_e32 0x43e00001, v[38:39]
	s_xor_b32 s29, exec_lo, s10
	s_cbranch_execz .LBB4_3578
; %bb.3565:                             ;   in Loop: Header=BB4_2771 Depth=2
	v_mov_b32_e32 v40, 0
	s_mov_b32 s40, exec_lo
	v_cmpx_ne_u32_e32 0, v3
	s_cbranch_execz .LBB4_3577
; %bb.3566:                             ;   in Loop: Header=BB4_2771 Depth=2
	v_bfe_u32 v113, v3, 23, 8
	v_and_b32_e32 v3, 0x7fffff, v3
	s_delay_alu instid0(VALU_DEP_2) | instskip(SKIP_1) | instid1(VALU_DEP_3)
	v_sub_nc_u32_e32 v16, 0x79, v113
	v_cmp_gt_u32_e32 vcc_lo, 0x7a, v113
	v_or_b32_e32 v20, 0x800000, v3
	s_delay_alu instid0(VALU_DEP_3) | instskip(SKIP_1) | instid1(VALU_DEP_3)
	v_cndmask_b32_e32 v16, 0, v16, vcc_lo
	v_cmp_eq_u32_e32 vcc_lo, 0, v113
	v_cndmask_b32_e32 v38, v20, v3, vcc_lo
	s_delay_alu instid0(VALU_DEP_3) | instskip(NEXT) | instid1(VALU_DEP_1)
	v_cndmask_b32_e64 v40, v16, 0x78, vcc_lo
	v_dual_add_nc_u32 v16, 20, v40 :: v_dual_add_nc_u32 v21, 19, v40
	s_delay_alu instid0(VALU_DEP_1) | instskip(NEXT) | instid1(VALU_DEP_2)
	v_lshlrev_b64_e64 v[16:17], v16, -1
	v_lshlrev_b64_e64 v[20:21], v21, 1
	s_delay_alu instid0(VALU_DEP_2) | instskip(NEXT) | instid1(VALU_DEP_3)
	v_bfi_b32 v83, v17, 0, 0
	v_bfi_b32 v82, v16, 0, v38
	v_lshrrev_b64 v[16:17], v40, v[38:39]
	s_delay_alu instid0(VALU_DEP_2) | instskip(NEXT) | instid1(VALU_DEP_2)
	v_cmp_eq_u64_e64 s10, v[82:83], v[20:21]
	v_mov_b64_e32 v[82:83], v[16:17]
	s_and_saveexec_b32 s41, s10
; %bb.3567:                             ;   in Loop: Header=BB4_2771 Depth=2
	v_bfe_u32 v38, v16, 20, 1
	s_delay_alu instid0(VALU_DEP_1) | instskip(NEXT) | instid1(VALU_DEP_1)
	v_add_nc_u64_e32 v[20:21], v[16:17], v[38:39]
	v_add_nc_u64_e32 v[82:83], -1, v[20:21]
; %bb.3568:                             ;   in Loop: Header=BB4_2771 Depth=2
	s_or_b32 exec_lo, exec_lo, s41
	v_add_nc_u32_e32 v3, 0xffffff81, v113
	v_lshrrev_b32_e32 v17, 23, v16
	s_mov_b32 s10, exec_lo
	s_delay_alu instid0(VALU_DEP_2) | instskip(NEXT) | instid1(VALU_DEP_1)
	v_cndmask_b32_e64 v3, v3, 0xffffff82, vcc_lo
	v_add3_u32 v83, v40, v3, v17
	v_and_b32_e32 v3, 0xfffff, v82
	s_delay_alu instid0(VALU_DEP_1) | instskip(NEXT) | instid1(VALU_DEP_1)
	v_dual_add_nc_u32 v82, 6, v83 :: v_dual_add_nc_u32 v38, v3, v16
                                        ; implicit-def: $vgpr16_vgpr17
                                        ; implicit-def: $vgpr3
	v_cmpx_ne_u32_e32 0, v82
	s_xor_b32 s10, exec_lo, s10
; %bb.3569:                             ;   in Loop: Header=BB4_2771 Depth=2
	s_delay_alu instid0(VALU_DEP_2) | instskip(SKIP_2) | instid1(VALU_DEP_2)
	v_cmp_lt_u64_e32 vcc_lo, 0xffffff, v[38:39]
	v_add_nc_u32_e32 v3, 7, v83
	v_cndmask_b32_e64 v16, 0, 1, vcc_lo
	v_cndmask_b32_e32 v3, v82, v3, vcc_lo
	s_delay_alu instid0(VALU_DEP_2)
	v_lshrrev_b64 v[16:17], v16, v[38:39]
; %bb.3570:                             ;   in Loop: Header=BB4_2771 Depth=2
	s_and_not1_saveexec_b32 s10, s10
; %bb.3571:                             ;   in Loop: Header=BB4_2771 Depth=2
	v_mov_b64_e32 v[16:17], v[38:39]
	v_bfe_u32 v3, v38, 23, 1
; %bb.3572:                             ;   in Loop: Header=BB4_2771 Depth=2
	s_or_b32 exec_lo, exec_lo, s10
	s_delay_alu instid0(VALU_DEP_2) | instskip(NEXT) | instid1(VALU_DEP_2)
	v_lshrrev_b64 v[16:17], 20, v[16:17]
	v_cmp_gt_i32_e32 vcc_lo, 16, v3
	v_cmp_ne_u32_e64 s10, 0, v3
                                        ; implicit-def: $vgpr40
	s_delay_alu instid0(VALU_DEP_3) | instskip(NEXT) | instid1(VALU_DEP_1)
	v_dual_cndmask_b32 v17, 0, v17 :: v_dual_cndmask_b32 v16, 7, v16
	v_cmp_ne_u64_e32 vcc_lo, 0, v[16:17]
	s_or_b32 s10, s10, vcc_lo
	s_delay_alu instid0(SALU_CYCLE_1) | instskip(NEXT) | instid1(SALU_CYCLE_1)
	s_and_saveexec_b32 s41, s10
	s_xor_b32 s10, exec_lo, s41
; %bb.3573:                             ;   in Loop: Header=BB4_2771 Depth=2
	v_min_i32_e32 v3, 15, v3
	s_delay_alu instid0(VALU_DEP_1) | instskip(NEXT) | instid1(VALU_DEP_1)
	v_lshl_or_b32 v2, v3, 3, v2
	v_and_or_b32 v40, v16, 7, v2
                                        ; implicit-def: $vgpr2
; %bb.3574:                             ;   in Loop: Header=BB4_2771 Depth=2
	s_and_not1_saveexec_b32 s10, s10
; %bb.3575:                             ;   in Loop: Header=BB4_2771 Depth=2
	v_mov_b32_e32 v40, v2
; %bb.3576:                             ;   in Loop: Header=BB4_2771 Depth=2
	s_or_b32 exec_lo, exec_lo, s10
.LBB4_3577:                             ;   in Loop: Header=BB4_2771 Depth=2
	s_delay_alu instid0(SALU_CYCLE_1)
	s_or_b32 exec_lo, exec_lo, s40
                                        ; implicit-def: $vgpr2
.LBB4_3578:                             ;   in Loop: Header=BB4_2771 Depth=2
	s_and_not1_saveexec_b32 s10, s29
; %bb.3579:                             ;   in Loop: Header=BB4_2771 Depth=2
	v_or_b32_e32 v40, 0x7e, v2
; %bb.3580:                             ;   in Loop: Header=BB4_2771 Depth=2
	s_or_b32 exec_lo, exec_lo, s10
                                        ; implicit-def: $vgpr2
.LBB4_3581:                             ;   in Loop: Header=BB4_2771 Depth=2
	s_and_not1_saveexec_b32 s10, s11
; %bb.3582:                             ;   in Loop: Header=BB4_2771 Depth=2
	v_or_b32_e32 v40, 0x7f, v2
; %bb.3583:                             ;   in Loop: Header=BB4_2771 Depth=2
	s_or_b32 exec_lo, exec_lo, s10
	v_and_b32_e32 v16, 0xff, v102
	v_dual_mov_b32 v2, 0 :: v_dual_mov_b32 v3, 0
	s_mov_b32 s10, exec_lo
	s_delay_alu instid0(VALU_DEP_2)
	v_cmpx_ne_u16_e32 0, v16
	s_cbranch_execz .LBB4_3591
; %bb.3584:                             ;   in Loop: Header=BB4_2771 Depth=2
	v_bfrev_b32_e32 v3, 1
	s_mov_b32 s11, exec_lo
	v_cmpx_ne_u16_e32 0x80, v16
	s_cbranch_execz .LBB4_3590
; %bb.3585:                             ;   in Loop: Header=BB4_2771 Depth=2
	v_and_b32_e32 v17, 0x7f, v102
	v_mov_b32_e32 v3, 0x7f800001
	s_mov_b32 s29, exec_lo
	s_delay_alu instid0(VALU_DEP_2)
	v_cmpx_ne_u32_e32 0x7f, v17
	s_cbranch_execz .LBB4_3589
; %bb.3586:                             ;   in Loop: Header=BB4_2771 Depth=2
	v_dual_lshrrev_b32 v3, 3, v17 :: v_dual_bitop2_b32 v38, 7, v16 bitop3:0x40
	v_cmp_gt_u32_e32 vcc_lo, 8, v17
	s_delay_alu instid0(VALU_DEP_2)
	v_mov_b64_e32 v[16:17], v[38:39]
	s_and_saveexec_b32 s40, vcc_lo
; %bb.3587:                             ;   in Loop: Header=BB4_2771 Depth=2
	v_clz_i32_u32_e32 v3, v38
	s_delay_alu instid0(VALU_DEP_1) | instskip(NEXT) | instid1(VALU_DEP_1)
	v_min_u32_e32 v3, 32, v3
	v_subrev_nc_u32_e32 v16, 28, v3
	s_delay_alu instid0(VALU_DEP_1) | instskip(NEXT) | instid1(VALU_DEP_1)
	v_lshlrev_b64_e32 v[16:17], v16, v[38:39]
	v_dual_sub_nc_u32 v3, 29, v3 :: v_dual_bitop2_b32 v16, 7, v16 bitop3:0x40
; %bb.3588:                             ;   in Loop: Header=BB4_2771 Depth=2
	s_or_b32 exec_lo, exec_lo, s40
	s_delay_alu instid0(VALU_DEP_1) | instskip(NEXT) | instid1(VALU_DEP_2)
	v_dual_lshlrev_b32 v17, 24, v102 :: v_dual_lshlrev_b32 v16, 20, v16
	v_lshl_add_u32 v3, v3, 23, 0x3c000000
	s_delay_alu instid0(VALU_DEP_2) | instskip(NEXT) | instid1(VALU_DEP_1)
	v_and_b32_e32 v17, 0x80000000, v17
	v_or3_b32 v3, v16, v17, v3
.LBB4_3589:                             ;   in Loop: Header=BB4_2771 Depth=2
	s_or_b32 exec_lo, exec_lo, s29
.LBB4_3590:                             ;   in Loop: Header=BB4_2771 Depth=2
	s_delay_alu instid0(SALU_CYCLE_1)
	s_or_b32 exec_lo, exec_lo, s11
.LBB4_3591:                             ;   in Loop: Header=BB4_2771 Depth=2
	s_delay_alu instid0(SALU_CYCLE_1) | instskip(SKIP_3) | instid1(VALU_DEP_1)
	s_or_b32 exec_lo, exec_lo, s10
	s_wait_loadcnt_dscnt 0x505
	v_and_b32_e32 v16, 0xff, v59
	s_mov_b32 s10, exec_lo
	v_cmpx_ne_u16_e32 0, v16
	s_cbranch_execz .LBB4_3599
; %bb.3592:                             ;   in Loop: Header=BB4_2771 Depth=2
	v_bfrev_b32_e32 v2, 1
	s_mov_b32 s11, exec_lo
	v_cmpx_ne_u16_e32 0x80, v16
	s_cbranch_execz .LBB4_3598
; %bb.3593:                             ;   in Loop: Header=BB4_2771 Depth=2
	v_and_b32_e32 v17, 0x7f, v59
	v_mov_b32_e32 v2, 0x7f800001
	s_mov_b32 s29, exec_lo
	s_delay_alu instid0(VALU_DEP_2)
	v_cmpx_ne_u32_e32 0x7f, v17
	s_cbranch_execz .LBB4_3597
; %bb.3594:                             ;   in Loop: Header=BB4_2771 Depth=2
	v_dual_lshrrev_b32 v2, 3, v17 :: v_dual_bitop2_b32 v38, 7, v16 bitop3:0x40
	v_cmp_gt_u32_e32 vcc_lo, 8, v17
	s_delay_alu instid0(VALU_DEP_2)
	v_mov_b64_e32 v[16:17], v[38:39]
	s_and_saveexec_b32 s40, vcc_lo
; %bb.3595:                             ;   in Loop: Header=BB4_2771 Depth=2
	v_clz_i32_u32_e32 v2, v38
	s_delay_alu instid0(VALU_DEP_1) | instskip(NEXT) | instid1(VALU_DEP_1)
	v_min_u32_e32 v2, 32, v2
	v_subrev_nc_u32_e32 v16, 28, v2
	s_delay_alu instid0(VALU_DEP_1) | instskip(NEXT) | instid1(VALU_DEP_1)
	v_lshlrev_b64_e32 v[16:17], v16, v[38:39]
	v_dual_sub_nc_u32 v2, 29, v2 :: v_dual_bitop2_b32 v16, 7, v16 bitop3:0x40
; %bb.3596:                             ;   in Loop: Header=BB4_2771 Depth=2
	s_or_b32 exec_lo, exec_lo, s40
	s_delay_alu instid0(VALU_DEP_1) | instskip(NEXT) | instid1(VALU_DEP_2)
	v_dual_lshlrev_b32 v17, 24, v59 :: v_dual_lshlrev_b32 v16, 20, v16
	v_lshl_add_u32 v2, v2, 23, 0x3c000000
	s_delay_alu instid0(VALU_DEP_2) | instskip(NEXT) | instid1(VALU_DEP_1)
	v_and_b32_e32 v17, 0x80000000, v17
	v_or3_b32 v2, v16, v17, v2
.LBB4_3597:                             ;   in Loop: Header=BB4_2771 Depth=2
	s_or_b32 exec_lo, exec_lo, s29
.LBB4_3598:                             ;   in Loop: Header=BB4_2771 Depth=2
	s_delay_alu instid0(SALU_CYCLE_1)
	s_or_b32 exec_lo, exec_lo, s11
.LBB4_3599:                             ;   in Loop: Header=BB4_2771 Depth=2
	s_delay_alu instid0(SALU_CYCLE_1) | instskip(NEXT) | instid1(VALU_DEP_1)
	s_or_b32 exec_lo, exec_lo, s10
	v_add_f32_e32 v3, v3, v2
                                        ; implicit-def: $vgpr102
	s_mov_b32 s10, exec_lo
	s_delay_alu instid0(VALU_DEP_1) | instskip(SKIP_1) | instid1(VALU_DEP_2)
	v_and_b32_e32 v38, 0x7f800000, v3
	v_lshrrev_b32_e32 v2, 24, v3
	v_cmpx_ne_u64_e32 0x7f800000, v[38:39]
	s_xor_b32 s11, exec_lo, s10
	s_cbranch_execz .LBB4_3617
; %bb.3600:                             ;   in Loop: Header=BB4_2771 Depth=2
	v_and_b32_e32 v38, 0x7fffffff, v3
	v_and_b32_e32 v2, 0x80, v2
                                        ; implicit-def: $vgpr102
	s_mov_b32 s10, exec_lo
	s_delay_alu instid0(VALU_DEP_2)
	v_cmpx_gt_u64_e32 0x43e00001, v[38:39]
	s_xor_b32 s29, exec_lo, s10
	s_cbranch_execz .LBB4_3614
; %bb.3601:                             ;   in Loop: Header=BB4_2771 Depth=2
	v_mov_b32_e32 v102, 0
	s_mov_b32 s40, exec_lo
	v_cmpx_ne_u32_e32 0, v3
	s_cbranch_execz .LBB4_3613
; %bb.3602:                             ;   in Loop: Header=BB4_2771 Depth=2
	v_bfe_u32 v102, v3, 23, 8
	v_and_b32_e32 v3, 0x7fffff, v3
	s_delay_alu instid0(VALU_DEP_2) | instskip(SKIP_1) | instid1(VALU_DEP_3)
	v_sub_nc_u32_e32 v16, 0x79, v102
	v_cmp_gt_u32_e32 vcc_lo, 0x7a, v102
	v_or_b32_e32 v20, 0x800000, v3
	s_delay_alu instid0(VALU_DEP_3) | instskip(SKIP_1) | instid1(VALU_DEP_2)
	v_cndmask_b32_e32 v16, 0, v16, vcc_lo
	v_cmp_eq_u32_e32 vcc_lo, 0, v102
	v_cndmask_b32_e64 v113, v16, 0x78, vcc_lo
	s_delay_alu instid0(VALU_DEP_1) | instskip(SKIP_1) | instid1(VALU_DEP_2)
	v_dual_cndmask_b32 v38, v20, v3, vcc_lo :: v_dual_add_nc_u32 v16, 20, v113
	v_add_nc_u32_e32 v21, 19, v113
	v_lshlrev_b64_e64 v[16:17], v16, -1
	s_delay_alu instid0(VALU_DEP_2) | instskip(NEXT) | instid1(VALU_DEP_2)
	v_lshlrev_b64_e64 v[20:21], v21, 1
	v_bfi_b32 v83, v17, 0, 0
	s_delay_alu instid0(VALU_DEP_3) | instskip(SKIP_1) | instid1(VALU_DEP_2)
	v_bfi_b32 v82, v16, 0, v38
	v_lshrrev_b64 v[16:17], v113, v[38:39]
	v_cmp_eq_u64_e64 s10, v[82:83], v[20:21]
	s_delay_alu instid0(VALU_DEP_2)
	v_mov_b64_e32 v[82:83], v[16:17]
	s_and_saveexec_b32 s41, s10
; %bb.3603:                             ;   in Loop: Header=BB4_2771 Depth=2
	v_bfe_u32 v38, v16, 20, 1
	s_delay_alu instid0(VALU_DEP_1) | instskip(NEXT) | instid1(VALU_DEP_1)
	v_add_nc_u64_e32 v[20:21], v[16:17], v[38:39]
	v_add_nc_u64_e32 v[82:83], -1, v[20:21]
; %bb.3604:                             ;   in Loop: Header=BB4_2771 Depth=2
	s_or_b32 exec_lo, exec_lo, s41
	v_add_nc_u32_e32 v3, 0xffffff81, v102
	v_lshrrev_b32_e32 v17, 23, v16
	s_mov_b32 s10, exec_lo
	s_delay_alu instid0(VALU_DEP_2) | instskip(NEXT) | instid1(VALU_DEP_1)
	v_cndmask_b32_e64 v3, v3, 0xffffff82, vcc_lo
	v_add3_u32 v83, v113, v3, v17
	v_and_b32_e32 v3, 0xfffff, v82
	s_delay_alu instid0(VALU_DEP_1) | instskip(NEXT) | instid1(VALU_DEP_1)
	v_dual_add_nc_u32 v82, 6, v83 :: v_dual_add_nc_u32 v38, v3, v16
                                        ; implicit-def: $vgpr16_vgpr17
                                        ; implicit-def: $vgpr3
	v_cmpx_ne_u32_e32 0, v82
	s_xor_b32 s10, exec_lo, s10
; %bb.3605:                             ;   in Loop: Header=BB4_2771 Depth=2
	s_delay_alu instid0(VALU_DEP_2) | instskip(SKIP_2) | instid1(VALU_DEP_2)
	v_cmp_lt_u64_e32 vcc_lo, 0xffffff, v[38:39]
	v_add_nc_u32_e32 v3, 7, v83
	v_cndmask_b32_e64 v16, 0, 1, vcc_lo
	v_cndmask_b32_e32 v3, v82, v3, vcc_lo
	s_delay_alu instid0(VALU_DEP_2)
	v_lshrrev_b64 v[16:17], v16, v[38:39]
; %bb.3606:                             ;   in Loop: Header=BB4_2771 Depth=2
	s_and_not1_saveexec_b32 s10, s10
; %bb.3607:                             ;   in Loop: Header=BB4_2771 Depth=2
	v_mov_b64_e32 v[16:17], v[38:39]
	v_bfe_u32 v3, v38, 23, 1
; %bb.3608:                             ;   in Loop: Header=BB4_2771 Depth=2
	s_or_b32 exec_lo, exec_lo, s10
	s_delay_alu instid0(VALU_DEP_2) | instskip(NEXT) | instid1(VALU_DEP_2)
	v_lshrrev_b64 v[16:17], 20, v[16:17]
	v_cmp_gt_i32_e32 vcc_lo, 16, v3
	v_cmp_ne_u32_e64 s10, 0, v3
                                        ; implicit-def: $vgpr102
	s_delay_alu instid0(VALU_DEP_3) | instskip(NEXT) | instid1(VALU_DEP_1)
	v_dual_cndmask_b32 v17, 0, v17 :: v_dual_cndmask_b32 v16, 7, v16
	v_cmp_ne_u64_e32 vcc_lo, 0, v[16:17]
	s_or_b32 s10, s10, vcc_lo
	s_delay_alu instid0(SALU_CYCLE_1) | instskip(NEXT) | instid1(SALU_CYCLE_1)
	s_and_saveexec_b32 s41, s10
	s_xor_b32 s10, exec_lo, s41
; %bb.3609:                             ;   in Loop: Header=BB4_2771 Depth=2
	v_min_i32_e32 v3, 15, v3
	s_delay_alu instid0(VALU_DEP_1) | instskip(NEXT) | instid1(VALU_DEP_1)
	v_lshl_or_b32 v2, v3, 3, v2
	v_and_or_b32 v102, v16, 7, v2
                                        ; implicit-def: $vgpr2
; %bb.3610:                             ;   in Loop: Header=BB4_2771 Depth=2
	s_and_not1_saveexec_b32 s10, s10
; %bb.3611:                             ;   in Loop: Header=BB4_2771 Depth=2
	v_mov_b32_e32 v102, v2
; %bb.3612:                             ;   in Loop: Header=BB4_2771 Depth=2
	s_or_b32 exec_lo, exec_lo, s10
.LBB4_3613:                             ;   in Loop: Header=BB4_2771 Depth=2
	s_delay_alu instid0(SALU_CYCLE_1)
	s_or_b32 exec_lo, exec_lo, s40
                                        ; implicit-def: $vgpr2
.LBB4_3614:                             ;   in Loop: Header=BB4_2771 Depth=2
	s_and_not1_saveexec_b32 s10, s29
; %bb.3615:                             ;   in Loop: Header=BB4_2771 Depth=2
	v_or_b32_e32 v102, 0x7e, v2
; %bb.3616:                             ;   in Loop: Header=BB4_2771 Depth=2
	s_or_b32 exec_lo, exec_lo, s10
                                        ; implicit-def: $vgpr2
.LBB4_3617:                             ;   in Loop: Header=BB4_2771 Depth=2
	s_and_not1_saveexec_b32 s10, s11
; %bb.3618:                             ;   in Loop: Header=BB4_2771 Depth=2
	v_or_b32_e32 v102, 0x7f, v2
; %bb.3619:                             ;   in Loop: Header=BB4_2771 Depth=2
	s_or_b32 exec_lo, exec_lo, s10
	v_and_b32_e32 v16, 0xff, v101
	v_dual_mov_b32 v2, 0 :: v_dual_mov_b32 v3, 0
	s_mov_b32 s10, exec_lo
	s_delay_alu instid0(VALU_DEP_2)
	v_cmpx_ne_u16_e32 0, v16
	s_cbranch_execz .LBB4_3627
; %bb.3620:                             ;   in Loop: Header=BB4_2771 Depth=2
	v_bfrev_b32_e32 v3, 1
	s_mov_b32 s11, exec_lo
	v_cmpx_ne_u16_e32 0x80, v16
	s_cbranch_execz .LBB4_3626
; %bb.3621:                             ;   in Loop: Header=BB4_2771 Depth=2
	v_and_b32_e32 v17, 0x7f, v101
	v_mov_b32_e32 v3, 0x7f800001
	s_mov_b32 s29, exec_lo
	s_delay_alu instid0(VALU_DEP_2)
	v_cmpx_ne_u32_e32 0x7f, v17
	s_cbranch_execz .LBB4_3625
; %bb.3622:                             ;   in Loop: Header=BB4_2771 Depth=2
	v_dual_lshrrev_b32 v3, 3, v17 :: v_dual_bitop2_b32 v38, 7, v16 bitop3:0x40
	v_cmp_gt_u32_e32 vcc_lo, 8, v17
	s_delay_alu instid0(VALU_DEP_2)
	v_mov_b64_e32 v[16:17], v[38:39]
	s_and_saveexec_b32 s40, vcc_lo
; %bb.3623:                             ;   in Loop: Header=BB4_2771 Depth=2
	v_clz_i32_u32_e32 v3, v38
	s_delay_alu instid0(VALU_DEP_1) | instskip(NEXT) | instid1(VALU_DEP_1)
	v_min_u32_e32 v3, 32, v3
	v_subrev_nc_u32_e32 v16, 28, v3
	s_delay_alu instid0(VALU_DEP_1) | instskip(NEXT) | instid1(VALU_DEP_1)
	v_lshlrev_b64_e32 v[16:17], v16, v[38:39]
	v_dual_sub_nc_u32 v3, 29, v3 :: v_dual_bitop2_b32 v16, 7, v16 bitop3:0x40
; %bb.3624:                             ;   in Loop: Header=BB4_2771 Depth=2
	s_or_b32 exec_lo, exec_lo, s40
	s_delay_alu instid0(VALU_DEP_1) | instskip(NEXT) | instid1(VALU_DEP_2)
	v_dual_lshlrev_b32 v17, 24, v101 :: v_dual_lshlrev_b32 v16, 20, v16
	v_lshl_add_u32 v3, v3, 23, 0x3c000000
	s_delay_alu instid0(VALU_DEP_2) | instskip(NEXT) | instid1(VALU_DEP_1)
	v_and_b32_e32 v17, 0x80000000, v17
	v_or3_b32 v3, v16, v17, v3
.LBB4_3625:                             ;   in Loop: Header=BB4_2771 Depth=2
	s_or_b32 exec_lo, exec_lo, s29
.LBB4_3626:                             ;   in Loop: Header=BB4_2771 Depth=2
	s_delay_alu instid0(SALU_CYCLE_1)
	s_or_b32 exec_lo, exec_lo, s11
.LBB4_3627:                             ;   in Loop: Header=BB4_2771 Depth=2
	s_delay_alu instid0(SALU_CYCLE_1) | instskip(SKIP_3) | instid1(VALU_DEP_1)
	s_or_b32 exec_lo, exec_lo, s10
	s_wait_loadcnt_dscnt 0x404
	v_and_b32_e32 v16, 0xff, v58
	s_mov_b32 s10, exec_lo
	v_cmpx_ne_u16_e32 0, v16
	s_cbranch_execz .LBB4_3635
; %bb.3628:                             ;   in Loop: Header=BB4_2771 Depth=2
	v_bfrev_b32_e32 v2, 1
	s_mov_b32 s11, exec_lo
	v_cmpx_ne_u16_e32 0x80, v16
	s_cbranch_execz .LBB4_3634
; %bb.3629:                             ;   in Loop: Header=BB4_2771 Depth=2
	v_and_b32_e32 v17, 0x7f, v58
	v_mov_b32_e32 v2, 0x7f800001
	s_mov_b32 s29, exec_lo
	s_delay_alu instid0(VALU_DEP_2)
	v_cmpx_ne_u32_e32 0x7f, v17
	s_cbranch_execz .LBB4_3633
; %bb.3630:                             ;   in Loop: Header=BB4_2771 Depth=2
	v_dual_lshrrev_b32 v2, 3, v17 :: v_dual_bitop2_b32 v38, 7, v16 bitop3:0x40
	v_cmp_gt_u32_e32 vcc_lo, 8, v17
	s_delay_alu instid0(VALU_DEP_2)
	v_mov_b64_e32 v[16:17], v[38:39]
	s_and_saveexec_b32 s40, vcc_lo
; %bb.3631:                             ;   in Loop: Header=BB4_2771 Depth=2
	v_clz_i32_u32_e32 v2, v38
	s_delay_alu instid0(VALU_DEP_1) | instskip(NEXT) | instid1(VALU_DEP_1)
	v_min_u32_e32 v2, 32, v2
	v_subrev_nc_u32_e32 v16, 28, v2
	s_delay_alu instid0(VALU_DEP_1) | instskip(NEXT) | instid1(VALU_DEP_1)
	v_lshlrev_b64_e32 v[16:17], v16, v[38:39]
	v_dual_sub_nc_u32 v2, 29, v2 :: v_dual_bitop2_b32 v16, 7, v16 bitop3:0x40
; %bb.3632:                             ;   in Loop: Header=BB4_2771 Depth=2
	s_or_b32 exec_lo, exec_lo, s40
	s_delay_alu instid0(VALU_DEP_1) | instskip(NEXT) | instid1(VALU_DEP_2)
	v_dual_lshlrev_b32 v17, 24, v58 :: v_dual_lshlrev_b32 v16, 20, v16
	v_lshl_add_u32 v2, v2, 23, 0x3c000000
	s_delay_alu instid0(VALU_DEP_2) | instskip(NEXT) | instid1(VALU_DEP_1)
	v_and_b32_e32 v17, 0x80000000, v17
	v_or3_b32 v2, v16, v17, v2
.LBB4_3633:                             ;   in Loop: Header=BB4_2771 Depth=2
	s_or_b32 exec_lo, exec_lo, s29
.LBB4_3634:                             ;   in Loop: Header=BB4_2771 Depth=2
	s_delay_alu instid0(SALU_CYCLE_1)
	s_or_b32 exec_lo, exec_lo, s11
.LBB4_3635:                             ;   in Loop: Header=BB4_2771 Depth=2
	s_delay_alu instid0(SALU_CYCLE_1) | instskip(NEXT) | instid1(VALU_DEP_1)
	s_or_b32 exec_lo, exec_lo, s10
	v_add_f32_e32 v3, v3, v2
                                        ; implicit-def: $vgpr101
	s_mov_b32 s10, exec_lo
	s_delay_alu instid0(VALU_DEP_1) | instskip(SKIP_1) | instid1(VALU_DEP_2)
	v_and_b32_e32 v38, 0x7f800000, v3
	v_lshrrev_b32_e32 v2, 24, v3
	v_cmpx_ne_u64_e32 0x7f800000, v[38:39]
	s_xor_b32 s11, exec_lo, s10
	s_cbranch_execz .LBB4_3653
; %bb.3636:                             ;   in Loop: Header=BB4_2771 Depth=2
	v_and_b32_e32 v38, 0x7fffffff, v3
	v_and_b32_e32 v2, 0x80, v2
                                        ; implicit-def: $vgpr101
	s_mov_b32 s10, exec_lo
	s_delay_alu instid0(VALU_DEP_2)
	v_cmpx_gt_u64_e32 0x43e00001, v[38:39]
	s_xor_b32 s29, exec_lo, s10
	s_cbranch_execz .LBB4_3650
; %bb.3637:                             ;   in Loop: Header=BB4_2771 Depth=2
	v_mov_b32_e32 v101, 0
	s_mov_b32 s40, exec_lo
	v_cmpx_ne_u32_e32 0, v3
	s_cbranch_execz .LBB4_3649
; %bb.3638:                             ;   in Loop: Header=BB4_2771 Depth=2
	v_bfe_u32 v101, v3, 23, 8
	v_and_b32_e32 v3, 0x7fffff, v3
	s_delay_alu instid0(VALU_DEP_2) | instskip(SKIP_1) | instid1(VALU_DEP_3)
	v_sub_nc_u32_e32 v16, 0x79, v101
	v_cmp_gt_u32_e32 vcc_lo, 0x7a, v101
	v_or_b32_e32 v20, 0x800000, v3
	s_delay_alu instid0(VALU_DEP_3) | instskip(SKIP_1) | instid1(VALU_DEP_2)
	v_cndmask_b32_e32 v16, 0, v16, vcc_lo
	v_cmp_eq_u32_e32 vcc_lo, 0, v101
	v_cndmask_b32_e64 v113, v16, 0x78, vcc_lo
	s_delay_alu instid0(VALU_DEP_1) | instskip(SKIP_1) | instid1(VALU_DEP_2)
	v_dual_cndmask_b32 v38, v20, v3, vcc_lo :: v_dual_add_nc_u32 v16, 20, v113
	v_add_nc_u32_e32 v21, 19, v113
	v_lshlrev_b64_e64 v[16:17], v16, -1
	s_delay_alu instid0(VALU_DEP_2) | instskip(NEXT) | instid1(VALU_DEP_2)
	v_lshlrev_b64_e64 v[20:21], v21, 1
	v_bfi_b32 v83, v17, 0, 0
	s_delay_alu instid0(VALU_DEP_3) | instskip(SKIP_1) | instid1(VALU_DEP_2)
	v_bfi_b32 v82, v16, 0, v38
	v_lshrrev_b64 v[16:17], v113, v[38:39]
	v_cmp_eq_u64_e64 s10, v[82:83], v[20:21]
	s_delay_alu instid0(VALU_DEP_2)
	v_mov_b64_e32 v[82:83], v[16:17]
	s_and_saveexec_b32 s41, s10
; %bb.3639:                             ;   in Loop: Header=BB4_2771 Depth=2
	v_bfe_u32 v38, v16, 20, 1
	s_delay_alu instid0(VALU_DEP_1) | instskip(NEXT) | instid1(VALU_DEP_1)
	v_add_nc_u64_e32 v[20:21], v[16:17], v[38:39]
	v_add_nc_u64_e32 v[82:83], -1, v[20:21]
; %bb.3640:                             ;   in Loop: Header=BB4_2771 Depth=2
	s_or_b32 exec_lo, exec_lo, s41
	v_add_nc_u32_e32 v3, 0xffffff81, v101
	v_lshrrev_b32_e32 v17, 23, v16
	s_mov_b32 s10, exec_lo
	s_delay_alu instid0(VALU_DEP_2) | instskip(NEXT) | instid1(VALU_DEP_1)
	v_cndmask_b32_e64 v3, v3, 0xffffff82, vcc_lo
	v_add3_u32 v83, v113, v3, v17
	v_and_b32_e32 v3, 0xfffff, v82
	s_delay_alu instid0(VALU_DEP_1) | instskip(NEXT) | instid1(VALU_DEP_1)
	v_dual_add_nc_u32 v82, 6, v83 :: v_dual_add_nc_u32 v38, v3, v16
                                        ; implicit-def: $vgpr16_vgpr17
                                        ; implicit-def: $vgpr3
	v_cmpx_ne_u32_e32 0, v82
	s_xor_b32 s10, exec_lo, s10
; %bb.3641:                             ;   in Loop: Header=BB4_2771 Depth=2
	s_delay_alu instid0(VALU_DEP_2) | instskip(SKIP_2) | instid1(VALU_DEP_2)
	v_cmp_lt_u64_e32 vcc_lo, 0xffffff, v[38:39]
	v_add_nc_u32_e32 v3, 7, v83
	v_cndmask_b32_e64 v16, 0, 1, vcc_lo
	v_cndmask_b32_e32 v3, v82, v3, vcc_lo
	s_delay_alu instid0(VALU_DEP_2)
	v_lshrrev_b64 v[16:17], v16, v[38:39]
; %bb.3642:                             ;   in Loop: Header=BB4_2771 Depth=2
	s_and_not1_saveexec_b32 s10, s10
; %bb.3643:                             ;   in Loop: Header=BB4_2771 Depth=2
	v_mov_b64_e32 v[16:17], v[38:39]
	v_bfe_u32 v3, v38, 23, 1
; %bb.3644:                             ;   in Loop: Header=BB4_2771 Depth=2
	s_or_b32 exec_lo, exec_lo, s10
	s_delay_alu instid0(VALU_DEP_2) | instskip(NEXT) | instid1(VALU_DEP_2)
	v_lshrrev_b64 v[16:17], 20, v[16:17]
	v_cmp_gt_i32_e32 vcc_lo, 16, v3
	v_cmp_ne_u32_e64 s10, 0, v3
                                        ; implicit-def: $vgpr101
	s_delay_alu instid0(VALU_DEP_3) | instskip(NEXT) | instid1(VALU_DEP_1)
	v_dual_cndmask_b32 v17, 0, v17 :: v_dual_cndmask_b32 v16, 7, v16
	v_cmp_ne_u64_e32 vcc_lo, 0, v[16:17]
	s_or_b32 s10, s10, vcc_lo
	s_delay_alu instid0(SALU_CYCLE_1) | instskip(NEXT) | instid1(SALU_CYCLE_1)
	s_and_saveexec_b32 s41, s10
	s_xor_b32 s10, exec_lo, s41
; %bb.3645:                             ;   in Loop: Header=BB4_2771 Depth=2
	v_min_i32_e32 v3, 15, v3
	s_delay_alu instid0(VALU_DEP_1) | instskip(NEXT) | instid1(VALU_DEP_1)
	v_lshl_or_b32 v2, v3, 3, v2
	v_and_or_b32 v101, v16, 7, v2
                                        ; implicit-def: $vgpr2
; %bb.3646:                             ;   in Loop: Header=BB4_2771 Depth=2
	s_and_not1_saveexec_b32 s10, s10
; %bb.3647:                             ;   in Loop: Header=BB4_2771 Depth=2
	v_mov_b32_e32 v101, v2
; %bb.3648:                             ;   in Loop: Header=BB4_2771 Depth=2
	s_or_b32 exec_lo, exec_lo, s10
.LBB4_3649:                             ;   in Loop: Header=BB4_2771 Depth=2
	s_delay_alu instid0(SALU_CYCLE_1)
	s_or_b32 exec_lo, exec_lo, s40
                                        ; implicit-def: $vgpr2
.LBB4_3650:                             ;   in Loop: Header=BB4_2771 Depth=2
	s_and_not1_saveexec_b32 s10, s29
; %bb.3651:                             ;   in Loop: Header=BB4_2771 Depth=2
	v_or_b32_e32 v101, 0x7e, v2
; %bb.3652:                             ;   in Loop: Header=BB4_2771 Depth=2
	s_or_b32 exec_lo, exec_lo, s10
                                        ; implicit-def: $vgpr2
.LBB4_3653:                             ;   in Loop: Header=BB4_2771 Depth=2
	s_and_not1_saveexec_b32 s10, s11
; %bb.3654:                             ;   in Loop: Header=BB4_2771 Depth=2
	v_or_b32_e32 v101, 0x7f, v2
; %bb.3655:                             ;   in Loop: Header=BB4_2771 Depth=2
	s_or_b32 exec_lo, exec_lo, s10
	v_and_b32_e32 v16, 0xff, v100
	v_dual_mov_b32 v2, 0 :: v_dual_mov_b32 v3, 0
	s_mov_b32 s10, exec_lo
	s_delay_alu instid0(VALU_DEP_2)
	v_cmpx_ne_u16_e32 0, v16
	s_cbranch_execz .LBB4_3663
; %bb.3656:                             ;   in Loop: Header=BB4_2771 Depth=2
	v_bfrev_b32_e32 v3, 1
	s_mov_b32 s11, exec_lo
	v_cmpx_ne_u16_e32 0x80, v16
	s_cbranch_execz .LBB4_3662
; %bb.3657:                             ;   in Loop: Header=BB4_2771 Depth=2
	v_and_b32_e32 v17, 0x7f, v100
	v_mov_b32_e32 v3, 0x7f800001
	s_mov_b32 s29, exec_lo
	s_delay_alu instid0(VALU_DEP_2)
	v_cmpx_ne_u32_e32 0x7f, v17
	s_cbranch_execz .LBB4_3661
; %bb.3658:                             ;   in Loop: Header=BB4_2771 Depth=2
	v_dual_lshrrev_b32 v3, 3, v17 :: v_dual_bitop2_b32 v38, 7, v16 bitop3:0x40
	v_cmp_gt_u32_e32 vcc_lo, 8, v17
	s_delay_alu instid0(VALU_DEP_2)
	v_mov_b64_e32 v[16:17], v[38:39]
	s_and_saveexec_b32 s40, vcc_lo
; %bb.3659:                             ;   in Loop: Header=BB4_2771 Depth=2
	v_clz_i32_u32_e32 v3, v38
	s_delay_alu instid0(VALU_DEP_1) | instskip(NEXT) | instid1(VALU_DEP_1)
	v_min_u32_e32 v3, 32, v3
	v_subrev_nc_u32_e32 v16, 28, v3
	s_delay_alu instid0(VALU_DEP_1) | instskip(NEXT) | instid1(VALU_DEP_1)
	v_lshlrev_b64_e32 v[16:17], v16, v[38:39]
	v_dual_sub_nc_u32 v3, 29, v3 :: v_dual_bitop2_b32 v16, 7, v16 bitop3:0x40
; %bb.3660:                             ;   in Loop: Header=BB4_2771 Depth=2
	s_or_b32 exec_lo, exec_lo, s40
	v_lshlrev_b32_e32 v17, 24, v100
	s_delay_alu instid0(VALU_DEP_2) | instskip(NEXT) | instid1(VALU_DEP_3)
	v_lshlrev_b32_e32 v16, 20, v16
	v_lshl_add_u32 v3, v3, 23, 0x3c000000
	s_delay_alu instid0(VALU_DEP_3) | instskip(NEXT) | instid1(VALU_DEP_1)
	v_and_b32_e32 v17, 0x80000000, v17
	v_or3_b32 v3, v16, v17, v3
.LBB4_3661:                             ;   in Loop: Header=BB4_2771 Depth=2
	s_or_b32 exec_lo, exec_lo, s29
.LBB4_3662:                             ;   in Loop: Header=BB4_2771 Depth=2
	s_delay_alu instid0(SALU_CYCLE_1)
	s_or_b32 exec_lo, exec_lo, s11
.LBB4_3663:                             ;   in Loop: Header=BB4_2771 Depth=2
	s_delay_alu instid0(SALU_CYCLE_1) | instskip(SKIP_3) | instid1(VALU_DEP_1)
	s_or_b32 exec_lo, exec_lo, s10
	s_wait_loadcnt_dscnt 0x303
	v_and_b32_e32 v16, 0xff, v57
	s_mov_b32 s10, exec_lo
	v_cmpx_ne_u16_e32 0, v16
	s_cbranch_execz .LBB4_3671
; %bb.3664:                             ;   in Loop: Header=BB4_2771 Depth=2
	v_bfrev_b32_e32 v2, 1
	s_mov_b32 s11, exec_lo
	v_cmpx_ne_u16_e32 0x80, v16
	s_cbranch_execz .LBB4_3670
; %bb.3665:                             ;   in Loop: Header=BB4_2771 Depth=2
	v_and_b32_e32 v17, 0x7f, v57
	v_mov_b32_e32 v2, 0x7f800001
	s_mov_b32 s29, exec_lo
	s_delay_alu instid0(VALU_DEP_2)
	v_cmpx_ne_u32_e32 0x7f, v17
	s_cbranch_execz .LBB4_3669
; %bb.3666:                             ;   in Loop: Header=BB4_2771 Depth=2
	v_dual_lshrrev_b32 v2, 3, v17 :: v_dual_bitop2_b32 v38, 7, v16 bitop3:0x40
	v_cmp_gt_u32_e32 vcc_lo, 8, v17
	s_delay_alu instid0(VALU_DEP_2)
	v_mov_b64_e32 v[16:17], v[38:39]
	s_and_saveexec_b32 s40, vcc_lo
; %bb.3667:                             ;   in Loop: Header=BB4_2771 Depth=2
	v_clz_i32_u32_e32 v2, v38
	s_delay_alu instid0(VALU_DEP_1) | instskip(NEXT) | instid1(VALU_DEP_1)
	v_min_u32_e32 v2, 32, v2
	v_subrev_nc_u32_e32 v16, 28, v2
	s_delay_alu instid0(VALU_DEP_1) | instskip(NEXT) | instid1(VALU_DEP_1)
	v_lshlrev_b64_e32 v[16:17], v16, v[38:39]
	v_dual_sub_nc_u32 v2, 29, v2 :: v_dual_bitop2_b32 v16, 7, v16 bitop3:0x40
; %bb.3668:                             ;   in Loop: Header=BB4_2771 Depth=2
	s_or_b32 exec_lo, exec_lo, s40
	s_delay_alu instid0(VALU_DEP_1) | instskip(NEXT) | instid1(VALU_DEP_2)
	v_dual_lshlrev_b32 v17, 24, v57 :: v_dual_lshlrev_b32 v16, 20, v16
	v_lshl_add_u32 v2, v2, 23, 0x3c000000
	s_delay_alu instid0(VALU_DEP_2) | instskip(NEXT) | instid1(VALU_DEP_1)
	v_and_b32_e32 v17, 0x80000000, v17
	v_or3_b32 v2, v16, v17, v2
.LBB4_3669:                             ;   in Loop: Header=BB4_2771 Depth=2
	s_or_b32 exec_lo, exec_lo, s29
.LBB4_3670:                             ;   in Loop: Header=BB4_2771 Depth=2
	s_delay_alu instid0(SALU_CYCLE_1)
	s_or_b32 exec_lo, exec_lo, s11
.LBB4_3671:                             ;   in Loop: Header=BB4_2771 Depth=2
	s_delay_alu instid0(SALU_CYCLE_1) | instskip(NEXT) | instid1(VALU_DEP_1)
	s_or_b32 exec_lo, exec_lo, s10
	v_add_f32_e32 v3, v3, v2
                                        ; implicit-def: $vgpr100
	s_mov_b32 s10, exec_lo
	s_delay_alu instid0(VALU_DEP_1) | instskip(SKIP_1) | instid1(VALU_DEP_2)
	v_and_b32_e32 v38, 0x7f800000, v3
	v_lshrrev_b32_e32 v2, 24, v3
	v_cmpx_ne_u64_e32 0x7f800000, v[38:39]
	s_xor_b32 s11, exec_lo, s10
	s_cbranch_execz .LBB4_3689
; %bb.3672:                             ;   in Loop: Header=BB4_2771 Depth=2
	v_and_b32_e32 v38, 0x7fffffff, v3
	v_and_b32_e32 v2, 0x80, v2
                                        ; implicit-def: $vgpr100
	s_mov_b32 s10, exec_lo
	s_delay_alu instid0(VALU_DEP_2)
	v_cmpx_gt_u64_e32 0x43e00001, v[38:39]
	s_xor_b32 s29, exec_lo, s10
	s_cbranch_execz .LBB4_3686
; %bb.3673:                             ;   in Loop: Header=BB4_2771 Depth=2
	v_mov_b32_e32 v100, 0
	s_mov_b32 s40, exec_lo
	v_cmpx_ne_u32_e32 0, v3
	s_cbranch_execz .LBB4_3685
; %bb.3674:                             ;   in Loop: Header=BB4_2771 Depth=2
	v_bfe_u32 v100, v3, 23, 8
	v_and_b32_e32 v3, 0x7fffff, v3
	s_delay_alu instid0(VALU_DEP_2) | instskip(SKIP_1) | instid1(VALU_DEP_3)
	v_sub_nc_u32_e32 v16, 0x79, v100
	v_cmp_gt_u32_e32 vcc_lo, 0x7a, v100
	v_or_b32_e32 v20, 0x800000, v3
	s_delay_alu instid0(VALU_DEP_3) | instskip(SKIP_1) | instid1(VALU_DEP_2)
	v_cndmask_b32_e32 v16, 0, v16, vcc_lo
	v_cmp_eq_u32_e32 vcc_lo, 0, v100
	v_cndmask_b32_e64 v113, v16, 0x78, vcc_lo
	s_delay_alu instid0(VALU_DEP_1) | instskip(SKIP_1) | instid1(VALU_DEP_2)
	v_dual_cndmask_b32 v38, v20, v3, vcc_lo :: v_dual_add_nc_u32 v16, 20, v113
	v_add_nc_u32_e32 v21, 19, v113
	v_lshlrev_b64_e64 v[16:17], v16, -1
	s_delay_alu instid0(VALU_DEP_2) | instskip(NEXT) | instid1(VALU_DEP_2)
	v_lshlrev_b64_e64 v[20:21], v21, 1
	v_bfi_b32 v83, v17, 0, 0
	s_delay_alu instid0(VALU_DEP_3) | instskip(SKIP_1) | instid1(VALU_DEP_2)
	v_bfi_b32 v82, v16, 0, v38
	v_lshrrev_b64 v[16:17], v113, v[38:39]
	v_cmp_eq_u64_e64 s10, v[82:83], v[20:21]
	s_delay_alu instid0(VALU_DEP_2)
	v_mov_b64_e32 v[82:83], v[16:17]
	s_and_saveexec_b32 s41, s10
; %bb.3675:                             ;   in Loop: Header=BB4_2771 Depth=2
	v_bfe_u32 v38, v16, 20, 1
	s_delay_alu instid0(VALU_DEP_1) | instskip(NEXT) | instid1(VALU_DEP_1)
	v_add_nc_u64_e32 v[20:21], v[16:17], v[38:39]
	v_add_nc_u64_e32 v[82:83], -1, v[20:21]
; %bb.3676:                             ;   in Loop: Header=BB4_2771 Depth=2
	s_or_b32 exec_lo, exec_lo, s41
	v_add_nc_u32_e32 v3, 0xffffff81, v100
	v_lshrrev_b32_e32 v17, 23, v16
	s_mov_b32 s10, exec_lo
	s_delay_alu instid0(VALU_DEP_2) | instskip(NEXT) | instid1(VALU_DEP_1)
	v_cndmask_b32_e64 v3, v3, 0xffffff82, vcc_lo
	v_add3_u32 v83, v113, v3, v17
	v_and_b32_e32 v3, 0xfffff, v82
	s_delay_alu instid0(VALU_DEP_1) | instskip(NEXT) | instid1(VALU_DEP_1)
	v_dual_add_nc_u32 v82, 6, v83 :: v_dual_add_nc_u32 v38, v3, v16
                                        ; implicit-def: $vgpr16_vgpr17
                                        ; implicit-def: $vgpr3
	v_cmpx_ne_u32_e32 0, v82
	s_xor_b32 s10, exec_lo, s10
; %bb.3677:                             ;   in Loop: Header=BB4_2771 Depth=2
	s_delay_alu instid0(VALU_DEP_2) | instskip(SKIP_2) | instid1(VALU_DEP_2)
	v_cmp_lt_u64_e32 vcc_lo, 0xffffff, v[38:39]
	v_add_nc_u32_e32 v3, 7, v83
	v_cndmask_b32_e64 v16, 0, 1, vcc_lo
	v_cndmask_b32_e32 v3, v82, v3, vcc_lo
	s_delay_alu instid0(VALU_DEP_2)
	v_lshrrev_b64 v[16:17], v16, v[38:39]
; %bb.3678:                             ;   in Loop: Header=BB4_2771 Depth=2
	s_and_not1_saveexec_b32 s10, s10
; %bb.3679:                             ;   in Loop: Header=BB4_2771 Depth=2
	v_mov_b64_e32 v[16:17], v[38:39]
	v_bfe_u32 v3, v38, 23, 1
; %bb.3680:                             ;   in Loop: Header=BB4_2771 Depth=2
	s_or_b32 exec_lo, exec_lo, s10
	s_delay_alu instid0(VALU_DEP_2) | instskip(NEXT) | instid1(VALU_DEP_2)
	v_lshrrev_b64 v[16:17], 20, v[16:17]
	v_cmp_gt_i32_e32 vcc_lo, 16, v3
	v_cmp_ne_u32_e64 s10, 0, v3
                                        ; implicit-def: $vgpr100
	s_delay_alu instid0(VALU_DEP_3) | instskip(NEXT) | instid1(VALU_DEP_1)
	v_dual_cndmask_b32 v17, 0, v17 :: v_dual_cndmask_b32 v16, 7, v16
	v_cmp_ne_u64_e32 vcc_lo, 0, v[16:17]
	s_or_b32 s10, s10, vcc_lo
	s_delay_alu instid0(SALU_CYCLE_1) | instskip(NEXT) | instid1(SALU_CYCLE_1)
	s_and_saveexec_b32 s41, s10
	s_xor_b32 s10, exec_lo, s41
; %bb.3681:                             ;   in Loop: Header=BB4_2771 Depth=2
	v_min_i32_e32 v3, 15, v3
	s_delay_alu instid0(VALU_DEP_1) | instskip(NEXT) | instid1(VALU_DEP_1)
	v_lshl_or_b32 v2, v3, 3, v2
	v_and_or_b32 v100, v16, 7, v2
                                        ; implicit-def: $vgpr2
; %bb.3682:                             ;   in Loop: Header=BB4_2771 Depth=2
	s_and_not1_saveexec_b32 s10, s10
; %bb.3683:                             ;   in Loop: Header=BB4_2771 Depth=2
	v_mov_b32_e32 v100, v2
; %bb.3684:                             ;   in Loop: Header=BB4_2771 Depth=2
	s_or_b32 exec_lo, exec_lo, s10
.LBB4_3685:                             ;   in Loop: Header=BB4_2771 Depth=2
	s_delay_alu instid0(SALU_CYCLE_1)
	s_or_b32 exec_lo, exec_lo, s40
                                        ; implicit-def: $vgpr2
.LBB4_3686:                             ;   in Loop: Header=BB4_2771 Depth=2
	s_and_not1_saveexec_b32 s10, s29
; %bb.3687:                             ;   in Loop: Header=BB4_2771 Depth=2
	v_or_b32_e32 v100, 0x7e, v2
; %bb.3688:                             ;   in Loop: Header=BB4_2771 Depth=2
	s_or_b32 exec_lo, exec_lo, s10
                                        ; implicit-def: $vgpr2
.LBB4_3689:                             ;   in Loop: Header=BB4_2771 Depth=2
	s_and_not1_saveexec_b32 s10, s11
; %bb.3690:                             ;   in Loop: Header=BB4_2771 Depth=2
	v_or_b32_e32 v100, 0x7f, v2
; %bb.3691:                             ;   in Loop: Header=BB4_2771 Depth=2
	s_or_b32 exec_lo, exec_lo, s10
	v_and_b32_e32 v16, 0xff, v99
	v_dual_mov_b32 v2, 0 :: v_dual_mov_b32 v3, 0
	s_mov_b32 s10, exec_lo
	s_delay_alu instid0(VALU_DEP_2)
	v_cmpx_ne_u16_e32 0, v16
	s_cbranch_execz .LBB4_3699
; %bb.3692:                             ;   in Loop: Header=BB4_2771 Depth=2
	v_bfrev_b32_e32 v3, 1
	s_mov_b32 s11, exec_lo
	v_cmpx_ne_u16_e32 0x80, v16
	s_cbranch_execz .LBB4_3698
; %bb.3693:                             ;   in Loop: Header=BB4_2771 Depth=2
	v_and_b32_e32 v17, 0x7f, v99
	v_mov_b32_e32 v3, 0x7f800001
	s_mov_b32 s29, exec_lo
	s_delay_alu instid0(VALU_DEP_2)
	v_cmpx_ne_u32_e32 0x7f, v17
	s_cbranch_execz .LBB4_3697
; %bb.3694:                             ;   in Loop: Header=BB4_2771 Depth=2
	v_dual_lshrrev_b32 v3, 3, v17 :: v_dual_bitop2_b32 v38, 7, v16 bitop3:0x40
	v_cmp_gt_u32_e32 vcc_lo, 8, v17
	s_delay_alu instid0(VALU_DEP_2)
	v_mov_b64_e32 v[16:17], v[38:39]
	s_and_saveexec_b32 s40, vcc_lo
; %bb.3695:                             ;   in Loop: Header=BB4_2771 Depth=2
	v_clz_i32_u32_e32 v3, v38
	s_delay_alu instid0(VALU_DEP_1) | instskip(NEXT) | instid1(VALU_DEP_1)
	v_min_u32_e32 v3, 32, v3
	v_subrev_nc_u32_e32 v16, 28, v3
	s_delay_alu instid0(VALU_DEP_1) | instskip(NEXT) | instid1(VALU_DEP_1)
	v_lshlrev_b64_e32 v[16:17], v16, v[38:39]
	v_dual_sub_nc_u32 v3, 29, v3 :: v_dual_bitop2_b32 v16, 7, v16 bitop3:0x40
; %bb.3696:                             ;   in Loop: Header=BB4_2771 Depth=2
	s_or_b32 exec_lo, exec_lo, s40
	s_delay_alu instid0(VALU_DEP_1) | instskip(NEXT) | instid1(VALU_DEP_2)
	v_dual_lshlrev_b32 v17, 24, v99 :: v_dual_lshlrev_b32 v16, 20, v16
	v_lshl_add_u32 v3, v3, 23, 0x3c000000
	s_delay_alu instid0(VALU_DEP_2) | instskip(NEXT) | instid1(VALU_DEP_1)
	v_and_b32_e32 v17, 0x80000000, v17
	v_or3_b32 v3, v16, v17, v3
.LBB4_3697:                             ;   in Loop: Header=BB4_2771 Depth=2
	s_or_b32 exec_lo, exec_lo, s29
.LBB4_3698:                             ;   in Loop: Header=BB4_2771 Depth=2
	s_delay_alu instid0(SALU_CYCLE_1)
	s_or_b32 exec_lo, exec_lo, s11
.LBB4_3699:                             ;   in Loop: Header=BB4_2771 Depth=2
	s_delay_alu instid0(SALU_CYCLE_1) | instskip(SKIP_3) | instid1(VALU_DEP_1)
	s_or_b32 exec_lo, exec_lo, s10
	s_wait_loadcnt_dscnt 0x202
	v_and_b32_e32 v16, 0xff, v45
	s_mov_b32 s10, exec_lo
	v_cmpx_ne_u16_e32 0, v16
	s_cbranch_execz .LBB4_3707
; %bb.3700:                             ;   in Loop: Header=BB4_2771 Depth=2
	v_bfrev_b32_e32 v2, 1
	s_mov_b32 s11, exec_lo
	v_cmpx_ne_u16_e32 0x80, v16
	s_cbranch_execz .LBB4_3706
; %bb.3701:                             ;   in Loop: Header=BB4_2771 Depth=2
	v_and_b32_e32 v17, 0x7f, v45
	v_mov_b32_e32 v2, 0x7f800001
	s_mov_b32 s29, exec_lo
	s_delay_alu instid0(VALU_DEP_2)
	v_cmpx_ne_u32_e32 0x7f, v17
	s_cbranch_execz .LBB4_3705
; %bb.3702:                             ;   in Loop: Header=BB4_2771 Depth=2
	v_dual_lshrrev_b32 v2, 3, v17 :: v_dual_bitop2_b32 v38, 7, v16 bitop3:0x40
	v_cmp_gt_u32_e32 vcc_lo, 8, v17
	s_delay_alu instid0(VALU_DEP_2)
	v_mov_b64_e32 v[16:17], v[38:39]
	s_and_saveexec_b32 s40, vcc_lo
; %bb.3703:                             ;   in Loop: Header=BB4_2771 Depth=2
	v_clz_i32_u32_e32 v2, v38
	s_delay_alu instid0(VALU_DEP_1) | instskip(NEXT) | instid1(VALU_DEP_1)
	v_min_u32_e32 v2, 32, v2
	v_subrev_nc_u32_e32 v16, 28, v2
	s_delay_alu instid0(VALU_DEP_1) | instskip(NEXT) | instid1(VALU_DEP_1)
	v_lshlrev_b64_e32 v[16:17], v16, v[38:39]
	v_dual_sub_nc_u32 v2, 29, v2 :: v_dual_bitop2_b32 v16, 7, v16 bitop3:0x40
; %bb.3704:                             ;   in Loop: Header=BB4_2771 Depth=2
	s_or_b32 exec_lo, exec_lo, s40
	s_delay_alu instid0(VALU_DEP_1) | instskip(NEXT) | instid1(VALU_DEP_2)
	v_dual_lshlrev_b32 v17, 24, v45 :: v_dual_lshlrev_b32 v16, 20, v16
	v_lshl_add_u32 v2, v2, 23, 0x3c000000
	s_delay_alu instid0(VALU_DEP_2) | instskip(NEXT) | instid1(VALU_DEP_1)
	v_and_b32_e32 v17, 0x80000000, v17
	v_or3_b32 v2, v16, v17, v2
.LBB4_3705:                             ;   in Loop: Header=BB4_2771 Depth=2
	s_or_b32 exec_lo, exec_lo, s29
.LBB4_3706:                             ;   in Loop: Header=BB4_2771 Depth=2
	s_delay_alu instid0(SALU_CYCLE_1)
	s_or_b32 exec_lo, exec_lo, s11
.LBB4_3707:                             ;   in Loop: Header=BB4_2771 Depth=2
	s_delay_alu instid0(SALU_CYCLE_1) | instskip(NEXT) | instid1(VALU_DEP_1)
	s_or_b32 exec_lo, exec_lo, s10
	v_add_f32_e32 v3, v3, v2
                                        ; implicit-def: $vgpr99
	s_mov_b32 s10, exec_lo
	s_delay_alu instid0(VALU_DEP_1) | instskip(SKIP_1) | instid1(VALU_DEP_2)
	v_and_b32_e32 v38, 0x7f800000, v3
	v_lshrrev_b32_e32 v2, 24, v3
	v_cmpx_ne_u64_e32 0x7f800000, v[38:39]
	s_xor_b32 s11, exec_lo, s10
	s_cbranch_execz .LBB4_3725
; %bb.3708:                             ;   in Loop: Header=BB4_2771 Depth=2
	v_and_b32_e32 v38, 0x7fffffff, v3
	v_and_b32_e32 v2, 0x80, v2
                                        ; implicit-def: $vgpr99
	s_mov_b32 s10, exec_lo
	s_delay_alu instid0(VALU_DEP_2)
	v_cmpx_gt_u64_e32 0x43e00001, v[38:39]
	s_xor_b32 s29, exec_lo, s10
	s_cbranch_execz .LBB4_3722
; %bb.3709:                             ;   in Loop: Header=BB4_2771 Depth=2
	v_mov_b32_e32 v99, 0
	s_mov_b32 s40, exec_lo
	v_cmpx_ne_u32_e32 0, v3
	s_cbranch_execz .LBB4_3721
; %bb.3710:                             ;   in Loop: Header=BB4_2771 Depth=2
	v_bfe_u32 v99, v3, 23, 8
	v_and_b32_e32 v3, 0x7fffff, v3
	s_delay_alu instid0(VALU_DEP_2) | instskip(SKIP_1) | instid1(VALU_DEP_3)
	v_sub_nc_u32_e32 v16, 0x79, v99
	v_cmp_gt_u32_e32 vcc_lo, 0x7a, v99
	v_or_b32_e32 v20, 0x800000, v3
	s_delay_alu instid0(VALU_DEP_3) | instskip(SKIP_1) | instid1(VALU_DEP_2)
	v_cndmask_b32_e32 v16, 0, v16, vcc_lo
	v_cmp_eq_u32_e32 vcc_lo, 0, v99
	v_cndmask_b32_e64 v113, v16, 0x78, vcc_lo
	s_delay_alu instid0(VALU_DEP_1) | instskip(SKIP_1) | instid1(VALU_DEP_2)
	v_dual_cndmask_b32 v38, v20, v3, vcc_lo :: v_dual_add_nc_u32 v16, 20, v113
	v_add_nc_u32_e32 v21, 19, v113
	v_lshlrev_b64_e64 v[16:17], v16, -1
	s_delay_alu instid0(VALU_DEP_2) | instskip(NEXT) | instid1(VALU_DEP_2)
	v_lshlrev_b64_e64 v[20:21], v21, 1
	v_bfi_b32 v83, v17, 0, 0
	s_delay_alu instid0(VALU_DEP_3) | instskip(SKIP_1) | instid1(VALU_DEP_2)
	v_bfi_b32 v82, v16, 0, v38
	v_lshrrev_b64 v[16:17], v113, v[38:39]
	v_cmp_eq_u64_e64 s10, v[82:83], v[20:21]
	s_delay_alu instid0(VALU_DEP_2)
	v_mov_b64_e32 v[82:83], v[16:17]
	s_and_saveexec_b32 s41, s10
; %bb.3711:                             ;   in Loop: Header=BB4_2771 Depth=2
	v_bfe_u32 v38, v16, 20, 1
	s_delay_alu instid0(VALU_DEP_1) | instskip(NEXT) | instid1(VALU_DEP_1)
	v_add_nc_u64_e32 v[20:21], v[16:17], v[38:39]
	v_add_nc_u64_e32 v[82:83], -1, v[20:21]
; %bb.3712:                             ;   in Loop: Header=BB4_2771 Depth=2
	s_or_b32 exec_lo, exec_lo, s41
	v_add_nc_u32_e32 v3, 0xffffff81, v99
	v_lshrrev_b32_e32 v17, 23, v16
	s_mov_b32 s10, exec_lo
	s_delay_alu instid0(VALU_DEP_2) | instskip(NEXT) | instid1(VALU_DEP_1)
	v_cndmask_b32_e64 v3, v3, 0xffffff82, vcc_lo
	v_add3_u32 v83, v113, v3, v17
	v_and_b32_e32 v3, 0xfffff, v82
	s_delay_alu instid0(VALU_DEP_1) | instskip(NEXT) | instid1(VALU_DEP_1)
	v_dual_add_nc_u32 v82, 6, v83 :: v_dual_add_nc_u32 v38, v3, v16
                                        ; implicit-def: $vgpr16_vgpr17
                                        ; implicit-def: $vgpr3
	v_cmpx_ne_u32_e32 0, v82
	s_xor_b32 s10, exec_lo, s10
; %bb.3713:                             ;   in Loop: Header=BB4_2771 Depth=2
	s_delay_alu instid0(VALU_DEP_2) | instskip(SKIP_2) | instid1(VALU_DEP_2)
	v_cmp_lt_u64_e32 vcc_lo, 0xffffff, v[38:39]
	v_add_nc_u32_e32 v3, 7, v83
	v_cndmask_b32_e64 v16, 0, 1, vcc_lo
	v_cndmask_b32_e32 v3, v82, v3, vcc_lo
	s_delay_alu instid0(VALU_DEP_2)
	v_lshrrev_b64 v[16:17], v16, v[38:39]
; %bb.3714:                             ;   in Loop: Header=BB4_2771 Depth=2
	s_and_not1_saveexec_b32 s10, s10
; %bb.3715:                             ;   in Loop: Header=BB4_2771 Depth=2
	v_mov_b64_e32 v[16:17], v[38:39]
	v_bfe_u32 v3, v38, 23, 1
; %bb.3716:                             ;   in Loop: Header=BB4_2771 Depth=2
	s_or_b32 exec_lo, exec_lo, s10
	s_delay_alu instid0(VALU_DEP_2) | instskip(NEXT) | instid1(VALU_DEP_2)
	v_lshrrev_b64 v[16:17], 20, v[16:17]
	v_cmp_gt_i32_e32 vcc_lo, 16, v3
	v_cmp_ne_u32_e64 s10, 0, v3
                                        ; implicit-def: $vgpr99
	s_delay_alu instid0(VALU_DEP_3) | instskip(NEXT) | instid1(VALU_DEP_1)
	v_dual_cndmask_b32 v17, 0, v17 :: v_dual_cndmask_b32 v16, 7, v16
	v_cmp_ne_u64_e32 vcc_lo, 0, v[16:17]
	s_or_b32 s10, s10, vcc_lo
	s_delay_alu instid0(SALU_CYCLE_1) | instskip(NEXT) | instid1(SALU_CYCLE_1)
	s_and_saveexec_b32 s41, s10
	s_xor_b32 s10, exec_lo, s41
; %bb.3717:                             ;   in Loop: Header=BB4_2771 Depth=2
	v_min_i32_e32 v3, 15, v3
	s_delay_alu instid0(VALU_DEP_1) | instskip(NEXT) | instid1(VALU_DEP_1)
	v_lshl_or_b32 v2, v3, 3, v2
	v_and_or_b32 v99, v16, 7, v2
                                        ; implicit-def: $vgpr2
; %bb.3718:                             ;   in Loop: Header=BB4_2771 Depth=2
	s_and_not1_saveexec_b32 s10, s10
; %bb.3719:                             ;   in Loop: Header=BB4_2771 Depth=2
	v_mov_b32_e32 v99, v2
; %bb.3720:                             ;   in Loop: Header=BB4_2771 Depth=2
	s_or_b32 exec_lo, exec_lo, s10
.LBB4_3721:                             ;   in Loop: Header=BB4_2771 Depth=2
	s_delay_alu instid0(SALU_CYCLE_1)
	s_or_b32 exec_lo, exec_lo, s40
                                        ; implicit-def: $vgpr2
.LBB4_3722:                             ;   in Loop: Header=BB4_2771 Depth=2
	s_and_not1_saveexec_b32 s10, s29
; %bb.3723:                             ;   in Loop: Header=BB4_2771 Depth=2
	v_or_b32_e32 v99, 0x7e, v2
; %bb.3724:                             ;   in Loop: Header=BB4_2771 Depth=2
	s_or_b32 exec_lo, exec_lo, s10
                                        ; implicit-def: $vgpr2
.LBB4_3725:                             ;   in Loop: Header=BB4_2771 Depth=2
	s_and_not1_saveexec_b32 s10, s11
; %bb.3726:                             ;   in Loop: Header=BB4_2771 Depth=2
	v_or_b32_e32 v99, 0x7f, v2
; %bb.3727:                             ;   in Loop: Header=BB4_2771 Depth=2
	s_or_b32 exec_lo, exec_lo, s10
	v_and_b32_e32 v16, 0xff, v97
	v_dual_mov_b32 v2, 0 :: v_dual_mov_b32 v3, 0
	s_mov_b32 s10, exec_lo
	s_delay_alu instid0(VALU_DEP_2)
	v_cmpx_ne_u16_e32 0, v16
	s_cbranch_execz .LBB4_3735
; %bb.3728:                             ;   in Loop: Header=BB4_2771 Depth=2
	v_bfrev_b32_e32 v3, 1
	s_mov_b32 s11, exec_lo
	v_cmpx_ne_u16_e32 0x80, v16
	s_cbranch_execz .LBB4_3734
; %bb.3729:                             ;   in Loop: Header=BB4_2771 Depth=2
	v_and_b32_e32 v17, 0x7f, v97
	v_mov_b32_e32 v3, 0x7f800001
	s_mov_b32 s29, exec_lo
	s_delay_alu instid0(VALU_DEP_2)
	v_cmpx_ne_u32_e32 0x7f, v17
	s_cbranch_execz .LBB4_3733
; %bb.3730:                             ;   in Loop: Header=BB4_2771 Depth=2
	v_dual_lshrrev_b32 v3, 3, v17 :: v_dual_bitop2_b32 v38, 7, v16 bitop3:0x40
	v_cmp_gt_u32_e32 vcc_lo, 8, v17
	s_delay_alu instid0(VALU_DEP_2)
	v_mov_b64_e32 v[16:17], v[38:39]
	s_and_saveexec_b32 s40, vcc_lo
; %bb.3731:                             ;   in Loop: Header=BB4_2771 Depth=2
	v_clz_i32_u32_e32 v3, v38
	s_delay_alu instid0(VALU_DEP_1) | instskip(NEXT) | instid1(VALU_DEP_1)
	v_min_u32_e32 v3, 32, v3
	v_subrev_nc_u32_e32 v16, 28, v3
	s_delay_alu instid0(VALU_DEP_1) | instskip(NEXT) | instid1(VALU_DEP_1)
	v_lshlrev_b64_e32 v[16:17], v16, v[38:39]
	v_dual_sub_nc_u32 v3, 29, v3 :: v_dual_bitop2_b32 v16, 7, v16 bitop3:0x40
; %bb.3732:                             ;   in Loop: Header=BB4_2771 Depth=2
	s_or_b32 exec_lo, exec_lo, s40
	s_delay_alu instid0(VALU_DEP_1) | instskip(NEXT) | instid1(VALU_DEP_2)
	v_dual_lshlrev_b32 v17, 24, v97 :: v_dual_lshlrev_b32 v16, 20, v16
	v_lshl_add_u32 v3, v3, 23, 0x3c000000
	s_delay_alu instid0(VALU_DEP_2) | instskip(NEXT) | instid1(VALU_DEP_1)
	v_and_b32_e32 v17, 0x80000000, v17
	v_or3_b32 v3, v16, v17, v3
.LBB4_3733:                             ;   in Loop: Header=BB4_2771 Depth=2
	s_or_b32 exec_lo, exec_lo, s29
.LBB4_3734:                             ;   in Loop: Header=BB4_2771 Depth=2
	s_delay_alu instid0(SALU_CYCLE_1)
	s_or_b32 exec_lo, exec_lo, s11
.LBB4_3735:                             ;   in Loop: Header=BB4_2771 Depth=2
	s_delay_alu instid0(SALU_CYCLE_1) | instskip(SKIP_3) | instid1(VALU_DEP_1)
	s_or_b32 exec_lo, exec_lo, s10
	s_wait_loadcnt_dscnt 0x101
	v_and_b32_e32 v16, 0xff, v103
	s_mov_b32 s10, exec_lo
	v_cmpx_ne_u16_e32 0, v16
	s_cbranch_execz .LBB4_3743
; %bb.3736:                             ;   in Loop: Header=BB4_2771 Depth=2
	v_bfrev_b32_e32 v2, 1
	s_mov_b32 s11, exec_lo
	v_cmpx_ne_u16_e32 0x80, v16
	s_cbranch_execz .LBB4_3742
; %bb.3737:                             ;   in Loop: Header=BB4_2771 Depth=2
	v_and_b32_e32 v17, 0x7f, v103
	v_mov_b32_e32 v2, 0x7f800001
	s_mov_b32 s29, exec_lo
	s_delay_alu instid0(VALU_DEP_2)
	v_cmpx_ne_u32_e32 0x7f, v17
	s_cbranch_execz .LBB4_3741
; %bb.3738:                             ;   in Loop: Header=BB4_2771 Depth=2
	v_dual_lshrrev_b32 v2, 3, v17 :: v_dual_bitop2_b32 v38, 7, v16 bitop3:0x40
	v_cmp_gt_u32_e32 vcc_lo, 8, v17
	s_delay_alu instid0(VALU_DEP_2)
	v_mov_b64_e32 v[16:17], v[38:39]
	s_and_saveexec_b32 s40, vcc_lo
; %bb.3739:                             ;   in Loop: Header=BB4_2771 Depth=2
	v_clz_i32_u32_e32 v2, v38
	s_delay_alu instid0(VALU_DEP_1) | instskip(NEXT) | instid1(VALU_DEP_1)
	v_min_u32_e32 v2, 32, v2
	v_subrev_nc_u32_e32 v16, 28, v2
	s_delay_alu instid0(VALU_DEP_1) | instskip(NEXT) | instid1(VALU_DEP_1)
	v_lshlrev_b64_e32 v[16:17], v16, v[38:39]
	v_dual_sub_nc_u32 v2, 29, v2 :: v_dual_bitop2_b32 v16, 7, v16 bitop3:0x40
; %bb.3740:                             ;   in Loop: Header=BB4_2771 Depth=2
	s_or_b32 exec_lo, exec_lo, s40
	s_delay_alu instid0(VALU_DEP_1) | instskip(NEXT) | instid1(VALU_DEP_2)
	v_dual_lshlrev_b32 v17, 24, v103 :: v_dual_lshlrev_b32 v16, 20, v16
	v_lshl_add_u32 v2, v2, 23, 0x3c000000
	s_delay_alu instid0(VALU_DEP_2) | instskip(NEXT) | instid1(VALU_DEP_1)
	v_and_b32_e32 v17, 0x80000000, v17
	v_or3_b32 v2, v16, v17, v2
.LBB4_3741:                             ;   in Loop: Header=BB4_2771 Depth=2
	s_or_b32 exec_lo, exec_lo, s29
.LBB4_3742:                             ;   in Loop: Header=BB4_2771 Depth=2
	s_delay_alu instid0(SALU_CYCLE_1)
	s_or_b32 exec_lo, exec_lo, s11
.LBB4_3743:                             ;   in Loop: Header=BB4_2771 Depth=2
	s_delay_alu instid0(SALU_CYCLE_1) | instskip(NEXT) | instid1(VALU_DEP_1)
	s_or_b32 exec_lo, exec_lo, s10
	v_add_f32_e32 v16, v3, v2
                                        ; implicit-def: $vgpr2
	s_mov_b32 s10, exec_lo
	s_delay_alu instid0(VALU_DEP_1) | instskip(SKIP_1) | instid1(VALU_DEP_2)
	v_and_b32_e32 v38, 0x7f800000, v16
	v_lshrrev_b32_e32 v3, 24, v16
	v_cmpx_ne_u64_e32 0x7f800000, v[38:39]
	s_xor_b32 s11, exec_lo, s10
	s_cbranch_execz .LBB4_3761
; %bb.3744:                             ;   in Loop: Header=BB4_2771 Depth=2
	v_and_b32_e32 v38, 0x7fffffff, v16
	v_and_b32_e32 v3, 0x80, v3
                                        ; implicit-def: $vgpr2
	s_mov_b32 s10, exec_lo
	s_delay_alu instid0(VALU_DEP_2)
	v_cmpx_gt_u64_e32 0x43e00001, v[38:39]
	s_xor_b32 s29, exec_lo, s10
	s_cbranch_execz .LBB4_3758
; %bb.3745:                             ;   in Loop: Header=BB4_2771 Depth=2
	v_mov_b32_e32 v2, 0
	s_mov_b32 s40, exec_lo
	v_cmpx_ne_u32_e32 0, v16
	s_cbranch_execz .LBB4_3757
; %bb.3746:                             ;   in Loop: Header=BB4_2771 Depth=2
	v_bfe_u32 v2, v16, 23, 8
	v_and_b32_e32 v20, 0x7fffff, v16
	s_delay_alu instid0(VALU_DEP_2) | instskip(NEXT) | instid1(VALU_DEP_2)
	v_cmp_gt_u32_e32 vcc_lo, 0x7a, v2
	v_or_b32_e32 v21, 0x800000, v20
	v_sub_nc_u32_e32 v17, 0x79, v2
	s_delay_alu instid0(VALU_DEP_1) | instskip(SKIP_1) | instid1(VALU_DEP_2)
	v_cndmask_b32_e32 v17, 0, v17, vcc_lo
	v_cmp_eq_u32_e32 vcc_lo, 0, v2
	v_cndmask_b32_e64 v97, v17, 0x78, vcc_lo
	s_delay_alu instid0(VALU_DEP_1) | instskip(SKIP_1) | instid1(VALU_DEP_2)
	v_dual_cndmask_b32 v38, v21, v20, vcc_lo :: v_dual_add_nc_u32 v16, 20, v97
	v_add_nc_u32_e32 v82, 19, v97
	v_lshlrev_b64_e64 v[16:17], v16, -1
	s_delay_alu instid0(VALU_DEP_2) | instskip(NEXT) | instid1(VALU_DEP_2)
	v_lshlrev_b64_e64 v[20:21], v82, 1
	v_bfi_b32 v83, v17, 0, 0
	s_delay_alu instid0(VALU_DEP_3) | instskip(SKIP_1) | instid1(VALU_DEP_2)
	v_bfi_b32 v82, v16, 0, v38
	v_lshrrev_b64 v[16:17], v97, v[38:39]
	v_cmp_eq_u64_e64 s10, v[82:83], v[20:21]
	s_delay_alu instid0(VALU_DEP_2)
	v_mov_b64_e32 v[82:83], v[16:17]
	s_and_saveexec_b32 s41, s10
; %bb.3747:                             ;   in Loop: Header=BB4_2771 Depth=2
	v_bfe_u32 v38, v16, 20, 1
	s_delay_alu instid0(VALU_DEP_1) | instskip(NEXT) | instid1(VALU_DEP_1)
	v_add_nc_u64_e32 v[20:21], v[16:17], v[38:39]
	v_add_nc_u64_e32 v[82:83], -1, v[20:21]
; %bb.3748:                             ;   in Loop: Header=BB4_2771 Depth=2
	s_or_b32 exec_lo, exec_lo, s41
	v_add_nc_u32_e32 v2, 0xffffff81, v2
	v_lshrrev_b32_e32 v17, 23, v16
	s_mov_b32 s10, exec_lo
	s_delay_alu instid0(VALU_DEP_2) | instskip(NEXT) | instid1(VALU_DEP_1)
	v_cndmask_b32_e64 v2, v2, 0xffffff82, vcc_lo
	v_add3_u32 v2, v97, v2, v17
	v_and_b32_e32 v17, 0xfffff, v82
                                        ; implicit-def: $vgpr82
	s_delay_alu instid0(VALU_DEP_1) | instskip(NEXT) | instid1(VALU_DEP_1)
	v_dual_add_nc_u32 v83, 6, v2 :: v_dual_add_nc_u32 v38, v17, v16
                                        ; implicit-def: $vgpr16_vgpr17
	v_cmpx_ne_u32_e32 0, v83
	s_xor_b32 s10, exec_lo, s10
; %bb.3749:                             ;   in Loop: Header=BB4_2771 Depth=2
	s_delay_alu instid0(VALU_DEP_2) | instskip(SKIP_1) | instid1(VALU_DEP_1)
	v_cmp_lt_u64_e32 vcc_lo, 0xffffff, v[38:39]
	v_add_nc_u32_e32 v2, 7, v2
	v_cndmask_b32_e32 v82, v83, v2, vcc_lo
	v_cndmask_b32_e64 v2, 0, 1, vcc_lo
	s_delay_alu instid0(VALU_DEP_1)
	v_lshrrev_b64 v[16:17], v2, v[38:39]
; %bb.3750:                             ;   in Loop: Header=BB4_2771 Depth=2
	s_and_not1_saveexec_b32 s10, s10
; %bb.3751:                             ;   in Loop: Header=BB4_2771 Depth=2
	v_mov_b64_e32 v[16:17], v[38:39]
	v_bfe_u32 v82, v38, 23, 1
; %bb.3752:                             ;   in Loop: Header=BB4_2771 Depth=2
	s_or_b32 exec_lo, exec_lo, s10
	s_delay_alu instid0(VALU_DEP_2) | instskip(NEXT) | instid1(VALU_DEP_2)
	v_lshrrev_b64 v[16:17], 20, v[16:17]
	v_cmp_gt_i32_e32 vcc_lo, 16, v82
	v_cmp_ne_u32_e64 s10, 0, v82
                                        ; implicit-def: $vgpr2
	s_delay_alu instid0(VALU_DEP_3) | instskip(NEXT) | instid1(VALU_DEP_1)
	v_dual_cndmask_b32 v17, 0, v17 :: v_dual_cndmask_b32 v16, 7, v16
	v_cmp_ne_u64_e32 vcc_lo, 0, v[16:17]
	s_or_b32 s10, s10, vcc_lo
	s_delay_alu instid0(SALU_CYCLE_1) | instskip(NEXT) | instid1(SALU_CYCLE_1)
	s_and_saveexec_b32 s41, s10
	s_xor_b32 s10, exec_lo, s41
; %bb.3753:                             ;   in Loop: Header=BB4_2771 Depth=2
	v_min_i32_e32 v2, 15, v82
	s_delay_alu instid0(VALU_DEP_1) | instskip(NEXT) | instid1(VALU_DEP_1)
	v_lshl_or_b32 v2, v2, 3, v3
                                        ; implicit-def: $vgpr3
	v_and_or_b32 v2, v16, 7, v2
; %bb.3754:                             ;   in Loop: Header=BB4_2771 Depth=2
	s_and_not1_saveexec_b32 s10, s10
; %bb.3755:                             ;   in Loop: Header=BB4_2771 Depth=2
	v_mov_b32_e32 v2, v3
; %bb.3756:                             ;   in Loop: Header=BB4_2771 Depth=2
	s_or_b32 exec_lo, exec_lo, s10
.LBB4_3757:                             ;   in Loop: Header=BB4_2771 Depth=2
	s_delay_alu instid0(SALU_CYCLE_1)
	s_or_b32 exec_lo, exec_lo, s40
                                        ; implicit-def: $vgpr3
.LBB4_3758:                             ;   in Loop: Header=BB4_2771 Depth=2
	s_and_not1_saveexec_b32 s10, s29
; %bb.3759:                             ;   in Loop: Header=BB4_2771 Depth=2
	v_or_b32_e32 v2, 0x7e, v3
; %bb.3760:                             ;   in Loop: Header=BB4_2771 Depth=2
	s_or_b32 exec_lo, exec_lo, s10
                                        ; implicit-def: $vgpr3
.LBB4_3761:                             ;   in Loop: Header=BB4_2771 Depth=2
	s_and_not1_saveexec_b32 s10, s11
; %bb.3762:                             ;   in Loop: Header=BB4_2771 Depth=2
	v_or_b32_e32 v2, 0x7f, v3
; %bb.3763:                             ;   in Loop: Header=BB4_2771 Depth=2
	s_or_b32 exec_lo, exec_lo, s10
	v_and_b32_e32 v16, 0xff, v84
	v_dual_mov_b32 v3, 0 :: v_dual_mov_b32 v82, 0
	s_mov_b32 s10, exec_lo
	s_delay_alu instid0(VALU_DEP_2)
	v_cmpx_ne_u16_e32 0, v16
	s_cbranch_execz .LBB4_3771
; %bb.3764:                             ;   in Loop: Header=BB4_2771 Depth=2
	v_bfrev_b32_e32 v82, 1
	s_mov_b32 s11, exec_lo
	v_cmpx_ne_u16_e32 0x80, v16
	s_cbranch_execz .LBB4_3770
; %bb.3765:                             ;   in Loop: Header=BB4_2771 Depth=2
	v_and_b32_e32 v17, 0x7f, v84
	v_mov_b32_e32 v82, 0x7f800001
	s_mov_b32 s29, exec_lo
	s_delay_alu instid0(VALU_DEP_2)
	v_cmpx_ne_u32_e32 0x7f, v17
	s_cbranch_execz .LBB4_3769
; %bb.3766:                             ;   in Loop: Header=BB4_2771 Depth=2
	v_dual_lshrrev_b32 v82, 3, v17 :: v_dual_bitop2_b32 v38, 7, v16 bitop3:0x40
	v_cmp_gt_u32_e32 vcc_lo, 8, v17
	s_delay_alu instid0(VALU_DEP_2)
	v_mov_b64_e32 v[16:17], v[38:39]
	s_and_saveexec_b32 s40, vcc_lo
; %bb.3767:                             ;   in Loop: Header=BB4_2771 Depth=2
	v_clz_i32_u32_e32 v16, v38
	s_delay_alu instid0(VALU_DEP_1) | instskip(NEXT) | instid1(VALU_DEP_1)
	v_min_u32_e32 v20, 32, v16
	v_subrev_nc_u32_e32 v16, 28, v20
	v_sub_nc_u32_e32 v82, 29, v20
	s_delay_alu instid0(VALU_DEP_2) | instskip(NEXT) | instid1(VALU_DEP_1)
	v_lshlrev_b64_e32 v[16:17], v16, v[38:39]
	v_and_b32_e32 v16, 7, v16
; %bb.3768:                             ;   in Loop: Header=BB4_2771 Depth=2
	s_or_b32 exec_lo, exec_lo, s40
	v_lshlrev_b32_e32 v17, 24, v84
	s_delay_alu instid0(VALU_DEP_2) | instskip(SKIP_1) | instid1(VALU_DEP_3)
	v_lshlrev_b32_e32 v16, 20, v16
	v_lshl_add_u32 v20, v82, 23, 0x3c000000
	v_and_b32_e32 v17, 0x80000000, v17
	s_delay_alu instid0(VALU_DEP_1)
	v_or3_b32 v82, v16, v17, v20
.LBB4_3769:                             ;   in Loop: Header=BB4_2771 Depth=2
	s_or_b32 exec_lo, exec_lo, s29
.LBB4_3770:                             ;   in Loop: Header=BB4_2771 Depth=2
	s_delay_alu instid0(SALU_CYCLE_1)
	s_or_b32 exec_lo, exec_lo, s11
.LBB4_3771:                             ;   in Loop: Header=BB4_2771 Depth=2
	s_delay_alu instid0(SALU_CYCLE_1) | instskip(SKIP_3) | instid1(VALU_DEP_1)
	s_or_b32 exec_lo, exec_lo, s10
	s_wait_loadcnt_dscnt 0x0
	v_and_b32_e32 v16, 0xff, v85
	s_mov_b32 s10, exec_lo
	v_cmpx_ne_u16_e32 0, v16
	s_cbranch_execz .LBB4_3779
; %bb.3772:                             ;   in Loop: Header=BB4_2771 Depth=2
	v_bfrev_b32_e32 v3, 1
	s_mov_b32 s11, exec_lo
	v_cmpx_ne_u16_e32 0x80, v16
	s_cbranch_execz .LBB4_3778
; %bb.3773:                             ;   in Loop: Header=BB4_2771 Depth=2
	v_and_b32_e32 v17, 0x7f, v85
	v_mov_b32_e32 v3, 0x7f800001
	s_mov_b32 s29, exec_lo
	s_delay_alu instid0(VALU_DEP_2)
	v_cmpx_ne_u32_e32 0x7f, v17
	s_cbranch_execz .LBB4_3777
; %bb.3774:                             ;   in Loop: Header=BB4_2771 Depth=2
	v_dual_lshrrev_b32 v3, 3, v17 :: v_dual_bitop2_b32 v38, 7, v16 bitop3:0x40
	v_cmp_gt_u32_e32 vcc_lo, 8, v17
	s_delay_alu instid0(VALU_DEP_2)
	v_mov_b64_e32 v[16:17], v[38:39]
	s_and_saveexec_b32 s40, vcc_lo
; %bb.3775:                             ;   in Loop: Header=BB4_2771 Depth=2
	v_clz_i32_u32_e32 v3, v38
	s_delay_alu instid0(VALU_DEP_1) | instskip(NEXT) | instid1(VALU_DEP_1)
	v_min_u32_e32 v3, 32, v3
	v_subrev_nc_u32_e32 v16, 28, v3
	s_delay_alu instid0(VALU_DEP_1) | instskip(NEXT) | instid1(VALU_DEP_1)
	v_lshlrev_b64_e32 v[16:17], v16, v[38:39]
	v_dual_sub_nc_u32 v3, 29, v3 :: v_dual_bitop2_b32 v16, 7, v16 bitop3:0x40
; %bb.3776:                             ;   in Loop: Header=BB4_2771 Depth=2
	s_or_b32 exec_lo, exec_lo, s40
	s_delay_alu instid0(VALU_DEP_1) | instskip(NEXT) | instid1(VALU_DEP_2)
	v_dual_lshlrev_b32 v17, 24, v85 :: v_dual_lshlrev_b32 v16, 20, v16
	v_lshl_add_u32 v3, v3, 23, 0x3c000000
	s_delay_alu instid0(VALU_DEP_2) | instskip(NEXT) | instid1(VALU_DEP_1)
	v_and_b32_e32 v17, 0x80000000, v17
	v_or3_b32 v3, v16, v17, v3
.LBB4_3777:                             ;   in Loop: Header=BB4_2771 Depth=2
	s_or_b32 exec_lo, exec_lo, s29
.LBB4_3778:                             ;   in Loop: Header=BB4_2771 Depth=2
	s_delay_alu instid0(SALU_CYCLE_1)
	s_or_b32 exec_lo, exec_lo, s11
.LBB4_3779:                             ;   in Loop: Header=BB4_2771 Depth=2
	s_delay_alu instid0(SALU_CYCLE_1) | instskip(NEXT) | instid1(VALU_DEP_1)
	s_or_b32 exec_lo, exec_lo, s10
	v_add_f32_e32 v16, v82, v3
                                        ; implicit-def: $vgpr17
	s_mov_b32 s10, exec_lo
	s_delay_alu instid0(VALU_DEP_1) | instskip(SKIP_1) | instid1(VALU_DEP_2)
	v_and_b32_e32 v38, 0x7f800000, v16
	v_lshrrev_b32_e32 v3, 24, v16
	v_cmpx_ne_u64_e32 0x7f800000, v[38:39]
	s_xor_b32 s11, exec_lo, s10
	s_cbranch_execz .LBB4_3797
; %bb.3780:                             ;   in Loop: Header=BB4_2771 Depth=2
	v_and_b32_e32 v38, 0x7fffffff, v16
	v_and_b32_e32 v3, 0x80, v3
                                        ; implicit-def: $vgpr17
	s_mov_b32 s10, exec_lo
	s_delay_alu instid0(VALU_DEP_2)
	v_cmpx_gt_u64_e32 0x43e00001, v[38:39]
	s_xor_b32 s29, exec_lo, s10
	s_cbranch_execz .LBB4_3794
; %bb.3781:                             ;   in Loop: Header=BB4_2771 Depth=2
	v_mov_b32_e32 v17, 0
	s_mov_b32 s40, exec_lo
	v_cmpx_ne_u32_e32 0, v16
	s_cbranch_execz .LBB4_3793
; %bb.3782:                             ;   in Loop: Header=BB4_2771 Depth=2
	v_bfe_u32 v84, v16, 23, 8
	v_and_b32_e32 v20, 0x7fffff, v16
	s_delay_alu instid0(VALU_DEP_2) | instskip(SKIP_1) | instid1(VALU_DEP_3)
	v_sub_nc_u32_e32 v17, 0x79, v84
	v_cmp_gt_u32_e32 vcc_lo, 0x7a, v84
	v_or_b32_e32 v21, 0x800000, v20
	s_delay_alu instid0(VALU_DEP_3) | instskip(SKIP_1) | instid1(VALU_DEP_3)
	v_cndmask_b32_e32 v17, 0, v17, vcc_lo
	v_cmp_eq_u32_e32 vcc_lo, 0, v84
	v_cndmask_b32_e32 v38, v21, v20, vcc_lo
	s_delay_alu instid0(VALU_DEP_3) | instskip(NEXT) | instid1(VALU_DEP_1)
	v_cndmask_b32_e64 v85, v17, 0x78, vcc_lo
	v_dual_add_nc_u32 v16, 20, v85 :: v_dual_add_nc_u32 v82, 19, v85
	s_delay_alu instid0(VALU_DEP_1) | instskip(NEXT) | instid1(VALU_DEP_2)
	v_lshlrev_b64_e64 v[16:17], v16, -1
	v_lshlrev_b64_e64 v[20:21], v82, 1
	s_delay_alu instid0(VALU_DEP_2) | instskip(NEXT) | instid1(VALU_DEP_3)
	v_bfi_b32 v83, v17, 0, 0
	v_bfi_b32 v82, v16, 0, v38
	v_lshrrev_b64 v[16:17], v85, v[38:39]
	s_delay_alu instid0(VALU_DEP_2) | instskip(NEXT) | instid1(VALU_DEP_2)
	v_cmp_eq_u64_e64 s10, v[82:83], v[20:21]
	v_mov_b64_e32 v[82:83], v[16:17]
	s_and_saveexec_b32 s41, s10
; %bb.3783:                             ;   in Loop: Header=BB4_2771 Depth=2
	v_bfe_u32 v38, v16, 20, 1
	s_delay_alu instid0(VALU_DEP_1) | instskip(NEXT) | instid1(VALU_DEP_1)
	v_add_nc_u64_e32 v[20:21], v[16:17], v[38:39]
	v_add_nc_u64_e32 v[82:83], -1, v[20:21]
; %bb.3784:                             ;   in Loop: Header=BB4_2771 Depth=2
	s_or_b32 exec_lo, exec_lo, s41
	v_add_nc_u32_e32 v17, 0xffffff81, v84
	v_lshrrev_b32_e32 v20, 23, v16
	s_mov_b32 s10, exec_lo
	s_delay_alu instid0(VALU_DEP_2) | instskip(NEXT) | instid1(VALU_DEP_1)
	v_cndmask_b32_e64 v17, v17, 0xffffff82, vcc_lo
	v_add3_u32 v83, v85, v17, v20
	v_and_b32_e32 v17, 0xfffff, v82
                                        ; implicit-def: $vgpr82
	s_delay_alu instid0(VALU_DEP_1) | instskip(NEXT) | instid1(VALU_DEP_1)
	v_dual_add_nc_u32 v84, 6, v83 :: v_dual_add_nc_u32 v38, v17, v16
                                        ; implicit-def: $vgpr16_vgpr17
	v_cmpx_ne_u32_e32 0, v84
	s_xor_b32 s10, exec_lo, s10
; %bb.3785:                             ;   in Loop: Header=BB4_2771 Depth=2
	s_delay_alu instid0(VALU_DEP_2) | instskip(SKIP_1) | instid1(VALU_DEP_1)
	v_cmp_lt_u64_e32 vcc_lo, 0xffffff, v[38:39]
	v_add_nc_u32_e32 v16, 7, v83
	v_cndmask_b32_e32 v82, v84, v16, vcc_lo
	v_cndmask_b32_e64 v16, 0, 1, vcc_lo
	s_delay_alu instid0(VALU_DEP_1)
	v_lshrrev_b64 v[16:17], v16, v[38:39]
; %bb.3786:                             ;   in Loop: Header=BB4_2771 Depth=2
	s_and_not1_saveexec_b32 s10, s10
; %bb.3787:                             ;   in Loop: Header=BB4_2771 Depth=2
	v_mov_b64_e32 v[16:17], v[38:39]
	v_bfe_u32 v82, v38, 23, 1
; %bb.3788:                             ;   in Loop: Header=BB4_2771 Depth=2
	s_or_b32 exec_lo, exec_lo, s10
	s_delay_alu instid0(VALU_DEP_2) | instskip(NEXT) | instid1(VALU_DEP_2)
	v_lshrrev_b64 v[16:17], 20, v[16:17]
	v_cmp_gt_i32_e32 vcc_lo, 16, v82
	v_cmp_ne_u32_e64 s10, 0, v82
	s_delay_alu instid0(VALU_DEP_3) | instskip(NEXT) | instid1(VALU_DEP_1)
	v_dual_cndmask_b32 v17, 0, v17 :: v_dual_cndmask_b32 v16, 7, v16
	v_cmp_ne_u64_e32 vcc_lo, 0, v[16:17]
                                        ; implicit-def: $vgpr17
	s_or_b32 s10, s10, vcc_lo
	s_delay_alu instid0(SALU_CYCLE_1) | instskip(NEXT) | instid1(SALU_CYCLE_1)
	s_and_saveexec_b32 s41, s10
	s_xor_b32 s10, exec_lo, s41
; %bb.3789:                             ;   in Loop: Header=BB4_2771 Depth=2
	v_min_i32_e32 v17, 15, v82
	s_delay_alu instid0(VALU_DEP_1) | instskip(NEXT) | instid1(VALU_DEP_1)
	v_lshl_or_b32 v3, v17, 3, v3
	v_and_or_b32 v17, v16, 7, v3
                                        ; implicit-def: $vgpr3
; %bb.3790:                             ;   in Loop: Header=BB4_2771 Depth=2
	s_and_not1_saveexec_b32 s10, s10
; %bb.3791:                             ;   in Loop: Header=BB4_2771 Depth=2
	v_mov_b32_e32 v17, v3
; %bb.3792:                             ;   in Loop: Header=BB4_2771 Depth=2
	s_or_b32 exec_lo, exec_lo, s10
.LBB4_3793:                             ;   in Loop: Header=BB4_2771 Depth=2
	s_delay_alu instid0(SALU_CYCLE_1)
	s_or_b32 exec_lo, exec_lo, s40
                                        ; implicit-def: $vgpr3
.LBB4_3794:                             ;   in Loop: Header=BB4_2771 Depth=2
	s_and_not1_saveexec_b32 s10, s29
; %bb.3795:                             ;   in Loop: Header=BB4_2771 Depth=2
	v_or_b32_e32 v17, 0x7e, v3
; %bb.3796:                             ;   in Loop: Header=BB4_2771 Depth=2
	s_or_b32 exec_lo, exec_lo, s10
                                        ; implicit-def: $vgpr3
.LBB4_3797:                             ;   in Loop: Header=BB4_2771 Depth=2
	s_and_not1_saveexec_b32 s10, s11
	s_cbranch_execz .LBB4_2770
; %bb.3798:                             ;   in Loop: Header=BB4_2771 Depth=2
	v_or_b32_e32 v17, 0x7f, v3
	s_branch .LBB4_2770
.LBB4_3799:                             ;   in Loop: Header=BB4_49 Depth=1
	s_or_b32 exec_lo, exec_lo, s28
.LBB4_3800:                             ;   in Loop: Header=BB4_49 Depth=1
	s_delay_alu instid0(SALU_CYCLE_1) | instskip(SKIP_1) | instid1(VALU_DEP_1)
	s_or_b32 exec_lo, exec_lo, s27
	v_and_b32_e32 v3, 0xfffffe00, v86
	v_cmp_ne_u32_e32 vcc_lo, v86, v3
	s_and_b32 exec_lo, exec_lo, vcc_lo
	s_cbranch_execz .LBB4_3872
; %bb.3801:                             ;   in Loop: Header=BB4_49 Depth=1
	v_dual_lshlrev_b32 v2, 5, v30 :: v_dual_lshlrev_b32 v10, 5, v96
	s_delay_alu instid0(VALU_DEP_1) | instskip(NEXT) | instid1(VALU_DEP_1)
	v_sub_nc_u32_e32 v2, v87, v2
	v_sub_nc_u32_e32 v10, v2, v10
	v_and_b32_e32 v2, 0x1ff, v86
	s_delay_alu instid0(VALU_DEP_1) | instskip(NEXT) | instid1(VALU_DEP_1)
	v_sub_nc_u32_e32 v2, v2, v10
	v_cmp_lt_i32_e32 vcc_lo, 0, v2
	s_and_b32 exec_lo, exec_lo, vcc_lo
	s_cbranch_execz .LBB4_3872
; %bb.3802:                             ;   in Loop: Header=BB4_49 Depth=1
	s_trap 2
	ds_load_b128 v[12:15], v0
	ds_load_b64 v[16:17], v0
	v_add3_u32 v20, v3, v81, v10
	s_mov_b32 s27, 0
	s_delay_alu instid0(VALU_DEP_1) | instskip(SKIP_1) | instid1(VALU_DEP_1)
	v_ashrrev_i32_e32 v21, 31, v20
	s_wait_dscnt 0x1
	v_add_nc_u64_e32 v[10:11], v[12:13], v[20:21]
	v_add_nc_u64_e32 v[12:13], v[14:15], v[20:21]
	s_wait_dscnt 0x0
	v_add_nc_u64_e32 v[14:15], v[16:17], v[20:21]
	s_branch .LBB4_3804
.LBB4_3803:                             ;   in Loop: Header=BB4_3804 Depth=2
	s_or_b32 exec_lo, exec_lo, s10
	v_sub_nc_u32_e32 v2, v2, v64
	flat_store_b8 v[14:15], v17 th:TH_STORE_NT
	v_add_nc_u64_e32 v[10:11], v[10:11], v[64:65]
	v_add_nc_u64_e32 v[12:13], v[12:13], v[64:65]
	s_wait_xcnt 0x0
	v_add_nc_u64_e32 v[14:15], v[14:15], v[64:65]
	v_cmp_gt_i32_e32 vcc_lo, 1, v2
	s_or_b32 s27, vcc_lo, s27
	s_delay_alu instid0(SALU_CYCLE_1)
	s_and_not1_b32 exec_lo, exec_lo, s27
	s_cbranch_execz .LBB4_3872
.LBB4_3804:                             ;   Parent Loop BB4_49 Depth=1
                                        ; =>  This Inner Loop Header: Depth=2
	s_trap 2
	ds_load_b64 v[16:17], v0
	s_mov_b32 s28, 0
	s_wait_dscnt 0x0
	v_and_b32_e32 v3, 0xff, v16
	v_readfirstlane_b32 s10, v16
	v_readfirstlane_b32 s11, v17
	s_delay_alu instid0(VALU_DEP_3)
	v_cmp_eq_u32_e32 vcc_lo, 0, v3
	s_cbranch_vccnz .LBB4_3808
; %bb.3805:                             ;   in Loop: Header=BB4_3804 Depth=2
	v_cmp_eq_u32_e32 vcc_lo, 0x80, v3
	s_brev_b32 s28, 1
	s_cbranch_vccnz .LBB4_3808
; %bb.3806:                             ;   in Loop: Header=BB4_3804 Depth=2
	s_and_b32 s29, s10, 0x7f
	s_mov_b32 s28, 0x7f800001
	s_cmp_eq_u32 s29, 0x7f
	s_cbranch_scc1 .LBB4_3808
; %bb.3807:                             ;   in Loop: Header=BB4_3804 Depth=2
	s_and_b32 s28, s10, 7
	s_lshr_b32 s40, s29, 3
	s_clz_i32_u32 s28, s28
	s_delay_alu instid0(SALU_CYCLE_1) | instskip(NEXT) | instid1(SALU_CYCLE_1)
	s_min_u32 s28, s28, 32
	s_sub_co_i32 s41, s28, 28
	s_sub_co_i32 s28, 29, s28
	s_cmp_lt_u32 s29, 8
	s_cselect_b32 s29, s41, 0
	s_cselect_b32 s40, s28, s40
	s_lshl_b64 s[28:29], s[10:11], s29
	s_lshl_b32 s10, s10, 24
	s_lshl_b32 s11, s28, 20
	;; [unrolled: 1-line block ×3, first 2 shown]
	s_and_b32 s11, s11, 0x700000
	s_and_b32 s10, s10, 0x80000000
	s_add_co_i32 s28, s28, 0x3c000000
	s_or_b32 s10, s11, s10
	s_delay_alu instid0(SALU_CYCLE_1)
	s_or_b32 s28, s28, s10
.LBB4_3808:                             ;   in Loop: Header=BB4_3804 Depth=2
	flat_load_u8 v3, v[10:11] th:TH_LOAD_NT
	v_mov_b32_e32 v16, 0
	s_mov_b32 s10, exec_lo
	s_wait_loadcnt_dscnt 0x0
	v_cmpx_ne_u16_e32 0, v3
	s_cbranch_execz .LBB4_3816
; %bb.3809:                             ;   in Loop: Header=BB4_3804 Depth=2
	v_bfrev_b32_e32 v16, 1
	s_mov_b32 s11, exec_lo
	v_cmpx_ne_u16_e32 0x80, v3
	s_cbranch_execz .LBB4_3815
; %bb.3810:                             ;   in Loop: Header=BB4_3804 Depth=2
	v_and_b32_e32 v30, 0xffff, v3
	v_mov_b32_e32 v16, 0x7f800001
	s_mov_b32 s29, exec_lo
	s_delay_alu instid0(VALU_DEP_2) | instskip(NEXT) | instid1(VALU_DEP_1)
	v_and_b32_e32 v17, 0x7f, v30
	v_cmpx_ne_u32_e32 0x7f, v17
	s_cbranch_execz .LBB4_3814
; %bb.3811:                             ;   in Loop: Header=BB4_3804 Depth=2
	v_dual_lshrrev_b32 v30, 3, v17 :: v_dual_bitop2_b32 v38, 7, v30 bitop3:0x40
	v_cmp_gt_u32_e32 vcc_lo, 8, v17
	s_delay_alu instid0(VALU_DEP_2)
	v_mov_b64_e32 v[16:17], v[38:39]
	s_and_saveexec_b32 s40, vcc_lo
; %bb.3812:                             ;   in Loop: Header=BB4_3804 Depth=2
	v_clz_i32_u32_e32 v16, v38
	s_delay_alu instid0(VALU_DEP_1) | instskip(NEXT) | instid1(VALU_DEP_1)
	v_min_u32_e32 v20, 32, v16
	v_subrev_nc_u32_e32 v16, 28, v20
	v_sub_nc_u32_e32 v30, 29, v20
	s_delay_alu instid0(VALU_DEP_2) | instskip(NEXT) | instid1(VALU_DEP_1)
	v_lshlrev_b64_e32 v[16:17], v16, v[38:39]
	v_and_b32_e32 v16, 7, v16
; %bb.3813:                             ;   in Loop: Header=BB4_3804 Depth=2
	s_or_b32 exec_lo, exec_lo, s40
	s_delay_alu instid0(VALU_DEP_1) | instskip(SKIP_1) | instid1(VALU_DEP_2)
	v_dual_lshlrev_b32 v3, 24, v3 :: v_dual_lshlrev_b32 v16, 20, v16
	v_lshl_add_u32 v17, v30, 23, 0x3c000000
	v_and_b32_e32 v3, 0x80000000, v3
	s_delay_alu instid0(VALU_DEP_1)
	v_or3_b32 v16, v16, v3, v17
.LBB4_3814:                             ;   in Loop: Header=BB4_3804 Depth=2
	s_or_b32 exec_lo, exec_lo, s29
.LBB4_3815:                             ;   in Loop: Header=BB4_3804 Depth=2
	s_delay_alu instid0(SALU_CYCLE_1)
	s_or_b32 exec_lo, exec_lo, s11
.LBB4_3816:                             ;   in Loop: Header=BB4_3804 Depth=2
	s_delay_alu instid0(SALU_CYCLE_1) | instskip(NEXT) | instid1(VALU_DEP_1)
	s_or_b32 exec_lo, exec_lo, s10
	v_mul_f32_e32 v16, s28, v16
                                        ; implicit-def: $vgpr30
	s_mov_b32 s10, exec_lo
	s_delay_alu instid0(VALU_DEP_1) | instskip(SKIP_1) | instid1(VALU_DEP_2)
	v_and_b32_e32 v38, 0x7f800000, v16
	v_lshrrev_b32_e32 v3, 24, v16
	v_cmpx_ne_u64_e32 0x7f800000, v[38:39]
	s_xor_b32 s11, exec_lo, s10
	s_cbranch_execz .LBB4_3834
; %bb.3817:                             ;   in Loop: Header=BB4_3804 Depth=2
	v_and_b32_e32 v38, 0x7fffffff, v16
	v_and_b32_e32 v3, 0x80, v3
                                        ; implicit-def: $vgpr30
	s_mov_b32 s10, exec_lo
	s_delay_alu instid0(VALU_DEP_2)
	v_cmpx_gt_u64_e32 0x43e00001, v[38:39]
	s_xor_b32 s28, exec_lo, s10
	s_cbranch_execz .LBB4_3831
; %bb.3818:                             ;   in Loop: Header=BB4_3804 Depth=2
	v_mov_b32_e32 v30, 0
	s_mov_b32 s29, exec_lo
	v_cmpx_ne_u32_e32 0, v16
	s_cbranch_execz .LBB4_3830
; %bb.3819:                             ;   in Loop: Header=BB4_3804 Depth=2
	v_bfe_u32 v30, v16, 23, 8
	v_and_b32_e32 v20, 0x7fffff, v16
	s_delay_alu instid0(VALU_DEP_2) | instskip(NEXT) | instid1(VALU_DEP_2)
	v_cmp_gt_u32_e32 vcc_lo, 0x7a, v30
	v_or_b32_e32 v21, 0x800000, v20
	v_sub_nc_u32_e32 v17, 0x79, v30
	s_delay_alu instid0(VALU_DEP_1) | instskip(SKIP_1) | instid1(VALU_DEP_2)
	v_cndmask_b32_e32 v17, 0, v17, vcc_lo
	v_cmp_eq_u32_e32 vcc_lo, 0, v30
	v_cndmask_b32_e64 v81, v17, 0x78, vcc_lo
	s_delay_alu instid0(VALU_DEP_1) | instskip(SKIP_1) | instid1(VALU_DEP_2)
	v_dual_cndmask_b32 v38, v21, v20, vcc_lo :: v_dual_add_nc_u32 v16, 20, v81
	v_add_nc_u32_e32 v82, 19, v81
	v_lshlrev_b64_e64 v[16:17], v16, -1
	s_delay_alu instid0(VALU_DEP_2) | instskip(NEXT) | instid1(VALU_DEP_2)
	v_lshlrev_b64_e64 v[20:21], v82, 1
	v_bfi_b32 v83, v17, 0, 0
	s_delay_alu instid0(VALU_DEP_3) | instskip(SKIP_1) | instid1(VALU_DEP_2)
	v_bfi_b32 v82, v16, 0, v38
	v_lshrrev_b64 v[16:17], v81, v[38:39]
	v_cmp_eq_u64_e64 s10, v[82:83], v[20:21]
	s_delay_alu instid0(VALU_DEP_2)
	v_mov_b64_e32 v[82:83], v[16:17]
	s_and_saveexec_b32 s40, s10
; %bb.3820:                             ;   in Loop: Header=BB4_3804 Depth=2
	v_bfe_u32 v38, v16, 20, 1
	s_delay_alu instid0(VALU_DEP_1) | instskip(NEXT) | instid1(VALU_DEP_1)
	v_add_nc_u64_e32 v[20:21], v[16:17], v[38:39]
	v_add_nc_u64_e32 v[82:83], -1, v[20:21]
; %bb.3821:                             ;   in Loop: Header=BB4_3804 Depth=2
	s_or_b32 exec_lo, exec_lo, s40
	v_add_nc_u32_e32 v17, 0xffffff81, v30
	v_lshrrev_b32_e32 v20, 23, v16
	s_mov_b32 s10, exec_lo
	s_delay_alu instid0(VALU_DEP_2) | instskip(NEXT) | instid1(VALU_DEP_1)
	v_cndmask_b32_e64 v17, v17, 0xffffff82, vcc_lo
	v_add3_u32 v30, v81, v17, v20
	v_and_b32_e32 v17, 0xfffff, v82
                                        ; implicit-def: $vgpr81
	s_delay_alu instid0(VALU_DEP_1) | instskip(NEXT) | instid1(VALU_DEP_1)
	v_dual_add_nc_u32 v82, 6, v30 :: v_dual_add_nc_u32 v38, v17, v16
                                        ; implicit-def: $vgpr16_vgpr17
	v_cmpx_ne_u32_e32 0, v82
	s_xor_b32 s10, exec_lo, s10
; %bb.3822:                             ;   in Loop: Header=BB4_3804 Depth=2
	s_delay_alu instid0(VALU_DEP_2) | instskip(SKIP_1) | instid1(VALU_DEP_1)
	v_cmp_lt_u64_e32 vcc_lo, 0xffffff, v[38:39]
	v_add_nc_u32_e32 v16, 7, v30
	v_cndmask_b32_e32 v81, v82, v16, vcc_lo
	v_cndmask_b32_e64 v16, 0, 1, vcc_lo
	s_delay_alu instid0(VALU_DEP_1)
	v_lshrrev_b64 v[16:17], v16, v[38:39]
; %bb.3823:                             ;   in Loop: Header=BB4_3804 Depth=2
	s_and_not1_saveexec_b32 s10, s10
; %bb.3824:                             ;   in Loop: Header=BB4_3804 Depth=2
	v_mov_b64_e32 v[16:17], v[38:39]
	v_bfe_u32 v81, v38, 23, 1
; %bb.3825:                             ;   in Loop: Header=BB4_3804 Depth=2
	s_or_b32 exec_lo, exec_lo, s10
	s_delay_alu instid0(VALU_DEP_2) | instskip(NEXT) | instid1(VALU_DEP_2)
	v_lshrrev_b64 v[16:17], 20, v[16:17]
	v_cmp_gt_i32_e32 vcc_lo, 16, v81
	v_cmp_ne_u32_e64 s10, 0, v81
                                        ; implicit-def: $vgpr30
	s_delay_alu instid0(VALU_DEP_3) | instskip(NEXT) | instid1(VALU_DEP_1)
	v_dual_cndmask_b32 v17, 0, v17 :: v_dual_cndmask_b32 v16, 7, v16
	v_cmp_ne_u64_e32 vcc_lo, 0, v[16:17]
	s_or_b32 s10, s10, vcc_lo
	s_delay_alu instid0(SALU_CYCLE_1) | instskip(NEXT) | instid1(SALU_CYCLE_1)
	s_and_saveexec_b32 s40, s10
	s_xor_b32 s10, exec_lo, s40
; %bb.3826:                             ;   in Loop: Header=BB4_3804 Depth=2
	v_min_i32_e32 v17, 15, v81
	s_delay_alu instid0(VALU_DEP_1) | instskip(NEXT) | instid1(VALU_DEP_1)
	v_lshl_or_b32 v3, v17, 3, v3
	v_and_or_b32 v30, v16, 7, v3
                                        ; implicit-def: $vgpr3
; %bb.3827:                             ;   in Loop: Header=BB4_3804 Depth=2
	s_and_not1_saveexec_b32 s10, s10
; %bb.3828:                             ;   in Loop: Header=BB4_3804 Depth=2
	v_mov_b32_e32 v30, v3
; %bb.3829:                             ;   in Loop: Header=BB4_3804 Depth=2
	s_or_b32 exec_lo, exec_lo, s10
.LBB4_3830:                             ;   in Loop: Header=BB4_3804 Depth=2
	s_delay_alu instid0(SALU_CYCLE_1)
	s_or_b32 exec_lo, exec_lo, s29
                                        ; implicit-def: $vgpr3
.LBB4_3831:                             ;   in Loop: Header=BB4_3804 Depth=2
	s_and_not1_saveexec_b32 s10, s28
; %bb.3832:                             ;   in Loop: Header=BB4_3804 Depth=2
	v_or_b32_e32 v30, 0x7e, v3
; %bb.3833:                             ;   in Loop: Header=BB4_3804 Depth=2
	s_or_b32 exec_lo, exec_lo, s10
                                        ; implicit-def: $vgpr3
.LBB4_3834:                             ;   in Loop: Header=BB4_3804 Depth=2
	s_and_not1_saveexec_b32 s10, s11
; %bb.3835:                             ;   in Loop: Header=BB4_3804 Depth=2
	v_or_b32_e32 v30, 0x7f, v3
; %bb.3836:                             ;   in Loop: Header=BB4_3804 Depth=2
	s_or_b32 exec_lo, exec_lo, s10
	flat_load_u8 v3, v[12:13] th:TH_LOAD_NT
	v_and_b32_e32 v16, 0xff, v30
	v_dual_mov_b32 v81, 0 :: v_dual_mov_b32 v82, 0
	s_mov_b32 s10, exec_lo
	s_wait_xcnt 0x0
	s_delay_alu instid0(VALU_DEP_2)
	v_cmpx_ne_u16_e32 0, v16
	s_cbranch_execz .LBB4_3844
; %bb.3837:                             ;   in Loop: Header=BB4_3804 Depth=2
	v_bfrev_b32_e32 v82, 1
	s_mov_b32 s11, exec_lo
	v_cmpx_ne_u16_e32 0x80, v16
	s_cbranch_execz .LBB4_3843
; %bb.3838:                             ;   in Loop: Header=BB4_3804 Depth=2
	v_and_b32_e32 v17, 0x7f, v30
	v_mov_b32_e32 v82, 0x7f800001
	s_mov_b32 s28, exec_lo
	s_delay_alu instid0(VALU_DEP_2)
	v_cmpx_ne_u32_e32 0x7f, v17
	s_cbranch_execz .LBB4_3842
; %bb.3839:                             ;   in Loop: Header=BB4_3804 Depth=2
	v_dual_lshrrev_b32 v82, 3, v17 :: v_dual_bitop2_b32 v38, 7, v16 bitop3:0x40
	v_cmp_gt_u32_e32 vcc_lo, 8, v17
	s_delay_alu instid0(VALU_DEP_2)
	v_mov_b64_e32 v[16:17], v[38:39]
	s_and_saveexec_b32 s29, vcc_lo
; %bb.3840:                             ;   in Loop: Header=BB4_3804 Depth=2
	v_clz_i32_u32_e32 v16, v38
	s_delay_alu instid0(VALU_DEP_1) | instskip(NEXT) | instid1(VALU_DEP_1)
	v_min_u32_e32 v20, 32, v16
	v_subrev_nc_u32_e32 v16, 28, v20
	v_sub_nc_u32_e32 v82, 29, v20
	s_delay_alu instid0(VALU_DEP_2) | instskip(NEXT) | instid1(VALU_DEP_1)
	v_lshlrev_b64_e32 v[16:17], v16, v[38:39]
	v_and_b32_e32 v16, 7, v16
; %bb.3841:                             ;   in Loop: Header=BB4_3804 Depth=2
	s_or_b32 exec_lo, exec_lo, s29
	s_delay_alu instid0(VALU_DEP_1) | instskip(SKIP_1) | instid1(VALU_DEP_2)
	v_dual_lshlrev_b32 v17, 24, v30 :: v_dual_lshlrev_b32 v16, 20, v16
	v_lshl_add_u32 v20, v82, 23, 0x3c000000
	v_and_b32_e32 v17, 0x80000000, v17
	s_delay_alu instid0(VALU_DEP_1)
	v_or3_b32 v82, v16, v17, v20
.LBB4_3842:                             ;   in Loop: Header=BB4_3804 Depth=2
	s_or_b32 exec_lo, exec_lo, s28
.LBB4_3843:                             ;   in Loop: Header=BB4_3804 Depth=2
	s_delay_alu instid0(SALU_CYCLE_1)
	s_or_b32 exec_lo, exec_lo, s11
.LBB4_3844:                             ;   in Loop: Header=BB4_3804 Depth=2
	s_delay_alu instid0(SALU_CYCLE_1) | instskip(SKIP_3) | instid1(VALU_DEP_1)
	s_or_b32 exec_lo, exec_lo, s10
	s_wait_loadcnt_dscnt 0x0
	v_and_b32_e32 v16, 0xff, v3
	s_mov_b32 s10, exec_lo
	v_cmpx_ne_u16_e32 0, v16
	s_cbranch_execz .LBB4_3852
; %bb.3845:                             ;   in Loop: Header=BB4_3804 Depth=2
	v_bfrev_b32_e32 v81, 1
	s_mov_b32 s11, exec_lo
	v_cmpx_ne_u16_e32 0x80, v16
	s_cbranch_execz .LBB4_3851
; %bb.3846:                             ;   in Loop: Header=BB4_3804 Depth=2
	v_and_b32_e32 v17, 0x7f, v3
	v_mov_b32_e32 v81, 0x7f800001
	s_mov_b32 s28, exec_lo
	s_delay_alu instid0(VALU_DEP_2)
	v_cmpx_ne_u32_e32 0x7f, v17
	s_cbranch_execz .LBB4_3850
; %bb.3847:                             ;   in Loop: Header=BB4_3804 Depth=2
	v_dual_lshrrev_b32 v30, 3, v17 :: v_dual_bitop2_b32 v38, 7, v16 bitop3:0x40
	v_cmp_gt_u32_e32 vcc_lo, 8, v17
	s_delay_alu instid0(VALU_DEP_2)
	v_mov_b64_e32 v[16:17], v[38:39]
	s_and_saveexec_b32 s29, vcc_lo
; %bb.3848:                             ;   in Loop: Header=BB4_3804 Depth=2
	v_clz_i32_u32_e32 v16, v38
	s_delay_alu instid0(VALU_DEP_1) | instskip(NEXT) | instid1(VALU_DEP_1)
	v_min_u32_e32 v20, 32, v16
	v_subrev_nc_u32_e32 v16, 28, v20
	v_sub_nc_u32_e32 v30, 29, v20
	s_delay_alu instid0(VALU_DEP_2) | instskip(NEXT) | instid1(VALU_DEP_1)
	v_lshlrev_b64_e32 v[16:17], v16, v[38:39]
	v_and_b32_e32 v16, 7, v16
; %bb.3849:                             ;   in Loop: Header=BB4_3804 Depth=2
	s_or_b32 exec_lo, exec_lo, s29
	s_delay_alu instid0(VALU_DEP_1) | instskip(SKIP_1) | instid1(VALU_DEP_2)
	v_dual_lshlrev_b32 v3, 24, v3 :: v_dual_lshlrev_b32 v16, 20, v16
	v_lshl_add_u32 v17, v30, 23, 0x3c000000
	v_and_b32_e32 v3, 0x80000000, v3
	s_delay_alu instid0(VALU_DEP_1)
	v_or3_b32 v81, v16, v3, v17
.LBB4_3850:                             ;   in Loop: Header=BB4_3804 Depth=2
	s_or_b32 exec_lo, exec_lo, s28
.LBB4_3851:                             ;   in Loop: Header=BB4_3804 Depth=2
	s_delay_alu instid0(SALU_CYCLE_1)
	s_or_b32 exec_lo, exec_lo, s11
.LBB4_3852:                             ;   in Loop: Header=BB4_3804 Depth=2
	s_delay_alu instid0(SALU_CYCLE_1) | instskip(NEXT) | instid1(VALU_DEP_1)
	s_or_b32 exec_lo, exec_lo, s10
	v_add_f32_e32 v16, v82, v81
                                        ; implicit-def: $vgpr17
	s_mov_b32 s10, exec_lo
	s_delay_alu instid0(VALU_DEP_1) | instskip(SKIP_1) | instid1(VALU_DEP_2)
	v_and_b32_e32 v38, 0x7f800000, v16
	v_lshrrev_b32_e32 v3, 24, v16
	v_cmpx_ne_u64_e32 0x7f800000, v[38:39]
	s_xor_b32 s11, exec_lo, s10
	s_cbranch_execz .LBB4_3870
; %bb.3853:                             ;   in Loop: Header=BB4_3804 Depth=2
	v_and_b32_e32 v38, 0x7fffffff, v16
	v_and_b32_e32 v3, 0x80, v3
                                        ; implicit-def: $vgpr17
	s_mov_b32 s10, exec_lo
	s_delay_alu instid0(VALU_DEP_2)
	v_cmpx_gt_u64_e32 0x43e00001, v[38:39]
	s_xor_b32 s28, exec_lo, s10
	s_cbranch_execz .LBB4_3867
; %bb.3854:                             ;   in Loop: Header=BB4_3804 Depth=2
	v_mov_b32_e32 v17, 0
	s_mov_b32 s29, exec_lo
	v_cmpx_ne_u32_e32 0, v16
	s_cbranch_execz .LBB4_3866
; %bb.3855:                             ;   in Loop: Header=BB4_3804 Depth=2
	v_bfe_u32 v30, v16, 23, 8
	v_and_b32_e32 v20, 0x7fffff, v16
	s_delay_alu instid0(VALU_DEP_2) | instskip(NEXT) | instid1(VALU_DEP_2)
	v_cmp_gt_u32_e32 vcc_lo, 0x7a, v30
	v_or_b32_e32 v21, 0x800000, v20
	v_sub_nc_u32_e32 v17, 0x79, v30
	s_delay_alu instid0(VALU_DEP_1) | instskip(SKIP_1) | instid1(VALU_DEP_2)
	v_cndmask_b32_e32 v17, 0, v17, vcc_lo
	v_cmp_eq_u32_e32 vcc_lo, 0, v30
	v_cndmask_b32_e64 v81, v17, 0x78, vcc_lo
	s_delay_alu instid0(VALU_DEP_1) | instskip(SKIP_1) | instid1(VALU_DEP_2)
	v_dual_cndmask_b32 v38, v21, v20, vcc_lo :: v_dual_add_nc_u32 v16, 20, v81
	v_add_nc_u32_e32 v82, 19, v81
	v_lshlrev_b64_e64 v[16:17], v16, -1
	s_delay_alu instid0(VALU_DEP_2) | instskip(NEXT) | instid1(VALU_DEP_2)
	v_lshlrev_b64_e64 v[20:21], v82, 1
	v_bfi_b32 v83, v17, 0, 0
	s_delay_alu instid0(VALU_DEP_3) | instskip(SKIP_1) | instid1(VALU_DEP_2)
	v_bfi_b32 v82, v16, 0, v38
	v_lshrrev_b64 v[16:17], v81, v[38:39]
	v_cmp_eq_u64_e64 s10, v[82:83], v[20:21]
	s_delay_alu instid0(VALU_DEP_2)
	v_mov_b64_e32 v[82:83], v[16:17]
	s_and_saveexec_b32 s40, s10
; %bb.3856:                             ;   in Loop: Header=BB4_3804 Depth=2
	v_bfe_u32 v38, v16, 20, 1
	s_delay_alu instid0(VALU_DEP_1) | instskip(NEXT) | instid1(VALU_DEP_1)
	v_add_nc_u64_e32 v[20:21], v[16:17], v[38:39]
	v_add_nc_u64_e32 v[82:83], -1, v[20:21]
; %bb.3857:                             ;   in Loop: Header=BB4_3804 Depth=2
	s_or_b32 exec_lo, exec_lo, s40
	v_add_nc_u32_e32 v17, 0xffffff81, v30
	v_lshrrev_b32_e32 v20, 23, v16
	s_mov_b32 s10, exec_lo
                                        ; implicit-def: $vgpr30
	s_delay_alu instid0(VALU_DEP_2) | instskip(NEXT) | instid1(VALU_DEP_1)
	v_cndmask_b32_e64 v17, v17, 0xffffff82, vcc_lo
	v_add3_u32 v81, v81, v17, v20
	v_and_b32_e32 v17, 0xfffff, v82
	s_delay_alu instid0(VALU_DEP_1) | instskip(NEXT) | instid1(VALU_DEP_1)
	v_dual_add_nc_u32 v82, 6, v81 :: v_dual_add_nc_u32 v38, v17, v16
                                        ; implicit-def: $vgpr16_vgpr17
	v_cmpx_ne_u32_e32 0, v82
	s_xor_b32 s10, exec_lo, s10
; %bb.3858:                             ;   in Loop: Header=BB4_3804 Depth=2
	s_delay_alu instid0(VALU_DEP_2) | instskip(SKIP_1) | instid1(VALU_DEP_1)
	v_cmp_lt_u64_e32 vcc_lo, 0xffffff, v[38:39]
	v_add_nc_u32_e32 v16, 7, v81
	v_cndmask_b32_e32 v30, v82, v16, vcc_lo
	v_cndmask_b32_e64 v16, 0, 1, vcc_lo
	s_delay_alu instid0(VALU_DEP_1)
	v_lshrrev_b64 v[16:17], v16, v[38:39]
; %bb.3859:                             ;   in Loop: Header=BB4_3804 Depth=2
	s_and_not1_saveexec_b32 s10, s10
; %bb.3860:                             ;   in Loop: Header=BB4_3804 Depth=2
	v_mov_b64_e32 v[16:17], v[38:39]
	v_bfe_u32 v30, v38, 23, 1
; %bb.3861:                             ;   in Loop: Header=BB4_3804 Depth=2
	s_or_b32 exec_lo, exec_lo, s10
	s_delay_alu instid0(VALU_DEP_2) | instskip(NEXT) | instid1(VALU_DEP_2)
	v_lshrrev_b64 v[16:17], 20, v[16:17]
	v_cmp_gt_i32_e32 vcc_lo, 16, v30
	v_cmp_ne_u32_e64 s10, 0, v30
	s_delay_alu instid0(VALU_DEP_3) | instskip(NEXT) | instid1(VALU_DEP_1)
	v_dual_cndmask_b32 v17, 0, v17 :: v_dual_cndmask_b32 v16, 7, v16
	v_cmp_ne_u64_e32 vcc_lo, 0, v[16:17]
                                        ; implicit-def: $vgpr17
	s_or_b32 s10, s10, vcc_lo
	s_delay_alu instid0(SALU_CYCLE_1) | instskip(NEXT) | instid1(SALU_CYCLE_1)
	s_and_saveexec_b32 s40, s10
	s_xor_b32 s10, exec_lo, s40
; %bb.3862:                             ;   in Loop: Header=BB4_3804 Depth=2
	v_min_i32_e32 v17, 15, v30
	s_delay_alu instid0(VALU_DEP_1) | instskip(NEXT) | instid1(VALU_DEP_1)
	v_lshl_or_b32 v3, v17, 3, v3
	v_and_or_b32 v17, v16, 7, v3
                                        ; implicit-def: $vgpr3
; %bb.3863:                             ;   in Loop: Header=BB4_3804 Depth=2
	s_and_not1_saveexec_b32 s10, s10
; %bb.3864:                             ;   in Loop: Header=BB4_3804 Depth=2
	v_mov_b32_e32 v17, v3
; %bb.3865:                             ;   in Loop: Header=BB4_3804 Depth=2
	s_or_b32 exec_lo, exec_lo, s10
.LBB4_3866:                             ;   in Loop: Header=BB4_3804 Depth=2
	s_delay_alu instid0(SALU_CYCLE_1)
	s_or_b32 exec_lo, exec_lo, s29
                                        ; implicit-def: $vgpr3
.LBB4_3867:                             ;   in Loop: Header=BB4_3804 Depth=2
	s_and_not1_saveexec_b32 s10, s28
; %bb.3868:                             ;   in Loop: Header=BB4_3804 Depth=2
	v_or_b32_e32 v17, 0x7e, v3
; %bb.3869:                             ;   in Loop: Header=BB4_3804 Depth=2
	s_or_b32 exec_lo, exec_lo, s10
                                        ; implicit-def: $vgpr3
.LBB4_3870:                             ;   in Loop: Header=BB4_3804 Depth=2
	s_and_not1_saveexec_b32 s10, s11
	s_cbranch_execz .LBB4_3803
; %bb.3871:                             ;   in Loop: Header=BB4_3804 Depth=2
	v_or_b32_e32 v17, 0x7f, v3
	s_branch .LBB4_3803
.LBB4_3872:                             ;   in Loop: Header=BB4_49 Depth=1
	s_or_b32 exec_lo, exec_lo, s12
	v_cmp_ne_u32_e64 s10, 0, v71
	s_and_saveexec_b32 s11, s2
	s_cbranch_execz .LBB4_3891
.LBB4_3873:                             ;   in Loop: Header=BB4_49 Depth=1
	s_and_saveexec_b32 s12, s3
	s_delay_alu instid0(SALU_CYCLE_1)
	s_xor_b32 s12, exec_lo, s12
	s_cbranch_execz .LBB4_3888
; %bb.3874:                             ;   in Loop: Header=BB4_49 Depth=1
	s_and_saveexec_b32 s27, s4
	s_cbranch_execz .LBB4_3887
; %bb.3875:                             ;   in Loop: Header=BB4_49 Depth=1
	s_mov_b32 s29, exec_lo
	s_mov_b32 s28, exec_lo
	v_mbcnt_lo_u32_b32 v2, s29, 0
	global_wb scope:SCOPE_DEV
	s_wait_storecnt 0x0
	s_wait_loadcnt_dscnt 0x0
	global_inv scope:SCOPE_DEV
	v_cmpx_eq_u32_e32 0, v2
	s_cbranch_execz .LBB4_3877
; %bb.3876:                             ;   in Loop: Header=BB4_49 Depth=1
	s_bcnt1_i32_b32 s29, s29
	s_delay_alu instid0(SALU_CYCLE_1)
	v_mov_b32_e32 v38, s29
	s_wait_loadcnt 0x0
	ds_add_u64 v0, v[38:39]
	s_trap 2
.LBB4_3877:                             ;   in Loop: Header=BB4_49 Depth=1
	s_or_b32 exec_lo, exec_lo, s28
	s_trap 2
	ds_load_b64 v[2:3], v0
	s_wait_dscnt 0x0
	v_add_nc_u64_e32 v[28:29], v[28:29], v[48:49]
	s_mov_b32 s28, exec_lo
	s_delay_alu instid0(VALU_DEP_1)
	v_cmpx_lt_u64_e64 v[2:3], v[28:29]
	s_cbranch_execz .LBB4_3886
; %bb.3878:                             ;   in Loop: Header=BB4_49 Depth=1
	s_mov_b32 s29, 0
	s_mov_b32 s42, 0
                                        ; implicit-def: $sgpr40
                                        ; implicit-def: $sgpr41
	s_branch .LBB4_3880
.LBB4_3879:                             ;   in Loop: Header=BB4_3880 Depth=2
	s_or_b32 exec_lo, exec_lo, s44
	s_delay_alu instid0(SALU_CYCLE_1) | instskip(NEXT) | instid1(SALU_CYCLE_1)
	s_and_b32 s43, exec_lo, s45
	s_or_b32 s29, s43, s29
	s_and_not1_b32 s40, s40, exec_lo
	s_and_b32 s43, s41, exec_lo
	s_delay_alu instid0(SALU_CYCLE_1)
	s_or_b32 s40, s40, s43
	s_and_not1_b32 exec_lo, exec_lo, s29
	s_cbranch_execz .LBB4_3884
.LBB4_3880:                             ;   Parent Loop BB4_49 Depth=1
                                        ; =>  This Inner Loop Header: Depth=2
	s_add_co_i32 s42, s42, 1
	s_delay_alu instid0(SALU_CYCLE_1) | instskip(SKIP_1) | instid1(SALU_CYCLE_1)
	s_cmp_lg_u32 s42, 0x2710
	s_cselect_b32 s43, -1, 0
	s_and_b32 vcc_lo, exec_lo, s43
	s_cbranch_vccz .LBB4_3882
; %bb.3881:                             ;   in Loop: Header=BB4_3880 Depth=2
	s_mov_b32 s45, -1
	s_or_b32 s41, s41, exec_lo
	s_and_saveexec_b32 s44, s43
	s_cbranch_execz .LBB4_3879
	s_branch .LBB4_3883
.LBB4_3882:                             ;   in Loop: Header=BB4_3880 Depth=2
	s_trap 2
	ds_load_b64 v[2:3], v0
	s_and_not1_b32 s43, s43, exec_lo
	s_mov_b32 s42, 0
	s_wait_loadcnt_dscnt 0x0
	flat_load_b32 v2, v[2:3] scope:SCOPE_SYS
	s_wait_loadcnt_dscnt 0x0
	global_inv scope:SCOPE_SYS
	v_cmp_eq_u32_e32 vcc_lo, 0, v2
	s_and_b32 s44, vcc_lo, exec_lo
	s_delay_alu instid0(SALU_CYCLE_1)
	s_or_b32 s43, s43, s44
	s_mov_b32 s45, -1
	s_or_b32 s41, s41, exec_lo
	s_and_saveexec_b32 s44, s43
	s_cbranch_execz .LBB4_3879
.LBB4_3883:                             ;   in Loop: Header=BB4_3880 Depth=2
	s_sleep 1
	s_trap 2
	ds_load_b64 v[2:3], v0
	s_wait_dscnt 0x0
	s_and_not1_b32 s41, s41, exec_lo
	v_cmp_ge_u64_e32 vcc_lo, v[2:3], v[28:29]
	s_or_not1_b32 s45, vcc_lo, exec_lo
	s_branch .LBB4_3879
.LBB4_3884:                             ;   in Loop: Header=BB4_49 Depth=1
	s_or_b32 exec_lo, exec_lo, s29
	s_and_saveexec_b32 s29, s40
	s_delay_alu instid0(SALU_CYCLE_1)
	s_xor_b32 s29, exec_lo, s29
	s_cbranch_execz .LBB4_3886
; %bb.3885:                             ;   in Loop: Header=BB4_49 Depth=1
	ds_store_b32 v0, v116
	s_trap 2
.LBB4_3886:                             ;   in Loop: Header=BB4_49 Depth=1
	s_or_b32 exec_lo, exec_lo, s28
	;;#ASMSTART
	s_wakeup
	;;#ASMEND
.LBB4_3887:                             ;   in Loop: Header=BB4_49 Depth=1
	s_or_b32 exec_lo, exec_lo, s27
.LBB4_3888:                             ;   in Loop: Header=BB4_49 Depth=1
	s_and_not1_saveexec_b32 s12, s12
	s_cbranch_execz .LBB4_3890
; %bb.3889:                             ;   in Loop: Header=BB4_49 Depth=1
	global_wb scope:SCOPE_DEV
	s_wait_storecnt 0x0
	s_wait_loadcnt_dscnt 0x0
	global_inv scope:SCOPE_DEV
	s_barrier_signal -1
	s_barrier_wait -1
.LBB4_3890:                             ;   in Loop: Header=BB4_49 Depth=1
	s_or_b32 exec_lo, exec_lo, s12
.LBB4_3891:                             ;   in Loop: Header=BB4_49 Depth=1
	s_delay_alu instid0(SALU_CYCLE_1) | instskip(SKIP_1) | instid1(VALU_DEP_1)
	s_or_b32 exec_lo, exec_lo, s11
	v_and_b32_e32 v2, 16, v112
	v_cmp_ne_u32_e32 vcc_lo, 0, v2
	s_and_b32 s11, vcc_lo, s10
	s_delay_alu instid0(SALU_CYCLE_1)
	s_and_saveexec_b32 s10, s11
	s_cbranch_execz .LBB4_3893
; %bb.3892:                             ;   in Loop: Header=BB4_49 Depth=1
	global_wb scope:SCOPE_SYS
	s_wait_storecnt 0x0
	s_wait_loadcnt_dscnt 0x0
	global_inv scope:SCOPE_SYS
.LBB4_3893:                             ;   in Loop: Header=BB4_49 Depth=1
	s_or_b32 exec_lo, exec_lo, s10
	v_cmp_ne_u32_e32 vcc_lo, 0, v2
	s_xor_b32 s10, s7, -1
	s_delay_alu instid0(SALU_CYCLE_1) | instskip(NEXT) | instid1(SALU_CYCLE_1)
	s_and_b32 s11, vcc_lo, s10
	s_and_saveexec_b32 s10, s11
	s_cbranch_execz .LBB4_3895
; %bb.3894:                             ;   in Loop: Header=BB4_49 Depth=1
	global_wb scope:SCOPE_SYS
	s_wait_storecnt 0x0
	s_wait_loadcnt_dscnt 0x0
	flat_store_b32 v[36:37], v116 scope:SCOPE_SYS
.LBB4_3895:                             ;   in Loop: Header=BB4_49 Depth=1
	s_wait_xcnt 0x0
	s_or_b32 exec_lo, exec_lo, s10
	v_and_b32_e32 v2, 48, v112
	s_mov_b32 s10, exec_lo
	s_delay_alu instid0(VALU_DEP_1)
	v_cmpx_ne_u32_e32 0, v2
	s_cbranch_execz .LBB4_3897
; %bb.3896:                             ;   in Loop: Header=BB4_49 Depth=1
	v_add_nc_u64_e32 v[8:9], 1, v[8:9]
	global_wb scope:SCOPE_SYS
	s_wait_storecnt 0x0
	s_wait_loadcnt_dscnt 0x0
	flat_store_b64 v[22:23], v[8:9] scope:SCOPE_SYS
.LBB4_3897:                             ;   in Loop: Header=BB4_49 Depth=1
	s_wait_xcnt 0x0
	s_or_b32 exec_lo, exec_lo, s10
	v_mov_b32_e32 v2, v80
.LBB4_3898:                             ;   in Loop: Header=BB4_49 Depth=1
	s_or_b32 exec_lo, exec_lo, s26
	s_and_saveexec_b32 s11, s25
	s_cbranch_execz .LBB4_48
; %bb.3899:                             ;   in Loop: Header=BB4_49 Depth=1
	s_delay_alu instid0(VALU_DEP_1) | instskip(SKIP_1) | instid1(VALU_DEP_1)
	v_dual_sub_nc_u32 v2, v70, v2 :: v_dual_bitop2_b32 v3, 12, v112 bitop3:0x40
	s_mov_b32 s12, exec_lo
	v_min_i32_e32 v10, v80, v2
	s_delay_alu instid0(VALU_DEP_2)
	v_cmpx_ne_u32_e32 0, v3
	s_cbranch_execz .LBB4_3925
; %bb.3900:                             ;   in Loop: Header=BB4_49 Depth=1
	v_and_b32_e32 v38, 8, v112
	v_add_nc_u64_e32 v[12:13], 1, v[8:9]
	s_mov_b32 s25, exec_lo
	s_wait_loadcnt 0x0
	s_delay_alu instid0(VALU_DEP_2) | instskip(NEXT) | instid1(VALU_DEP_1)
	v_add_nc_u64_e32 v[2:3], v[32:33], v[38:39]
	v_cmpx_lt_u64_e64 v[2:3], v[12:13]
	s_cbranch_execz .LBB4_3912
; %bb.3901:                             ;   in Loop: Header=BB4_49 Depth=1
	v_and_b32_e32 v2, 64, v112
	s_mov_b32 s26, 0
	s_mov_b32 s40, 0
                                        ; implicit-def: $sgpr27
                                        ; implicit-def: $sgpr28
                                        ; implicit-def: $sgpr29
	s_delay_alu instid0(VALU_DEP_1)
	v_cmp_eq_u32_e32 vcc_lo, 0, v2
	s_branch .LBB4_3904
.LBB4_3902:                             ;   in Loop: Header=BB4_3904 Depth=2
	s_or_b32 exec_lo, exec_lo, s45
	s_delay_alu instid0(SALU_CYCLE_1)
	s_and_not1_b32 s10, s29, exec_lo
	s_and_b32 s29, s43, exec_lo
	s_and_not1_b32 s28, s28, exec_lo
	s_and_b32 s42, s42, exec_lo
	s_or_b32 s29, s10, s29
	s_or_b32 s28, s28, s42
.LBB4_3903:                             ;   in Loop: Header=BB4_3904 Depth=2
	s_or_b32 exec_lo, exec_lo, s41
	s_delay_alu instid0(SALU_CYCLE_1) | instskip(NEXT) | instid1(SALU_CYCLE_1)
	s_and_b32 s10, exec_lo, s28
	s_or_b32 s26, s10, s26
	s_and_not1_b32 s10, s27, exec_lo
	s_and_b32 s27, s29, exec_lo
	s_delay_alu instid0(SALU_CYCLE_1)
	s_or_b32 s27, s10, s27
	s_and_not1_b32 exec_lo, exec_lo, s26
	s_cbranch_execz .LBB4_3909
.LBB4_3904:                             ;   Parent Loop BB4_49 Depth=1
                                        ; =>  This Inner Loop Header: Depth=2
	s_sleep 1
	s_wait_loadcnt_dscnt 0x0
	flat_load_b64 v[32:33], v[22:23] scope:SCOPE_SYS
	s_or_b32 s29, s29, exec_lo
	s_or_b32 s28, s28, exec_lo
                                        ; implicit-def: $vgpr2
	s_wait_xcnt 0x0
	s_and_saveexec_b32 s41, vcc_lo
	s_cbranch_execz .LBB4_3903
; %bb.3905:                             ;   in Loop: Header=BB4_3904 Depth=2
	s_cmp_lt_i32 s40, 0x270f
	s_mov_b32 s42, -1
	s_cselect_b32 s44, -1, 0
	s_cmp_gt_i32 s40, 0x270e
	s_cbranch_scc0 .LBB4_3907
; %bb.3906:                             ;   in Loop: Header=BB4_3904 Depth=2
	s_trap 2
	ds_load_b64 v[2:3], v0
	s_and_not1_b32 s40, s44, exec_lo
	s_mov_b32 s43, 0
	s_wait_storecnt 0x0
	s_wait_loadcnt_dscnt 0x0
	flat_load_b32 v2, v[2:3] scope:SCOPE_SYS
	s_wait_loadcnt_dscnt 0x0
	global_inv scope:SCOPE_SYS
	v_cmp_eq_u32_e64 s10, 0, v2
	s_and_b32 s10, s10, exec_lo
	s_delay_alu instid0(SALU_CYCLE_1)
	s_or_b32 s44, s40, s10
	s_mov_b32 s40, 0
	s_and_saveexec_b32 s45, s44
	s_cbranch_execz .LBB4_3902
	s_branch .LBB4_3908
.LBB4_3907:                             ;   in Loop: Header=BB4_3904 Depth=2
	s_add_co_i32 s40, s40, 1
	s_mov_b32 s43, -1
                                        ; implicit-def: $vgpr2
	s_and_saveexec_b32 s45, s44
	s_cbranch_execz .LBB4_3902
.LBB4_3908:                             ;   in Loop: Header=BB4_3904 Depth=2
	s_wait_loadcnt_dscnt 0x0
	v_add_nc_u64_e32 v[14:15], v[32:33], v[38:39]
	s_or_b32 s43, s43, exec_lo
	s_delay_alu instid0(VALU_DEP_1)
	v_cmp_ge_u64_e64 s10, v[14:15], v[12:13]
	s_or_not1_b32 s42, s10, exec_lo
	s_branch .LBB4_3902
.LBB4_3909:                             ;   in Loop: Header=BB4_49 Depth=1
	s_or_b32 exec_lo, exec_lo, s26
	s_xor_b32 s10, s27, -1
	s_delay_alu instid0(SALU_CYCLE_1) | instskip(NEXT) | instid1(SALU_CYCLE_1)
	s_and_saveexec_b32 s26, s10
	s_xor_b32 s10, exec_lo, s26
	s_cbranch_execz .LBB4_3911
; %bb.3910:                             ;   in Loop: Header=BB4_49 Depth=1
	v_or_b32_e32 v112, 64, v112
	s_wait_storecnt 0x0
	s_wait_loadcnt_dscnt 0x0
	ds_store_b32 v0, v2
	s_trap 2
.LBB4_3911:                             ;   in Loop: Header=BB4_49 Depth=1
	s_or_b32 exec_lo, exec_lo, s10
.LBB4_3912:                             ;   in Loop: Header=BB4_49 Depth=1
	s_delay_alu instid0(SALU_CYCLE_1) | instskip(SKIP_4) | instid1(VALU_DEP_2)
	s_or_b32 exec_lo, exec_lo, s25
	v_and_b32_e32 v2, 0x108, v112
	v_and_b32_e32 v8, 7, v8
	s_mov_b32 s10, exec_lo
	;;#ASMSTART
	s_wakeup
	;;#ASMEND
	v_cmpx_ne_u32_e32 0x108, v2
	s_xor_b32 s10, exec_lo, s10
; %bb.3913:                             ;   in Loop: Header=BB4_49 Depth=1
	v_mov_b32_e32 v9, v39
; %bb.3914:                             ;   in Loop: Header=BB4_49 Depth=1
	s_and_not1_saveexec_b32 s10, s10
	s_cbranch_execz .LBB4_3916
; %bb.3915:                             ;   in Loop: Header=BB4_49 Depth=1
	v_mad_nc_u64_u32 v[2:3], v8, 24, v[6:7]
	v_dual_ashrrev_i32 v11, 31, v10 :: v_dual_mov_b32 v9, v39
	flat_store_b64 v[2:3], v[10:11] offset:8
.LBB4_3916:                             ;   in Loop: Header=BB4_49 Depth=1
	s_wait_xcnt 0x0
	s_or_b32 exec_lo, exec_lo, s10
	v_and_b32_e32 v2, 0x100, v112
	s_mov_b32 s10, -1
	s_mov_b32 s25, exec_lo
                                        ; implicit-def: $vgpr14_vgpr15
	s_delay_alu instid0(VALU_DEP_1)
	v_cmpx_ne_u32_e32 0, v2
	s_cbranch_execz .LBB4_3920
; %bb.3917:                             ;   in Loop: Header=BB4_49 Depth=1
	v_mad_nc_u64_u32 v[16:17], v8, 24, v[6:7]
	s_mov_b32 s26, exec_lo
                                        ; implicit-def: $vgpr14_vgpr15
	s_delay_alu instid0(VALU_DEP_1)
	v_mad_u32 v17, v9, 24, v17
	flat_load_b32 v2, v[16:17]
	s_wait_loadcnt_dscnt 0x0
	v_cmp_ne_u32_e32 vcc_lo, 1, v2
	s_wait_xcnt 0x0
	v_cmpx_eq_u32_e32 1, v2
	s_cbranch_execz .LBB4_3919
; %bb.3918:                             ;   in Loop: Header=BB4_49 Depth=1
	flat_load_b32 v14, v[16:17] offset:4 scope:SCOPE_SYS
	s_wait_loadcnt_dscnt 0x0
	v_ashrrev_i32_e32 v15, 31, v14
.LBB4_3919:                             ;   in Loop: Header=BB4_49 Depth=1
	s_wait_xcnt 0x0
	s_or_b32 exec_lo, exec_lo, s26
	s_delay_alu instid0(SALU_CYCLE_1)
	s_or_not1_b32 s10, vcc_lo, exec_lo
.LBB4_3920:                             ;   in Loop: Header=BB4_49 Depth=1
	s_or_b32 exec_lo, exec_lo, s25
	s_and_saveexec_b32 s25, s10
; %bb.3921:                             ;   in Loop: Header=BB4_49 Depth=1
	v_mul_u64_e32 v[14:15], v[8:9], v[24:25]
; %bb.3922:                             ;   in Loop: Header=BB4_49 Depth=1
	s_or_b32 exec_lo, exec_lo, s25
	v_cmp_eq_u32_e32 vcc_lo, 0, v38
	s_delay_alu instid0(VALU_DEP_2) | instskip(SKIP_3) | instid1(VALU_DEP_1)
	v_add_nc_u64_e32 v[2:3], v[26:27], v[14:15]
	v_and_b32_e32 v9, 0x2000, v112
	s_mov_b32 s10, exec_lo
	v_cndmask_b32_e32 v8, 0xc8, v117, vcc_lo
	v_add_nc_u32_e32 v8, v0, v8
	ds_store_b64 v8, v[2:3] offset:584
	v_cmpx_ne_u32_e32 0, v9
	s_cbranch_execz .LBB4_3924
; %bb.3923:                             ;   in Loop: Header=BB4_49 Depth=1
	ds_load_b64 v[2:3], v0 offset:872
	s_wait_dscnt 0x0
	v_add_nc_u64_e32 v[2:3], 1, v[2:3]
	ds_store_b64 v0, v[2:3] offset:872
.LBB4_3924:                             ;   in Loop: Header=BB4_49 Depth=1
	s_or_b32 exec_lo, exec_lo, s10
	v_mov_b64_e32 v[8:9], v[12:13]
.LBB4_3925:                             ;   in Loop: Header=BB4_49 Depth=1
	s_or_b32 exec_lo, exec_lo, s12
	s_and_saveexec_b32 s10, s2
	s_cbranch_execz .LBB4_3944
; %bb.3926:                             ;   in Loop: Header=BB4_49 Depth=1
	s_and_saveexec_b32 s12, s3
	s_delay_alu instid0(SALU_CYCLE_1)
	s_xor_b32 s12, exec_lo, s12
	s_cbranch_execz .LBB4_3941
; %bb.3927:                             ;   in Loop: Header=BB4_49 Depth=1
	s_and_saveexec_b32 s25, s4
	s_cbranch_execz .LBB4_3940
; %bb.3928:                             ;   in Loop: Header=BB4_49 Depth=1
	s_mov_b32 s27, exec_lo
	s_mov_b32 s26, exec_lo
	v_mbcnt_lo_u32_b32 v2, s27, 0
	global_wb scope:SCOPE_DEV
	s_wait_storecnt 0x0
	s_wait_loadcnt_dscnt 0x0
	global_inv scope:SCOPE_DEV
	v_cmpx_eq_u32_e32 0, v2
	s_cbranch_execz .LBB4_3930
; %bb.3929:                             ;   in Loop: Header=BB4_49 Depth=1
	s_bcnt1_i32_b32 s27, s27
	s_delay_alu instid0(SALU_CYCLE_1)
	v_mov_b32_e32 v38, s27
	s_wait_loadcnt 0x0
	ds_add_u64 v0, v[38:39]
	s_trap 2
.LBB4_3930:                             ;   in Loop: Header=BB4_49 Depth=1
	s_or_b32 exec_lo, exec_lo, s26
	s_trap 2
	ds_load_b64 v[2:3], v0
	s_wait_dscnt 0x0
	v_add_nc_u64_e32 v[28:29], v[28:29], v[48:49]
	s_mov_b32 s26, exec_lo
	s_delay_alu instid0(VALU_DEP_1)
	v_cmpx_lt_u64_e64 v[2:3], v[28:29]
	s_cbranch_execz .LBB4_3939
; %bb.3931:                             ;   in Loop: Header=BB4_49 Depth=1
	s_mov_b32 s27, 0
	s_mov_b32 s40, 0
                                        ; implicit-def: $sgpr28
                                        ; implicit-def: $sgpr29
	s_branch .LBB4_3933
.LBB4_3932:                             ;   in Loop: Header=BB4_3933 Depth=2
	s_or_b32 exec_lo, exec_lo, s42
	s_delay_alu instid0(SALU_CYCLE_1) | instskip(NEXT) | instid1(SALU_CYCLE_1)
	s_and_b32 s41, exec_lo, s43
	s_or_b32 s27, s41, s27
	s_and_not1_b32 s28, s28, exec_lo
	s_and_b32 s41, s29, exec_lo
	s_delay_alu instid0(SALU_CYCLE_1)
	s_or_b32 s28, s28, s41
	s_and_not1_b32 exec_lo, exec_lo, s27
	s_cbranch_execz .LBB4_3937
.LBB4_3933:                             ;   Parent Loop BB4_49 Depth=1
                                        ; =>  This Inner Loop Header: Depth=2
	s_add_co_i32 s40, s40, 1
	s_delay_alu instid0(SALU_CYCLE_1) | instskip(SKIP_1) | instid1(SALU_CYCLE_1)
	s_cmp_lg_u32 s40, 0x2710
	s_cselect_b32 s41, -1, 0
	s_and_b32 vcc_lo, exec_lo, s41
	s_cbranch_vccz .LBB4_3935
; %bb.3934:                             ;   in Loop: Header=BB4_3933 Depth=2
	s_mov_b32 s43, -1
	s_or_b32 s29, s29, exec_lo
	s_and_saveexec_b32 s42, s41
	s_cbranch_execz .LBB4_3932
	s_branch .LBB4_3936
.LBB4_3935:                             ;   in Loop: Header=BB4_3933 Depth=2
	s_trap 2
	ds_load_b64 v[2:3], v0
	s_and_not1_b32 s41, s41, exec_lo
	s_mov_b32 s40, 0
	s_wait_loadcnt_dscnt 0x0
	flat_load_b32 v2, v[2:3] scope:SCOPE_SYS
	s_wait_loadcnt_dscnt 0x0
	global_inv scope:SCOPE_SYS
	v_cmp_eq_u32_e32 vcc_lo, 0, v2
	s_and_b32 s42, vcc_lo, exec_lo
	s_delay_alu instid0(SALU_CYCLE_1)
	s_or_b32 s41, s41, s42
	s_mov_b32 s43, -1
	s_or_b32 s29, s29, exec_lo
	s_and_saveexec_b32 s42, s41
	s_cbranch_execz .LBB4_3932
.LBB4_3936:                             ;   in Loop: Header=BB4_3933 Depth=2
	s_sleep 1
	s_trap 2
	ds_load_b64 v[2:3], v0
	s_wait_dscnt 0x0
	s_and_not1_b32 s29, s29, exec_lo
	v_cmp_ge_u64_e32 vcc_lo, v[2:3], v[28:29]
	s_or_not1_b32 s43, vcc_lo, exec_lo
	s_branch .LBB4_3932
.LBB4_3937:                             ;   in Loop: Header=BB4_49 Depth=1
	s_or_b32 exec_lo, exec_lo, s27
	s_and_saveexec_b32 s27, s28
	s_delay_alu instid0(SALU_CYCLE_1)
	s_xor_b32 s27, exec_lo, s27
	s_cbranch_execz .LBB4_3939
; %bb.3938:                             ;   in Loop: Header=BB4_49 Depth=1
	ds_store_b32 v0, v116
	s_trap 2
.LBB4_3939:                             ;   in Loop: Header=BB4_49 Depth=1
	s_or_b32 exec_lo, exec_lo, s26
	;;#ASMSTART
	s_wakeup
	;;#ASMEND
.LBB4_3940:                             ;   in Loop: Header=BB4_49 Depth=1
	s_or_b32 exec_lo, exec_lo, s25
.LBB4_3941:                             ;   in Loop: Header=BB4_49 Depth=1
	s_and_not1_saveexec_b32 s12, s12
	s_cbranch_execz .LBB4_3943
; %bb.3942:                             ;   in Loop: Header=BB4_49 Depth=1
	global_wb scope:SCOPE_DEV
	s_wait_storecnt 0x0
	s_wait_loadcnt_dscnt 0x0
	global_inv scope:SCOPE_DEV
	s_barrier_signal -1
	s_barrier_wait -1
.LBB4_3943:                             ;   in Loop: Header=BB4_49 Depth=1
	s_or_b32 exec_lo, exec_lo, s12
.LBB4_3944:                             ;   in Loop: Header=BB4_49 Depth=1
	s_delay_alu instid0(SALU_CYCLE_1)
	s_or_b32 exec_lo, exec_lo, s10
	s_trap 2
	ds_load_b32 v2, v0
	v_cmp_lt_i32_e32 vcc_lo, 0, v10
	s_wait_dscnt 0x0
	v_readfirstlane_b32 s10, v2
	v_and_b32_e32 v2, 16, v112
	s_cmp_eq_u32 s10, 0
	s_delay_alu instid0(VALU_DEP_1) | instskip(SKIP_1) | instid1(SALU_CYCLE_1)
	v_cmp_ne_u32_e64 s10, 0, v2
	s_cselect_b32 s12, -1, 0
	s_and_b32 s12, vcc_lo, s12
	s_delay_alu instid0(SALU_CYCLE_1) | instskip(NEXT) | instid1(SALU_CYCLE_1)
	s_and_b32 s12, s10, s12
	s_and_saveexec_b32 s10, s12
	s_cbranch_execz .LBB4_3946
; %bb.3945:                             ;   in Loop: Header=BB4_49 Depth=1
	global_wb scope:SCOPE_SYS
	s_wait_loadcnt 0x0
	s_wait_storecnt 0x0
	global_inv scope:SCOPE_SYS
.LBB4_3946:                             ;   in Loop: Header=BB4_49 Depth=1
	s_or_b32 exec_lo, exec_lo, s10
	v_cmp_ne_u32_e32 vcc_lo, 0, v2
	s_xor_b32 s10, s7, -1
	s_delay_alu instid0(SALU_CYCLE_1) | instskip(NEXT) | instid1(SALU_CYCLE_1)
	s_and_b32 s12, vcc_lo, s10
	s_and_saveexec_b32 s10, s12
	s_cbranch_execz .LBB4_3948
; %bb.3947:                             ;   in Loop: Header=BB4_49 Depth=1
	global_wb scope:SCOPE_SYS
	s_wait_loadcnt 0x0
	s_wait_storecnt 0x0
	flat_store_b32 v[36:37], v116 scope:SCOPE_SYS
.LBB4_3948:                             ;   in Loop: Header=BB4_49 Depth=1
	s_wait_xcnt 0x0
	s_or_b32 exec_lo, exec_lo, s10
	v_and_b32_e32 v2, 48, v112
	s_mov_b32 s10, exec_lo
	s_delay_alu instid0(VALU_DEP_1)
	v_cmpx_ne_u32_e32 0, v2
	s_cbranch_execz .LBB4_47
; %bb.3949:                             ;   in Loop: Header=BB4_49 Depth=1
	v_add_nc_u64_e32 v[8:9], 1, v[8:9]
	global_wb scope:SCOPE_SYS
	s_wait_storecnt 0x0
	s_wait_loadcnt_dscnt 0x0
	flat_store_b64 v[22:23], v[8:9] scope:SCOPE_SYS
	s_branch .LBB4_47
.LBB4_3950:
	s_or_b32 exec_lo, exec_lo, s22
	v_mov_b32_e32 v10, v104
.LBB4_3951:
	s_or_b32 exec_lo, exec_lo, s21
                                        ; implicit-def: $vgpr18_vgpr19
                                        ; implicit-def: $vgpr4_vgpr5
                                        ; implicit-def: $vgpr24
                                        ; implicit-def: $vgpr32_vgpr33
                                        ; implicit-def: $vgpr26_vgpr27
                                        ; implicit-def: $vgpr22_vgpr23
                                        ; implicit-def: $vgpr0
                                        ; implicit-def: $vgpr50
                                        ; implicit-def: $vgpr34_vgpr35
.LBB4_3952:
	s_and_not1_saveexec_b32 s16, s13
	s_cbranch_execz .LBB4_7848
; %bb.3953:
	v_mov_b64_e32 v[28:29], 0
	s_mov_b32 s17, exec_lo
	v_cmpx_ne_u64_e32 0, v[4:5]
	s_cbranch_execz .LBB4_7847
; %bb.3954:
	v_dual_ashrrev_i32 v25, 31, v24 :: v_dual_bitop2_b32 v2, 31, v31 bitop3:0x40
	v_dual_lshrrev_b32 v98, 5, v0 :: v_dual_mov_b32 v92, v10
	v_dual_mov_b32 v37, 0 :: v_dual_bitop2_b32 v99, 31, v0 bitop3:0x40
	s_delay_alu instid0(VALU_DEP_3) | instskip(NEXT) | instid1(VALU_DEP_3)
	v_cmp_eq_u32_e64 s4, 0, v2
	v_dual_lshlrev_b32 v2, 10, v98 :: v_dual_lshrrev_b32 v38, 5, v1
	s_ashr_i32 s2, s19, 31
	v_mov_b64_e32 v[90:91], v[94:95]
	s_lshr_b32 s2, s2, 24
	v_cmp_eq_u32_e32 vcc_lo, 32, v1
	v_mov_b64_e32 v[64:65], 0
	v_mov_b64_e32 v[28:29], 0
	v_cmp_ge_u32_e64 s1, v0, v1
	s_add_co_i32 s7, s19, s2
	v_cmp_ne_u32_e64 s2, 32, v1
	v_cmp_ne_u32_e64 s3, v1, v10
	v_dual_mov_b32 v39, v37 :: v_dual_mov_b32 v49, v37
	v_cmp_le_u32_e64 s5, v99, v50
	v_cmp_eq_u32_e64 s6, 0, v99
	v_lshl_or_b32 v48, v99, 4, v2
	v_dual_mov_b32 v51, v37 :: v_dual_lshlrev_b32 v50, 10, v38
	v_dual_mov_b32 v53, v37 :: v_dual_lshlrev_b32 v52, 9, v38
	v_and_b32_e32 v54, 0x1fe0, v1
	v_dual_mov_b32 v55, v37 :: v_dual_mov_b32 v100, 1
	v_bfrev_b32_e32 v101, 1
	s_mov_b64 s[12:13], 0xffffffffffffff
	s_mov_b64 s[14:15], 0x100000000000000
	s_ashr_i32 s22, s7, 8
	s_mov_b32 s21, 0
	s_xor_b32 s23, vcc_lo, -1
	s_trap 2
	s_branch .LBB4_3957
.LBB4_3955:                             ;   in Loop: Header=BB4_3957 Depth=1
	s_wait_xcnt 0x0
	s_or_b32 exec_lo, exec_lo, s7
.LBB4_3956:                             ;   in Loop: Header=BB4_3957 Depth=1
	s_delay_alu instid0(SALU_CYCLE_1) | instskip(SKIP_1) | instid1(VALU_DEP_1)
	s_or_b32 exec_lo, exec_lo, s10
	v_add_nc_u64_e32 v[64:65], v[64:65], v[34:35]
	v_cmp_ge_u64_e32 vcc_lo, v[64:65], v[4:5]
	s_or_b32 s21, vcc_lo, s21
	s_delay_alu instid0(SALU_CYCLE_1)
	s_and_not1_b32 exec_lo, exec_lo, s21
	s_cbranch_execz .LBB4_7846
.LBB4_3957:                             ; =>This Loop Header: Depth=1
                                        ;     Child Loop BB4_3965 Depth 2
                                        ;     Child Loop BB4_3990 Depth 2
	;; [unrolled: 1-line block ×10, first 2 shown]
	v_sub_nc_u64_e32 v[2:3], v[4:5], v[64:65]
	s_delay_alu instid0(VALU_DEP_1) | instskip(NEXT) | instid1(VALU_DEP_1)
	v_min_u64 v[66:67], v[34:35], v[2:3]
	v_add_nc_u32_e32 v2, 15, v66
	s_delay_alu instid0(VALU_DEP_2) | instskip(NEXT) | instid1(VALU_DEP_2)
	v_cmp_eq_u64_e32 vcc_lo, 0, v[66:67]
	v_and_b32_e32 v2, 0x7ffffff0, v2
	s_or_b32 s24, s1, vcc_lo
	s_delay_alu instid0(SALU_CYCLE_1) | instskip(NEXT) | instid1(VALU_DEP_1)
	s_xor_b32 s7, s24, -1
	v_dual_mov_b32 v2, v37 :: v_dual_max_i32 v67, s22, v2
	s_and_saveexec_b32 s25, s7
	s_cbranch_execz .LBB4_7800
; %bb.3958:                             ;   in Loop: Header=BB4_3957 Depth=1
	s_and_saveexec_b32 s7, s0
	s_cbranch_execz .LBB4_3960
; %bb.3959:                             ;   in Loop: Header=BB4_3957 Depth=1
	s_trap 2
	ds_load_b64 v[2:3], v0
	ds_load_2addr_b64 v[10:13], v0 offset1:1
	v_add_nc_u64_e32 v[14:15], v[64:65], v[18:19]
	s_wait_dscnt 0x1
	s_delay_alu instid0(VALU_DEP_1) | instskip(SKIP_4) | instid1(VALU_DEP_4)
	v_add_nc_u64_e32 v[16:17], v[2:3], v[14:15]
	v_cmp_ne_u64_e32 vcc_lo, 0, v[2:3]
	s_wait_dscnt 0x0
	v_add_nc_u64_e32 v[2:3], v[10:11], v[14:15]
	v_add_nc_u64_e32 v[10:11], v[12:13], v[14:15]
	v_dual_cndmask_b32 v13, 0, v17 :: v_dual_cndmask_b32 v12, 0, v16
	ds_store_b64 v0, v[2:3]
	ds_store_b64 v0, v[10:11]
	;; [unrolled: 1-line block ×3, first 2 shown]
.LBB4_3960:                             ;   in Loop: Header=BB4_3957 Depth=1
	s_or_b32 exec_lo, exec_lo, s7
	v_and_b32_e32 v2, 4, v112
	s_mov_b32 s10, exec_lo
	s_delay_alu instid0(VALU_DEP_1)
	v_cmpx_ne_u32_e32 0, v2
	s_cbranch_execz .LBB4_3982
; %bb.3961:                             ;   in Loop: Header=BB4_3957 Depth=1
	v_add_nc_u64_e32 v[10:11], 1, v[8:9]
	s_mov_b32 s11, exec_lo
	s_wait_loadcnt 0x0
	s_delay_alu instid0(VALU_DEP_1)
	v_cmpx_lt_u64_e64 v[32:33], v[10:11]
	s_cbranch_execz .LBB4_3973
; %bb.3962:                             ;   in Loop: Header=BB4_3957 Depth=1
	v_and_b32_e32 v2, 64, v112
	s_mov_b32 s26, 0
	s_mov_b32 s40, 0
                                        ; implicit-def: $sgpr27
                                        ; implicit-def: $sgpr28
                                        ; implicit-def: $sgpr29
	s_delay_alu instid0(VALU_DEP_1)
	v_cmp_eq_u32_e32 vcc_lo, 0, v2
	s_branch .LBB4_3965
.LBB4_3963:                             ;   in Loop: Header=BB4_3965 Depth=2
	s_or_b32 exec_lo, exec_lo, s45
	s_delay_alu instid0(SALU_CYCLE_1)
	s_and_not1_b32 s7, s29, exec_lo
	s_and_b32 s29, s43, exec_lo
	s_and_not1_b32 s28, s28, exec_lo
	s_and_b32 s42, s42, exec_lo
	s_or_b32 s29, s7, s29
	s_or_b32 s28, s28, s42
.LBB4_3964:                             ;   in Loop: Header=BB4_3965 Depth=2
	s_or_b32 exec_lo, exec_lo, s41
	s_delay_alu instid0(SALU_CYCLE_1) | instskip(NEXT) | instid1(SALU_CYCLE_1)
	s_and_b32 s7, exec_lo, s28
	s_or_b32 s26, s7, s26
	s_and_not1_b32 s7, s27, exec_lo
	s_and_b32 s27, s29, exec_lo
	s_delay_alu instid0(SALU_CYCLE_1)
	s_or_b32 s27, s7, s27
	s_and_not1_b32 exec_lo, exec_lo, s26
	s_cbranch_execz .LBB4_3970
.LBB4_3965:                             ;   Parent Loop BB4_3957 Depth=1
                                        ; =>  This Inner Loop Header: Depth=2
	s_sleep 1
	s_wait_loadcnt_dscnt 0x0
	flat_load_b64 v[32:33], v[22:23] scope:SCOPE_SYS
	s_or_b32 s29, s29, exec_lo
	s_or_b32 s28, s28, exec_lo
                                        ; implicit-def: $vgpr2
	s_wait_xcnt 0x0
	s_and_saveexec_b32 s41, vcc_lo
	s_cbranch_execz .LBB4_3964
; %bb.3966:                             ;   in Loop: Header=BB4_3965 Depth=2
	s_cmp_lt_i32 s40, 0x270f
	s_mov_b32 s42, -1
	s_cselect_b32 s44, -1, 0
	s_cmp_gt_i32 s40, 0x270e
	s_cbranch_scc0 .LBB4_3968
; %bb.3967:                             ;   in Loop: Header=BB4_3965 Depth=2
	s_trap 2
	ds_load_b64 v[2:3], v0
	s_and_not1_b32 s40, s44, exec_lo
	s_mov_b32 s43, 0
	s_wait_storecnt 0x0
	s_wait_loadcnt_dscnt 0x0
	flat_load_b32 v2, v[2:3] scope:SCOPE_SYS
	s_wait_loadcnt_dscnt 0x0
	global_inv scope:SCOPE_SYS
	v_cmp_eq_u32_e64 s7, 0, v2
	s_and_b32 s7, s7, exec_lo
	s_delay_alu instid0(SALU_CYCLE_1)
	s_or_b32 s44, s40, s7
	s_mov_b32 s40, 0
	s_and_saveexec_b32 s45, s44
	s_cbranch_execz .LBB4_3963
	s_branch .LBB4_3969
.LBB4_3968:                             ;   in Loop: Header=BB4_3965 Depth=2
	s_add_co_i32 s40, s40, 1
	s_mov_b32 s43, -1
                                        ; implicit-def: $vgpr2
	s_and_saveexec_b32 s45, s44
	s_cbranch_execz .LBB4_3963
.LBB4_3969:                             ;   in Loop: Header=BB4_3965 Depth=2
	s_wait_loadcnt_dscnt 0x0
	v_cmp_ge_u64_e64 s7, v[32:33], v[10:11]
	s_or_b32 s43, s43, exec_lo
	s_or_not1_b32 s42, s7, exec_lo
	s_branch .LBB4_3963
.LBB4_3970:                             ;   in Loop: Header=BB4_3957 Depth=1
	s_or_b32 exec_lo, exec_lo, s26
	s_xor_b32 s7, s27, -1
	s_delay_alu instid0(SALU_CYCLE_1) | instskip(NEXT) | instid1(SALU_CYCLE_1)
	s_and_saveexec_b32 s26, s7
	s_xor_b32 s7, exec_lo, s26
	s_cbranch_execz .LBB4_3972
; %bb.3971:                             ;   in Loop: Header=BB4_3957 Depth=1
	v_or_b32_e32 v112, 64, v112
	s_wait_storecnt 0x0
	s_wait_loadcnt_dscnt 0x0
	ds_store_b32 v0, v2
	s_trap 2
.LBB4_3972:                             ;   in Loop: Header=BB4_3957 Depth=1
	s_or_b32 exec_lo, exec_lo, s7
.LBB4_3973:                             ;   in Loop: Header=BB4_3957 Depth=1
	s_delay_alu instid0(SALU_CYCLE_1)
	s_or_b32 exec_lo, exec_lo, s11
	v_and_b32_e32 v2, 0x100, v112
	v_and_b32_e32 v36, 7, v8
	s_mov_b32 s7, -1
	s_mov_b32 s11, exec_lo
	;;#ASMSTART
	s_wakeup
	;;#ASMEND
                                        ; implicit-def: $vgpr8_vgpr9
	v_cmpx_ne_u32_e32 0, v2
	s_cbranch_execz .LBB4_3977
; %bb.3974:                             ;   in Loop: Header=BB4_3957 Depth=1
	v_mad_nc_u64_u32 v[12:13], v36, 24, v[6:7]
	s_mov_b32 s26, exec_lo
                                        ; implicit-def: $vgpr8_vgpr9
	flat_load_b32 v2, v[12:13]
	s_wait_loadcnt_dscnt 0x0
	v_cmp_ne_u32_e32 vcc_lo, 1, v2
	s_wait_xcnt 0x0
	v_cmpx_eq_u32_e32 1, v2
	s_cbranch_execz .LBB4_3976
; %bb.3975:                             ;   in Loop: Header=BB4_3957 Depth=1
	flat_load_b32 v8, v[12:13] offset:4 scope:SCOPE_SYS
	s_wait_loadcnt_dscnt 0x0
	v_ashrrev_i32_e32 v9, 31, v8
.LBB4_3976:                             ;   in Loop: Header=BB4_3957 Depth=1
	s_wait_xcnt 0x0
	s_or_b32 exec_lo, exec_lo, s26
	s_delay_alu instid0(SALU_CYCLE_1)
	s_or_not1_b32 s7, vcc_lo, exec_lo
.LBB4_3977:                             ;   in Loop: Header=BB4_3957 Depth=1
	s_or_b32 exec_lo, exec_lo, s11
	s_and_saveexec_b32 s11, s7
; %bb.3978:                             ;   in Loop: Header=BB4_3957 Depth=1
	v_mul_u64_e32 v[8:9], v[36:37], v[24:25]
; %bb.3979:                             ;   in Loop: Header=BB4_3957 Depth=1
	s_or_b32 exec_lo, exec_lo, s11
	s_delay_alu instid0(VALU_DEP_1)
	v_add_nc_u64_e32 v[2:3], v[26:27], v[8:9]
	v_and_b32_e32 v12, 0x2000, v112
	s_mov_b32 s7, exec_lo
	ds_store_b64 v0, v[2:3] offset:728
	v_cmpx_ne_u32_e32 0, v12
	s_cbranch_execz .LBB4_3981
; %bb.3980:                             ;   in Loop: Header=BB4_3957 Depth=1
	ds_load_b64 v[2:3], v0 offset:872
	s_wait_dscnt 0x0
	v_add_nc_u64_e32 v[2:3], 1, v[2:3]
	ds_store_b64 v0, v[2:3] offset:872
.LBB4_3981:                             ;   in Loop: Header=BB4_3957 Depth=1
	s_or_b32 exec_lo, exec_lo, s7
	v_mov_b64_e32 v[8:9], v[10:11]
.LBB4_3982:                             ;   in Loop: Header=BB4_3957 Depth=1
	s_or_b32 exec_lo, exec_lo, s10
	s_and_saveexec_b32 s7, s2
	s_cbranch_execz .LBB4_4001
; %bb.3983:                             ;   in Loop: Header=BB4_3957 Depth=1
	s_and_saveexec_b32 s10, s3
	s_delay_alu instid0(SALU_CYCLE_1)
	s_xor_b32 s10, exec_lo, s10
	s_cbranch_execz .LBB4_3998
; %bb.3984:                             ;   in Loop: Header=BB4_3957 Depth=1
	s_and_saveexec_b32 s11, s4
	s_cbranch_execz .LBB4_3997
; %bb.3985:                             ;   in Loop: Header=BB4_3957 Depth=1
	s_mov_b32 s27, exec_lo
	s_mov_b32 s26, exec_lo
	v_mbcnt_lo_u32_b32 v2, s27, 0
	global_wb scope:SCOPE_DEV
	s_wait_storecnt 0x0
	s_wait_loadcnt_dscnt 0x0
	global_inv scope:SCOPE_DEV
	v_cmpx_eq_u32_e32 0, v2
	s_cbranch_execz .LBB4_3987
; %bb.3986:                             ;   in Loop: Header=BB4_3957 Depth=1
	s_bcnt1_i32_b32 s27, s27
	s_delay_alu instid0(SALU_CYCLE_1)
	v_mov_b32_e32 v36, s27
	s_wait_loadcnt 0x0
	ds_add_u64 v0, v[36:37]
	s_trap 2
.LBB4_3987:                             ;   in Loop: Header=BB4_3957 Depth=1
	s_or_b32 exec_lo, exec_lo, s26
	s_trap 2
	ds_load_b64 v[2:3], v0
	s_wait_dscnt 0x0
	v_add_nc_u64_e32 v[28:29], v[28:29], v[38:39]
	s_mov_b32 s26, exec_lo
	s_delay_alu instid0(VALU_DEP_1)
	v_cmpx_lt_u64_e64 v[2:3], v[28:29]
	s_cbranch_execz .LBB4_3996
; %bb.3988:                             ;   in Loop: Header=BB4_3957 Depth=1
	s_mov_b32 s27, 0
	s_mov_b32 s40, 0
                                        ; implicit-def: $sgpr28
                                        ; implicit-def: $sgpr29
	s_branch .LBB4_3990
.LBB4_3989:                             ;   in Loop: Header=BB4_3990 Depth=2
	s_or_b32 exec_lo, exec_lo, s42
	s_delay_alu instid0(SALU_CYCLE_1) | instskip(NEXT) | instid1(SALU_CYCLE_1)
	s_and_b32 s41, exec_lo, s43
	s_or_b32 s27, s41, s27
	s_and_not1_b32 s28, s28, exec_lo
	s_and_b32 s41, s29, exec_lo
	s_delay_alu instid0(SALU_CYCLE_1)
	s_or_b32 s28, s28, s41
	s_and_not1_b32 exec_lo, exec_lo, s27
	s_cbranch_execz .LBB4_3994
.LBB4_3990:                             ;   Parent Loop BB4_3957 Depth=1
                                        ; =>  This Inner Loop Header: Depth=2
	s_add_co_i32 s40, s40, 1
	s_delay_alu instid0(SALU_CYCLE_1) | instskip(SKIP_1) | instid1(SALU_CYCLE_1)
	s_cmp_lg_u32 s40, 0x2710
	s_cselect_b32 s41, -1, 0
	s_and_b32 vcc_lo, exec_lo, s41
	s_cbranch_vccz .LBB4_3992
; %bb.3991:                             ;   in Loop: Header=BB4_3990 Depth=2
	s_mov_b32 s43, -1
	s_or_b32 s29, s29, exec_lo
	s_and_saveexec_b32 s42, s41
	s_cbranch_execz .LBB4_3989
	s_branch .LBB4_3993
.LBB4_3992:                             ;   in Loop: Header=BB4_3990 Depth=2
	s_trap 2
	ds_load_b64 v[2:3], v0
	s_and_not1_b32 s41, s41, exec_lo
	s_mov_b32 s40, 0
	s_wait_loadcnt_dscnt 0x0
	flat_load_b32 v2, v[2:3] scope:SCOPE_SYS
	s_wait_loadcnt_dscnt 0x0
	global_inv scope:SCOPE_SYS
	v_cmp_eq_u32_e32 vcc_lo, 0, v2
	s_and_b32 s42, vcc_lo, exec_lo
	s_delay_alu instid0(SALU_CYCLE_1)
	s_or_b32 s41, s41, s42
	s_mov_b32 s43, -1
	s_or_b32 s29, s29, exec_lo
	s_and_saveexec_b32 s42, s41
	s_cbranch_execz .LBB4_3989
.LBB4_3993:                             ;   in Loop: Header=BB4_3990 Depth=2
	s_sleep 1
	s_trap 2
	ds_load_b64 v[2:3], v0
	s_wait_dscnt 0x0
	s_and_not1_b32 s29, s29, exec_lo
	v_cmp_ge_u64_e32 vcc_lo, v[2:3], v[28:29]
	s_or_not1_b32 s43, vcc_lo, exec_lo
	s_branch .LBB4_3989
.LBB4_3994:                             ;   in Loop: Header=BB4_3957 Depth=1
	s_or_b32 exec_lo, exec_lo, s27
	s_and_saveexec_b32 s27, s28
	s_delay_alu instid0(SALU_CYCLE_1)
	s_xor_b32 s27, exec_lo, s27
	s_cbranch_execz .LBB4_3996
; %bb.3995:                             ;   in Loop: Header=BB4_3957 Depth=1
	ds_store_b32 v0, v100
	s_trap 2
.LBB4_3996:                             ;   in Loop: Header=BB4_3957 Depth=1
	s_or_b32 exec_lo, exec_lo, s26
	;;#ASMSTART
	s_wakeup
	;;#ASMEND
.LBB4_3997:                             ;   in Loop: Header=BB4_3957 Depth=1
	s_or_b32 exec_lo, exec_lo, s11
.LBB4_3998:                             ;   in Loop: Header=BB4_3957 Depth=1
	s_and_not1_saveexec_b32 s10, s10
	s_cbranch_execz .LBB4_4000
; %bb.3999:                             ;   in Loop: Header=BB4_3957 Depth=1
	global_wb scope:SCOPE_DEV
	s_wait_storecnt 0x0
	s_wait_loadcnt_dscnt 0x0
	global_inv scope:SCOPE_DEV
	s_barrier_signal -1
	s_barrier_wait -1
.LBB4_4000:                             ;   in Loop: Header=BB4_3957 Depth=1
	s_or_b32 exec_lo, exec_lo, s10
.LBB4_4001:                             ;   in Loop: Header=BB4_3957 Depth=1
	s_delay_alu instid0(SALU_CYCLE_1) | instskip(SKIP_3) | instid1(VALU_DEP_1)
	s_or_b32 exec_lo, exec_lo, s7
	s_trap 2
	ds_load_b32 v2, v0
	v_and_b32_e32 v3, 0x4000, v112
	v_cmp_ne_u32_e32 vcc_lo, 0, v3
	s_and_b32 s10, s23, vcc_lo
	s_delay_alu instid0(SALU_CYCLE_1)
	s_and_saveexec_b32 s7, s10
	s_cbranch_execz .LBB4_4020
; %bb.4002:                             ;   in Loop: Header=BB4_3957 Depth=1
	s_and_saveexec_b32 s10, s3
	s_delay_alu instid0(SALU_CYCLE_1)
	s_xor_b32 s10, exec_lo, s10
	s_cbranch_execz .LBB4_4017
; %bb.4003:                             ;   in Loop: Header=BB4_3957 Depth=1
	s_and_saveexec_b32 s11, s4
	s_cbranch_execz .LBB4_4016
; %bb.4004:                             ;   in Loop: Header=BB4_3957 Depth=1
	s_mov_b32 s27, exec_lo
	s_mov_b32 s26, exec_lo
	v_mbcnt_lo_u32_b32 v3, s27, 0
	global_wb scope:SCOPE_DEV
	s_wait_storecnt 0x0
	s_wait_loadcnt_dscnt 0x0
	global_inv scope:SCOPE_DEV
	v_cmpx_eq_u32_e32 0, v3
	s_cbranch_execz .LBB4_4006
; %bb.4005:                             ;   in Loop: Header=BB4_3957 Depth=1
	s_bcnt1_i32_b32 s27, s27
	s_delay_alu instid0(SALU_CYCLE_1)
	v_mov_b32_e32 v36, s27
	s_wait_loadcnt 0x0
	ds_add_u64 v0, v[36:37]
	s_trap 2
.LBB4_4006:                             ;   in Loop: Header=BB4_3957 Depth=1
	s_or_b32 exec_lo, exec_lo, s26
	s_trap 2
	ds_load_b64 v[10:11], v0
	s_wait_dscnt 0x0
	v_add_nc_u64_e32 v[28:29], v[28:29], v[38:39]
	s_mov_b32 s26, exec_lo
	s_delay_alu instid0(VALU_DEP_1)
	v_cmpx_lt_u64_e64 v[10:11], v[28:29]
	s_cbranch_execz .LBB4_4015
; %bb.4007:                             ;   in Loop: Header=BB4_3957 Depth=1
	s_mov_b32 s27, 0
	s_mov_b32 s40, 0
                                        ; implicit-def: $sgpr28
                                        ; implicit-def: $sgpr29
	s_branch .LBB4_4009
.LBB4_4008:                             ;   in Loop: Header=BB4_4009 Depth=2
	s_or_b32 exec_lo, exec_lo, s42
	s_delay_alu instid0(SALU_CYCLE_1) | instskip(NEXT) | instid1(SALU_CYCLE_1)
	s_and_b32 s41, exec_lo, s43
	s_or_b32 s27, s41, s27
	s_and_not1_b32 s28, s28, exec_lo
	s_and_b32 s41, s29, exec_lo
	s_delay_alu instid0(SALU_CYCLE_1)
	s_or_b32 s28, s28, s41
	s_and_not1_b32 exec_lo, exec_lo, s27
	s_cbranch_execz .LBB4_4013
.LBB4_4009:                             ;   Parent Loop BB4_3957 Depth=1
                                        ; =>  This Inner Loop Header: Depth=2
	s_add_co_i32 s40, s40, 1
	s_delay_alu instid0(SALU_CYCLE_1) | instskip(SKIP_1) | instid1(SALU_CYCLE_1)
	s_cmp_lg_u32 s40, 0x2710
	s_cselect_b32 s41, -1, 0
	s_and_b32 vcc_lo, exec_lo, s41
	s_cbranch_vccz .LBB4_4011
; %bb.4010:                             ;   in Loop: Header=BB4_4009 Depth=2
	s_mov_b32 s43, -1
	s_or_b32 s29, s29, exec_lo
	s_and_saveexec_b32 s42, s41
	s_cbranch_execz .LBB4_4008
	s_branch .LBB4_4012
.LBB4_4011:                             ;   in Loop: Header=BB4_4009 Depth=2
	s_trap 2
	ds_load_b64 v[10:11], v0
	s_and_not1_b32 s41, s41, exec_lo
	s_mov_b32 s40, 0
	s_wait_loadcnt_dscnt 0x0
	flat_load_b32 v3, v[10:11] scope:SCOPE_SYS
	s_wait_loadcnt_dscnt 0x0
	global_inv scope:SCOPE_SYS
	v_cmp_eq_u32_e32 vcc_lo, 0, v3
	s_and_b32 s42, vcc_lo, exec_lo
	s_delay_alu instid0(SALU_CYCLE_1)
	s_or_b32 s41, s41, s42
	s_mov_b32 s43, -1
	s_or_b32 s29, s29, exec_lo
	s_and_saveexec_b32 s42, s41
	s_cbranch_execz .LBB4_4008
.LBB4_4012:                             ;   in Loop: Header=BB4_4009 Depth=2
	s_sleep 1
	s_trap 2
	ds_load_b64 v[10:11], v0
	s_wait_dscnt 0x0
	s_and_not1_b32 s29, s29, exec_lo
	v_cmp_ge_u64_e32 vcc_lo, v[10:11], v[28:29]
	s_or_not1_b32 s43, vcc_lo, exec_lo
	s_branch .LBB4_4008
.LBB4_4013:                             ;   in Loop: Header=BB4_3957 Depth=1
	s_or_b32 exec_lo, exec_lo, s27
	s_and_saveexec_b32 s27, s28
	s_delay_alu instid0(SALU_CYCLE_1)
	s_xor_b32 s27, exec_lo, s27
	s_cbranch_execz .LBB4_4015
; %bb.4014:                             ;   in Loop: Header=BB4_3957 Depth=1
	ds_store_b32 v0, v100
	s_trap 2
.LBB4_4015:                             ;   in Loop: Header=BB4_3957 Depth=1
	s_or_b32 exec_lo, exec_lo, s26
	;;#ASMSTART
	s_wakeup
	;;#ASMEND
.LBB4_4016:                             ;   in Loop: Header=BB4_3957 Depth=1
	s_or_b32 exec_lo, exec_lo, s11
.LBB4_4017:                             ;   in Loop: Header=BB4_3957 Depth=1
	s_and_not1_saveexec_b32 s10, s10
	s_cbranch_execz .LBB4_4019
; %bb.4018:                             ;   in Loop: Header=BB4_3957 Depth=1
	global_wb scope:SCOPE_DEV
	s_wait_storecnt 0x0
	s_wait_loadcnt_dscnt 0x0
	global_inv scope:SCOPE_DEV
	s_barrier_signal -1
	s_barrier_wait -1
.LBB4_4019:                             ;   in Loop: Header=BB4_3957 Depth=1
	s_or_b32 exec_lo, exec_lo, s10
.LBB4_4020:                             ;   in Loop: Header=BB4_3957 Depth=1
	s_delay_alu instid0(SALU_CYCLE_1)
	s_or_b32 exec_lo, exec_lo, s7
	s_trap 2
	ds_load_b64 v[68:69], v0
	v_min_u32_e32 v67, v67, v66
	s_wait_dscnt 0x0
	v_cmp_eq_u64_e32 vcc_lo, 0, v[68:69]
	s_cbranch_vccnz .LBB4_4028
; %bb.4021:                             ;   in Loop: Header=BB4_3957 Depth=1
	s_trap 2
	ds_load_b64 v[70:71], v0
	s_wait_dscnt 0x0
	v_cmp_eq_u64_e32 vcc_lo, 0, v[70:71]
	s_cbranch_vccnz .LBB4_4028
; %bb.4022:                             ;   in Loop: Header=BB4_3957 Depth=1
	s_mov_b32 s7, -1
	s_and_saveexec_b32 s10, s5
	s_cbranch_execz .LBB4_4024
; %bb.4023:                             ;   in Loop: Header=BB4_3957 Depth=1
	ds_load_b32 v3, v0 offset:720
	s_wait_dscnt 0x0
	v_and_b32_e32 v3, 15, v3
	s_delay_alu instid0(VALU_DEP_1)
	v_cmp_eq_u32_e32 vcc_lo, 0, v3
	s_or_not1_b32 s7, vcc_lo, exec_lo
.LBB4_4024:                             ;   in Loop: Header=BB4_3957 Depth=1
	s_or_b32 exec_lo, exec_lo, s10
	s_and_saveexec_b32 s10, s6
	s_cbranch_execz .LBB4_4026
; %bb.4025:                             ;   in Loop: Header=BB4_3957 Depth=1
	ds_load_b32 v3, v0 offset:784
	s_wait_dscnt 0x0
	v_and_b32_e32 v3, 15, v3
	s_delay_alu instid0(VALU_DEP_1) | instskip(SKIP_3) | instid1(SALU_CYCLE_1)
	v_cmp_eq_u32_e32 vcc_lo, 0, v3
	s_and_b32 s11, s7, vcc_lo
	s_and_not1_b32 s7, s7, exec_lo
	s_and_b32 s11, s11, exec_lo
	s_or_b32 s7, s7, s11
.LBB4_4026:                             ;   in Loop: Header=BB4_3957 Depth=1
	s_or_b32 exec_lo, exec_lo, s10
	v_cmp_eq_u32_e32 vcc_lo, 0, v2
	s_xor_b32 s7, s7, -1
	v_mov_b32_e32 v80, 0
	v_cndmask_b32_e64 v3, 0, 1, s7
	s_mov_b32 s7, -1
	v_dual_cndmask_b32 v102, 0, v67, vcc_lo :: v_dual_mov_b32 v82, v0
	s_delay_alu instid0(VALU_DEP_2) | instskip(NEXT) | instid1(VALU_DEP_2)
	v_cmp_ne_u32_e32 vcc_lo, 0, v3
	v_mov_b32_e32 v81, v102
	s_cbranch_vccz .LBB4_4029
; %bb.4027:                             ;   in Loop: Header=BB4_3957 Depth=1
	s_and_saveexec_b32 s26, s7
	s_cbranch_execnz .LBB4_6672
	s_branch .LBB4_7776
.LBB4_4028:                             ;   in Loop: Header=BB4_3957 Depth=1
	s_mov_b32 s7, 0
	s_and_saveexec_b32 s10, s2
	s_cbranch_execnz .LBB4_7777
	s_branch .LBB4_7795
.LBB4_4029:                             ;   in Loop: Header=BB4_3957 Depth=1
	v_lshrrev_b32_e32 v2, 10, v102
	s_mov_b32 s10, exec_lo
	s_delay_alu instid0(VALU_DEP_1) | instskip(NEXT) | instid1(VALU_DEP_1)
	v_sub_nc_u32_e32 v30, v2, v98
	v_cmpx_lt_i32_e32 0, v30
	s_cbranch_execz .LBB4_5785
; %bb.4030:                             ;   in Loop: Header=BB4_3957 Depth=1
	s_trap 2
	ds_load_b64 v[2:3], v0
	v_add_nc_u64_e32 v[80:81], v[68:69], v[48:49]
	v_add_nc_u64_e32 v[82:83], v[70:71], v[48:49]
	s_wait_dscnt 0x0
	v_readfirstlane_b32 s26, v2
	v_readfirstlane_b32 s27, v3
	v_add_nc_u64_e32 v[84:85], v[2:3], v[48:49]
	s_and_b32 s7, s26, 7
	s_and_b32 s11, s26, 0x7f
	s_clz_i32_u32 s7, s7
	s_bfe_u32 s28, s26, 0x40003
	s_min_u32 s7, s7, 32
	s_delay_alu instid0(SALU_CYCLE_1)
	s_sub_co_i32 s29, s7, 28
	s_sub_co_i32 s7, 29, s7
	s_cmp_lt_u32 s11, 8
	s_cselect_b32 s7, s7, s28
	s_cselect_b32 s28, s29, 0
	s_lshl_b32 s40, s26, 24
	s_lshl_b64 s[28:29], s[26:27], s28
	s_and_b32 s27, s40, 0x80000000
	s_lshl_b32 s28, s28, 20
	s_lshl_b32 s7, s7, 23
	s_and_b32 s28, s28, 0x700000
	s_add_co_i32 s7, s7, 0x3c000000
	s_or_b32 s27, s28, s27
	s_delay_alu instid0(SALU_CYCLE_1)
	s_or_b32 s7, s7, s27
	s_cmp_lg_u32 s11, 0x7f
	s_cselect_b32 s11, s7, 0x7f800001
	s_and_b32 s27, s26, 0xff
	s_mov_b32 s26, 0
	s_and_b32 s28, 0xffff, s27
	s_branch .LBB4_4032
.LBB4_4031:                             ;   in Loop: Header=BB4_4032 Depth=2
	s_or_b32 exec_lo, exec_lo, s7
	v_lshl_or_b32 v11, v72, 8, v57
	v_dual_lshlrev_b32 v12, 16, v96 :: v_dual_lshlrev_b32 v13, 24, v97
	v_lshl_or_b32 v14, v115, 8, v103
	v_dual_lshlrev_b32 v15, 16, v118 :: v_dual_lshlrev_b32 v20, 24, v43
	;; [unrolled: 2-line block ×3, first 2 shown]
	v_or3_b32 v13, v11, v12, v13
	s_delay_alu instid0(VALU_DEP_4)
	v_or3_b32 v12, v14, v15, v20
	v_dual_lshlrev_b32 v11, 24, v87 :: v_dual_lshlrev_b32 v15, 16, v86
	v_lshl_or_b32 v20, v63, 8, v58
	v_or3_b32 v14, v21, v36, v96
	v_lshl_or_b32 v21, v46, 8, v40
	v_dual_lshlrev_b32 v16, 16, v16 :: v_dual_lshlrev_b32 v17, 24, v17
	v_lshl_or_b32 v36, v59, 8, v45
	v_dual_lshlrev_b32 v86, 16, v61 :: v_dual_lshlrev_b32 v97, 16, v44
	v_dual_lshlrev_b32 v87, 24, v73 :: v_dual_lshlrev_b32 v103, 24, v47
	v_lshl_or_b32 v96, v41, 8, v116
	v_dual_lshlrev_b32 v10, 24, v10 :: v_dual_lshlrev_b32 v3, 16, v3
	v_lshl_or_b32 v2, v2, 8, v114
	v_or3_b32 v15, v20, v15, v11
	v_sub_nc_u32_e32 v30, v30, v38
	v_or3_b32 v115, v21, v16, v17
	v_or3_b32 v114, v36, v86, v87
	;; [unrolled: 1-line block ×4, first 2 shown]
	s_clause 0x1
	global_store_b128 v[82:83], v[12:15], off th:TH_STORE_NT
	global_store_b128 v[82:83], v[114:117], off offset:512 th:TH_STORE_NT
	v_add_nc_u64_e32 v[80:81], v[80:81], v[50:51]
	v_add_nc_u64_e32 v[84:85], v[84:85], v[50:51]
	v_cmp_gt_i32_e32 vcc_lo, 1, v30
	s_wait_xcnt 0x0
	v_add_nc_u64_e32 v[82:83], v[82:83], v[50:51]
	s_or_b32 s26, vcc_lo, s26
	s_delay_alu instid0(SALU_CYCLE_1)
	s_and_not1_b32 exec_lo, exec_lo, s26
	s_cbranch_execz .LBB4_5784
.LBB4_4032:                             ;   Parent Loop BB4_3957 Depth=1
                                        ; =>  This Inner Loop Header: Depth=2
	s_cmp_lt_i32 s27, 0x80
	s_cbranch_scc1 .LBB4_4036
; %bb.4033:                             ;   in Loop: Header=BB4_4032 Depth=2
	s_cmp_eq_u32 s28, 0x80
	s_mov_b32 s7, -1
	s_cbranch_scc0 .LBB4_4035
; %bb.4034:                             ;   in Loop: Header=BB4_4032 Depth=2
	s_mov_b32 s7, 0
.LBB4_4035:                             ;   in Loop: Header=BB4_4032 Depth=2
	s_brev_b32 s29, 1
	s_branch .LBB4_4038
.LBB4_4036:                             ;   in Loop: Header=BB4_4032 Depth=2
	s_mov_b32 s7, 0
	s_brev_b32 s29, 1
	s_cbranch_execz .LBB4_4038
; %bb.4037:                             ;   in Loop: Header=BB4_4032 Depth=2
	s_cmp_lg_u32 s28, 0
	s_mov_b32 s29, 0
	s_cselect_b32 s7, -1, 0
.LBB4_4038:                             ;   in Loop: Header=BB4_4032 Depth=2
	s_delay_alu instid0(SALU_CYCLE_1)
	s_and_not1_b32 vcc_lo, exec_lo, s7
	s_cbranch_vccnz .LBB4_4040
; %bb.4039:                             ;   in Loop: Header=BB4_4032 Depth=2
	s_mov_b32 s29, s11
.LBB4_4040:                             ;   in Loop: Header=BB4_4032 Depth=2
	global_load_b128 v[10:13], v[80:81], off th:TH_LOAD_NT
	v_mov_b32_e32 v2, 0
	s_mov_b32 s7, exec_lo
	s_wait_loadcnt 0x0
	v_and_b32_e32 v3, 0xff, v10
	s_wait_xcnt 0x0
	s_delay_alu instid0(VALU_DEP_1)
	v_cmpx_ne_u16_e32 0, v3
	s_cbranch_execz .LBB4_4046
; %bb.4041:                             ;   in Loop: Header=BB4_4032 Depth=2
	v_bfrev_b32_e32 v2, 1
	s_mov_b32 s40, exec_lo
	v_cmpx_ne_u16_e32 0x80, v3
	s_cbranch_execz .LBB4_4045
; %bb.4042:                             ;   in Loop: Header=BB4_4032 Depth=2
	v_and_b32_e32 v3, 0x7f, v10
	v_mov_b32_e32 v2, 0x7f800001
	s_mov_b32 s41, exec_lo
	s_delay_alu instid0(VALU_DEP_2)
	v_cmpx_ne_u32_e32 0x7f, v3
	s_cbranch_execz .LBB4_4044
; %bb.4043:                             ;   in Loop: Header=BB4_4032 Depth=2
	v_dual_lshrrev_b32 v14, 3, v3 :: v_dual_bitop2_b32 v2, 7, v10 bitop3:0x40
	v_cmp_gt_u32_e32 vcc_lo, 8, v3
	s_delay_alu instid0(VALU_DEP_2) | instskip(NEXT) | instid1(VALU_DEP_1)
	v_clz_i32_u32_e32 v2, v2
	v_min_u32_e32 v2, 32, v2
	s_delay_alu instid0(VALU_DEP_1) | instskip(SKIP_1) | instid1(VALU_DEP_1)
	v_subrev_nc_u32_e32 v15, 28, v2
	v_sub_nc_u32_e32 v2, 29, v2
	v_dual_cndmask_b32 v14, v14, v2, vcc_lo :: v_dual_cndmask_b32 v2, 0, v15, vcc_lo
	s_delay_alu instid0(VALU_DEP_1) | instskip(NEXT) | instid1(VALU_DEP_2)
	v_lshl_add_u32 v14, v14, 23, 0x3c000000
	v_lshlrev_b64_e32 v[2:3], v2, v[10:11]
	v_lshlrev_b32_e32 v3, 24, v10
	s_delay_alu instid0(VALU_DEP_1) | instskip(NEXT) | instid1(VALU_DEP_3)
	v_and_b32_e32 v3, 0x80000000, v3
	v_lshlrev_b32_e32 v2, 20, v2
	s_delay_alu instid0(VALU_DEP_1) | instskip(NEXT) | instid1(VALU_DEP_1)
	v_and_b32_e32 v2, 0x700000, v2
	v_or3_b32 v2, v2, v3, v14
.LBB4_4044:                             ;   in Loop: Header=BB4_4032 Depth=2
	s_or_b32 exec_lo, exec_lo, s41
.LBB4_4045:                             ;   in Loop: Header=BB4_4032 Depth=2
	s_delay_alu instid0(SALU_CYCLE_1)
	s_or_b32 exec_lo, exec_lo, s40
.LBB4_4046:                             ;   in Loop: Header=BB4_4032 Depth=2
	s_delay_alu instid0(SALU_CYCLE_1) | instskip(NEXT) | instid1(VALU_DEP_1)
	s_or_b32 exec_lo, exec_lo, s7
	v_mul_f32_e32 v3, s29, v2
                                        ; implicit-def: $vgpr86
	s_mov_b32 s7, exec_lo
	s_delay_alu instid0(VALU_DEP_1) | instskip(SKIP_1) | instid1(VALU_DEP_2)
	v_and_b32_e32 v36, 0x7f800000, v3
	v_lshrrev_b32_e32 v2, 24, v3
	v_cmpx_ne_u64_e32 0x7f800000, v[36:37]
	s_xor_b32 s40, exec_lo, s7
	s_cbranch_execz .LBB4_4060
; %bb.4047:                             ;   in Loop: Header=BB4_4032 Depth=2
	v_and_b32_e32 v36, 0x7fffffff, v3
	v_and_b32_e32 v2, 0x80, v2
                                        ; implicit-def: $vgpr86
	s_mov_b32 s7, exec_lo
	s_delay_alu instid0(VALU_DEP_2)
	v_cmpx_gt_u64_e32 0x43e00001, v[36:37]
	s_xor_b32 s41, exec_lo, s7
	s_cbranch_execz .LBB4_4057
; %bb.4048:                             ;   in Loop: Header=BB4_4032 Depth=2
	v_mov_b32_e32 v86, 0
	s_mov_b32 s42, exec_lo
	v_cmpx_ne_u32_e32 0, v3
	s_cbranch_execz .LBB4_4056
; %bb.4049:                             ;   in Loop: Header=BB4_4032 Depth=2
	v_bfe_u32 v86, v3, 23, 8
	v_and_b32_e32 v3, 0x7fffff, v3
	s_delay_alu instid0(VALU_DEP_2) | instskip(SKIP_1) | instid1(VALU_DEP_3)
	v_sub_nc_u32_e32 v14, 0x79, v86
	v_cmp_gt_u32_e32 vcc_lo, 0x7a, v86
	v_or_b32_e32 v16, 0x800000, v3
	s_delay_alu instid0(VALU_DEP_3) | instskip(SKIP_1) | instid1(VALU_DEP_2)
	v_cndmask_b32_e32 v14, 0, v14, vcc_lo
	v_cmp_eq_u32_e32 vcc_lo, 0, v86
	v_cndmask_b32_e64 v87, v14, 0x78, vcc_lo
	s_delay_alu instid0(VALU_DEP_4) | instskip(NEXT) | instid1(VALU_DEP_2)
	v_cndmask_b32_e32 v36, v16, v3, vcc_lo
	v_dual_add_nc_u32 v14, 20, v87 :: v_dual_add_nc_u32 v17, 19, v87
	s_delay_alu instid0(VALU_DEP_1) | instskip(NEXT) | instid1(VALU_DEP_2)
	v_lshlrev_b64_e64 v[14:15], v14, -1
	v_lshlrev_b64_e64 v[16:17], v17, 1
	s_delay_alu instid0(VALU_DEP_2) | instskip(NEXT) | instid1(VALU_DEP_3)
	v_bfi_b32 v21, v15, 0, 0
	v_bfi_b32 v20, v14, 0, v36
	v_lshrrev_b64 v[14:15], v87, v[36:37]
	s_delay_alu instid0(VALU_DEP_2) | instskip(NEXT) | instid1(VALU_DEP_2)
	v_cmp_eq_u64_e64 s7, v[20:21], v[16:17]
	v_mov_b64_e32 v[16:17], v[14:15]
	s_and_saveexec_b32 s43, s7
; %bb.4050:                             ;   in Loop: Header=BB4_4032 Depth=2
	v_bfe_u32 v36, v14, 20, 1
	s_delay_alu instid0(VALU_DEP_1) | instskip(NEXT) | instid1(VALU_DEP_1)
	v_add_nc_u64_e32 v[16:17], v[14:15], v[36:37]
	v_add_nc_u64_e32 v[16:17], -1, v[16:17]
; %bb.4051:                             ;   in Loop: Header=BB4_4032 Depth=2
	s_or_b32 exec_lo, exec_lo, s43
	v_add_nc_u32_e32 v3, 0xffffff81, v86
	v_lshrrev_b32_e32 v15, 23, v14
	s_mov_b32 s7, exec_lo
	s_delay_alu instid0(VALU_DEP_2) | instskip(NEXT) | instid1(VALU_DEP_1)
	v_cndmask_b32_e64 v3, v3, 0xffffff82, vcc_lo
	v_add3_u32 v17, v87, v3, v15
	v_and_b32_e32 v3, 0xfffff, v16
	s_delay_alu instid0(VALU_DEP_1) | instskip(NEXT) | instid1(VALU_DEP_1)
	v_dual_add_nc_u32 v16, 6, v17 :: v_dual_add_nc_u32 v36, v3, v14
                                        ; implicit-def: $vgpr14_vgpr15
                                        ; implicit-def: $vgpr3
	v_cmpx_ne_u32_e32 0, v16
	s_xor_b32 s7, exec_lo, s7
; %bb.4052:                             ;   in Loop: Header=BB4_4032 Depth=2
	s_delay_alu instid0(VALU_DEP_2) | instskip(SKIP_2) | instid1(VALU_DEP_2)
	v_cmp_lt_u64_e32 vcc_lo, 0xffffff, v[36:37]
	v_add_nc_u32_e32 v3, 7, v17
	v_cndmask_b32_e64 v14, 0, 1, vcc_lo
	v_cndmask_b32_e32 v3, v16, v3, vcc_lo
	s_delay_alu instid0(VALU_DEP_2)
	v_lshrrev_b64 v[14:15], v14, v[36:37]
; %bb.4053:                             ;   in Loop: Header=BB4_4032 Depth=2
	s_and_not1_saveexec_b32 s7, s7
; %bb.4054:                             ;   in Loop: Header=BB4_4032 Depth=2
	v_mov_b64_e32 v[14:15], v[36:37]
	v_bfe_u32 v3, v36, 23, 1
; %bb.4055:                             ;   in Loop: Header=BB4_4032 Depth=2
	s_or_b32 exec_lo, exec_lo, s7
	s_delay_alu instid0(VALU_DEP_2) | instskip(NEXT) | instid1(VALU_DEP_2)
	v_lshrrev_b64 v[14:15], 20, v[14:15]
	v_cmp_gt_i32_e32 vcc_lo, 16, v3
	v_min_i32_e32 v16, 15, v3
	v_cmp_eq_u32_e64 s7, 0, v3
	s_delay_alu instid0(VALU_DEP_2) | instskip(SKIP_1) | instid1(VALU_DEP_2)
	v_dual_cndmask_b32 v14, 7, v14, vcc_lo :: v_dual_lshlrev_b32 v16, 3, v16
	v_cndmask_b32_e32 v15, 0, v15, vcc_lo
	v_and_b32_e32 v16, 0xf8, v16
	s_delay_alu instid0(VALU_DEP_2) | instskip(NEXT) | instid1(VALU_DEP_2)
	v_cmp_eq_u64_e32 vcc_lo, 0, v[14:15]
	v_and_or_b32 v3, v14, 7, v16
	s_and_b32 s7, s7, vcc_lo
	s_delay_alu instid0(VALU_DEP_1) | instid1(SALU_CYCLE_1)
	v_cndmask_b32_e64 v3, v3, 0, s7
	s_delay_alu instid0(VALU_DEP_1)
	v_or_b32_e32 v86, v3, v2
.LBB4_4056:                             ;   in Loop: Header=BB4_4032 Depth=2
	s_or_b32 exec_lo, exec_lo, s42
                                        ; implicit-def: $vgpr2
.LBB4_4057:                             ;   in Loop: Header=BB4_4032 Depth=2
	s_and_not1_saveexec_b32 s7, s41
; %bb.4058:                             ;   in Loop: Header=BB4_4032 Depth=2
	v_or_b32_e32 v86, 0x7e, v2
; %bb.4059:                             ;   in Loop: Header=BB4_4032 Depth=2
	s_or_b32 exec_lo, exec_lo, s7
                                        ; implicit-def: $vgpr2
.LBB4_4060:                             ;   in Loop: Header=BB4_4032 Depth=2
	s_and_not1_saveexec_b32 s7, s40
; %bb.4061:                             ;   in Loop: Header=BB4_4032 Depth=2
	v_or_b32_e32 v86, 0x7f, v2
; %bb.4062:                             ;   in Loop: Header=BB4_4032 Depth=2
	s_or_b32 exec_lo, exec_lo, s7
	v_lshrrev_b16 v3, 8, v10
	v_mov_b32_e32 v2, 0
	s_mov_b32 s7, exec_lo
	s_delay_alu instid0(VALU_DEP_2)
	v_cmpx_ne_u16_e32 0, v3
	s_cbranch_execz .LBB4_4070
; %bb.4063:                             ;   in Loop: Header=BB4_4032 Depth=2
	v_bfrev_b32_e32 v2, 1
	s_mov_b32 s40, exec_lo
	v_cmpx_ne_u16_e32 0x80, v3
	s_cbranch_execz .LBB4_4069
; %bb.4064:                             ;   in Loop: Header=BB4_4032 Depth=2
	v_and_b32_e32 v14, 0xffff, v3
	v_mov_b32_e32 v2, 0x7f800001
	s_mov_b32 s41, exec_lo
	s_delay_alu instid0(VALU_DEP_2) | instskip(NEXT) | instid1(VALU_DEP_1)
	v_and_b32_e32 v3, 0x7f, v14
	v_cmpx_ne_u32_e32 0x7f, v3
	s_cbranch_execz .LBB4_4068
; %bb.4065:                             ;   in Loop: Header=BB4_4032 Depth=2
	v_dual_lshrrev_b32 v2, 3, v3 :: v_dual_bitop2_b32 v36, 7, v14 bitop3:0x40
	s_mov_b32 s42, exec_lo
	v_cmpx_gt_u32_e32 8, v3
; %bb.4066:                             ;   in Loop: Header=BB4_4032 Depth=2
	s_delay_alu instid0(VALU_DEP_2) | instskip(NEXT) | instid1(VALU_DEP_1)
	v_clz_i32_u32_e32 v2, v36
	v_min_u32_e32 v2, 32, v2
	s_delay_alu instid0(VALU_DEP_1) | instskip(SKIP_1) | instid1(VALU_DEP_2)
	v_subrev_nc_u32_e32 v3, 28, v2
	v_sub_nc_u32_e32 v2, 29, v2
	v_lshlrev_b64_e32 v[14:15], v3, v[36:37]
	s_delay_alu instid0(VALU_DEP_1)
	v_and_b32_e32 v36, 7, v14
; %bb.4067:                             ;   in Loop: Header=BB4_4032 Depth=2
	s_or_b32 exec_lo, exec_lo, s42
	s_delay_alu instid0(VALU_DEP_1) | instskip(SKIP_1) | instid1(VALU_DEP_2)
	v_dual_lshlrev_b32 v3, 16, v10 :: v_dual_lshlrev_b32 v14, 20, v36
	v_lshl_add_u32 v2, v2, 23, 0x3c000000
	v_and_b32_e32 v3, 0x80000000, v3
	s_delay_alu instid0(VALU_DEP_1)
	v_or3_b32 v2, v14, v3, v2
.LBB4_4068:                             ;   in Loop: Header=BB4_4032 Depth=2
	s_or_b32 exec_lo, exec_lo, s41
.LBB4_4069:                             ;   in Loop: Header=BB4_4032 Depth=2
	s_delay_alu instid0(SALU_CYCLE_1)
	s_or_b32 exec_lo, exec_lo, s40
.LBB4_4070:                             ;   in Loop: Header=BB4_4032 Depth=2
	s_delay_alu instid0(SALU_CYCLE_1) | instskip(NEXT) | instid1(VALU_DEP_1)
	s_or_b32 exec_lo, exec_lo, s7
	v_mul_f32_e32 v3, s29, v2
                                        ; implicit-def: $vgpr87
	s_mov_b32 s7, exec_lo
	s_delay_alu instid0(VALU_DEP_1) | instskip(SKIP_1) | instid1(VALU_DEP_2)
	v_and_b32_e32 v36, 0x7f800000, v3
	v_lshrrev_b32_e32 v2, 24, v3
	v_cmpx_ne_u64_e32 0x7f800000, v[36:37]
	s_xor_b32 s40, exec_lo, s7
	s_cbranch_execz .LBB4_4084
; %bb.4071:                             ;   in Loop: Header=BB4_4032 Depth=2
	v_and_b32_e32 v36, 0x7fffffff, v3
	v_and_b32_e32 v2, 0x80, v2
                                        ; implicit-def: $vgpr87
	s_mov_b32 s7, exec_lo
	s_delay_alu instid0(VALU_DEP_2)
	v_cmpx_gt_u64_e32 0x43e00001, v[36:37]
	s_xor_b32 s41, exec_lo, s7
	s_cbranch_execz .LBB4_4081
; %bb.4072:                             ;   in Loop: Header=BB4_4032 Depth=2
	v_mov_b32_e32 v87, 0
	s_mov_b32 s42, exec_lo
	v_cmpx_ne_u32_e32 0, v3
	s_cbranch_execz .LBB4_4080
; %bb.4073:                             ;   in Loop: Header=BB4_4032 Depth=2
	v_bfe_u32 v87, v3, 23, 8
	v_and_b32_e32 v3, 0x7fffff, v3
	s_delay_alu instid0(VALU_DEP_2) | instskip(SKIP_1) | instid1(VALU_DEP_3)
	v_sub_nc_u32_e32 v14, 0x79, v87
	v_cmp_gt_u32_e32 vcc_lo, 0x7a, v87
	v_or_b32_e32 v16, 0x800000, v3
	s_delay_alu instid0(VALU_DEP_3) | instskip(SKIP_1) | instid1(VALU_DEP_2)
	v_cndmask_b32_e32 v14, 0, v14, vcc_lo
	v_cmp_eq_u32_e32 vcc_lo, 0, v87
	v_cndmask_b32_e64 v96, v14, 0x78, vcc_lo
	s_delay_alu instid0(VALU_DEP_1) | instskip(SKIP_1) | instid1(VALU_DEP_2)
	v_dual_cndmask_b32 v36, v16, v3, vcc_lo :: v_dual_add_nc_u32 v14, 20, v96
	v_add_nc_u32_e32 v17, 19, v96
	v_lshlrev_b64_e64 v[14:15], v14, -1
	s_delay_alu instid0(VALU_DEP_2) | instskip(NEXT) | instid1(VALU_DEP_2)
	v_lshlrev_b64_e64 v[16:17], v17, 1
	v_bfi_b32 v21, v15, 0, 0
	s_delay_alu instid0(VALU_DEP_3) | instskip(SKIP_1) | instid1(VALU_DEP_2)
	v_bfi_b32 v20, v14, 0, v36
	v_lshrrev_b64 v[14:15], v96, v[36:37]
	v_cmp_eq_u64_e64 s7, v[20:21], v[16:17]
	s_delay_alu instid0(VALU_DEP_2)
	v_mov_b64_e32 v[16:17], v[14:15]
	s_and_saveexec_b32 s43, s7
; %bb.4074:                             ;   in Loop: Header=BB4_4032 Depth=2
	v_bfe_u32 v36, v14, 20, 1
	s_delay_alu instid0(VALU_DEP_1) | instskip(NEXT) | instid1(VALU_DEP_1)
	v_add_nc_u64_e32 v[16:17], v[14:15], v[36:37]
	v_add_nc_u64_e32 v[16:17], -1, v[16:17]
; %bb.4075:                             ;   in Loop: Header=BB4_4032 Depth=2
	s_or_b32 exec_lo, exec_lo, s43
	v_add_nc_u32_e32 v3, 0xffffff81, v87
	v_lshrrev_b32_e32 v15, 23, v14
	s_mov_b32 s7, exec_lo
	s_delay_alu instid0(VALU_DEP_2) | instskip(NEXT) | instid1(VALU_DEP_1)
	v_cndmask_b32_e64 v3, v3, 0xffffff82, vcc_lo
	v_add3_u32 v17, v96, v3, v15
	v_and_b32_e32 v3, 0xfffff, v16
	s_delay_alu instid0(VALU_DEP_1) | instskip(NEXT) | instid1(VALU_DEP_1)
	v_dual_add_nc_u32 v16, 6, v17 :: v_dual_add_nc_u32 v36, v3, v14
                                        ; implicit-def: $vgpr14_vgpr15
                                        ; implicit-def: $vgpr3
	v_cmpx_ne_u32_e32 0, v16
	s_xor_b32 s7, exec_lo, s7
; %bb.4076:                             ;   in Loop: Header=BB4_4032 Depth=2
	s_delay_alu instid0(VALU_DEP_2) | instskip(SKIP_2) | instid1(VALU_DEP_2)
	v_cmp_lt_u64_e32 vcc_lo, 0xffffff, v[36:37]
	v_add_nc_u32_e32 v3, 7, v17
	v_cndmask_b32_e64 v14, 0, 1, vcc_lo
	v_cndmask_b32_e32 v3, v16, v3, vcc_lo
	s_delay_alu instid0(VALU_DEP_2)
	v_lshrrev_b64 v[14:15], v14, v[36:37]
; %bb.4077:                             ;   in Loop: Header=BB4_4032 Depth=2
	s_and_not1_saveexec_b32 s7, s7
; %bb.4078:                             ;   in Loop: Header=BB4_4032 Depth=2
	v_mov_b64_e32 v[14:15], v[36:37]
	v_bfe_u32 v3, v36, 23, 1
; %bb.4079:                             ;   in Loop: Header=BB4_4032 Depth=2
	s_or_b32 exec_lo, exec_lo, s7
	s_delay_alu instid0(VALU_DEP_2) | instskip(NEXT) | instid1(VALU_DEP_2)
	v_lshrrev_b64 v[14:15], 20, v[14:15]
	v_cmp_gt_i32_e32 vcc_lo, 16, v3
	v_min_i32_e32 v16, 15, v3
	v_cmp_eq_u32_e64 s7, 0, v3
	s_delay_alu instid0(VALU_DEP_2) | instskip(SKIP_1) | instid1(VALU_DEP_2)
	v_dual_cndmask_b32 v14, 7, v14, vcc_lo :: v_dual_lshlrev_b32 v16, 3, v16
	v_cndmask_b32_e32 v15, 0, v15, vcc_lo
	v_and_b32_e32 v16, 0xf8, v16
	s_delay_alu instid0(VALU_DEP_2) | instskip(NEXT) | instid1(VALU_DEP_2)
	v_cmp_eq_u64_e32 vcc_lo, 0, v[14:15]
	v_and_or_b32 v3, v14, 7, v16
	s_and_b32 s7, s7, vcc_lo
	s_delay_alu instid0(VALU_DEP_1) | instid1(SALU_CYCLE_1)
	v_cndmask_b32_e64 v3, v3, 0, s7
	s_delay_alu instid0(VALU_DEP_1)
	v_or_b32_e32 v87, v3, v2
.LBB4_4080:                             ;   in Loop: Header=BB4_4032 Depth=2
	s_or_b32 exec_lo, exec_lo, s42
                                        ; implicit-def: $vgpr2
.LBB4_4081:                             ;   in Loop: Header=BB4_4032 Depth=2
	s_and_not1_saveexec_b32 s7, s41
; %bb.4082:                             ;   in Loop: Header=BB4_4032 Depth=2
	v_or_b32_e32 v87, 0x7e, v2
; %bb.4083:                             ;   in Loop: Header=BB4_4032 Depth=2
	s_or_b32 exec_lo, exec_lo, s7
                                        ; implicit-def: $vgpr2
.LBB4_4084:                             ;   in Loop: Header=BB4_4032 Depth=2
	s_and_not1_saveexec_b32 s7, s40
; %bb.4085:                             ;   in Loop: Header=BB4_4032 Depth=2
	v_or_b32_e32 v87, 0x7f, v2
; %bb.4086:                             ;   in Loop: Header=BB4_4032 Depth=2
	s_or_b32 exec_lo, exec_lo, s7
	v_dual_mov_b32 v3, 0 :: v_dual_lshrrev_b32 v2, 16, v10
	s_mov_b32 s7, exec_lo
	s_delay_alu instid0(VALU_DEP_1) | instskip(NEXT) | instid1(VALU_DEP_1)
	v_and_b32_e32 v14, 0xff, v2
	v_cmpx_ne_u16_e32 0, v14
	s_cbranch_execz .LBB4_4094
; %bb.4087:                             ;   in Loop: Header=BB4_4032 Depth=2
	v_bfrev_b32_e32 v3, 1
	s_mov_b32 s40, exec_lo
	v_cmpx_ne_u16_e32 0x80, v14
	s_cbranch_execz .LBB4_4093
; %bb.4088:                             ;   in Loop: Header=BB4_4032 Depth=2
	v_bfe_u32 v14, v10, 16, 7
	v_mov_b32_e32 v3, 0x7f800001
	s_mov_b32 s41, exec_lo
	s_delay_alu instid0(VALU_DEP_2)
	v_cmpx_ne_u32_e32 0x7f, v14
	s_cbranch_execz .LBB4_4092
; %bb.4089:                             ;   in Loop: Header=BB4_4032 Depth=2
	v_and_b32_e32 v36, 7, v2
	v_lshrrev_b32_e32 v3, 3, v14
	s_mov_b32 s42, exec_lo
	v_cmpx_gt_u32_e32 8, v14
; %bb.4090:                             ;   in Loop: Header=BB4_4032 Depth=2
	s_delay_alu instid0(VALU_DEP_3) | instskip(NEXT) | instid1(VALU_DEP_1)
	v_clz_i32_u32_e32 v3, v36
	v_min_u32_e32 v3, 32, v3
	s_delay_alu instid0(VALU_DEP_1) | instskip(NEXT) | instid1(VALU_DEP_1)
	v_subrev_nc_u32_e32 v14, 28, v3
	v_lshlrev_b64_e32 v[14:15], v14, v[36:37]
	s_delay_alu instid0(VALU_DEP_1)
	v_dual_sub_nc_u32 v3, 29, v3 :: v_dual_bitop2_b32 v36, 7, v14 bitop3:0x40
; %bb.4091:                             ;   in Loop: Header=BB4_4032 Depth=2
	s_or_b32 exec_lo, exec_lo, s42
	s_delay_alu instid0(VALU_DEP_1) | instskip(NEXT) | instid1(VALU_DEP_2)
	v_dual_lshlrev_b32 v2, 24, v2 :: v_dual_lshlrev_b32 v14, 20, v36
	v_lshl_add_u32 v3, v3, 23, 0x3c000000
	s_delay_alu instid0(VALU_DEP_2) | instskip(NEXT) | instid1(VALU_DEP_1)
	v_and_b32_e32 v2, 0x80000000, v2
	v_or3_b32 v3, v14, v2, v3
.LBB4_4092:                             ;   in Loop: Header=BB4_4032 Depth=2
	s_or_b32 exec_lo, exec_lo, s41
.LBB4_4093:                             ;   in Loop: Header=BB4_4032 Depth=2
	s_delay_alu instid0(SALU_CYCLE_1)
	s_or_b32 exec_lo, exec_lo, s40
.LBB4_4094:                             ;   in Loop: Header=BB4_4032 Depth=2
	s_delay_alu instid0(SALU_CYCLE_1) | instskip(NEXT) | instid1(VALU_DEP_1)
	s_or_b32 exec_lo, exec_lo, s7
	v_mul_f32_e32 v3, s29, v3
                                        ; implicit-def: $vgpr96
	s_mov_b32 s7, exec_lo
	s_delay_alu instid0(VALU_DEP_1) | instskip(SKIP_1) | instid1(VALU_DEP_2)
	v_and_b32_e32 v36, 0x7f800000, v3
	v_lshrrev_b32_e32 v2, 24, v3
	v_cmpx_ne_u64_e32 0x7f800000, v[36:37]
	s_xor_b32 s40, exec_lo, s7
	s_cbranch_execz .LBB4_4108
; %bb.4095:                             ;   in Loop: Header=BB4_4032 Depth=2
	v_and_b32_e32 v36, 0x7fffffff, v3
	v_and_b32_e32 v2, 0x80, v2
                                        ; implicit-def: $vgpr96
	s_mov_b32 s7, exec_lo
	s_delay_alu instid0(VALU_DEP_2)
	v_cmpx_gt_u64_e32 0x43e00001, v[36:37]
	s_xor_b32 s41, exec_lo, s7
	s_cbranch_execz .LBB4_4105
; %bb.4096:                             ;   in Loop: Header=BB4_4032 Depth=2
	v_mov_b32_e32 v96, 0
	s_mov_b32 s42, exec_lo
	v_cmpx_ne_u32_e32 0, v3
	s_cbranch_execz .LBB4_4104
; %bb.4097:                             ;   in Loop: Header=BB4_4032 Depth=2
	v_bfe_u32 v96, v3, 23, 8
	v_and_b32_e32 v3, 0x7fffff, v3
	s_delay_alu instid0(VALU_DEP_2) | instskip(SKIP_1) | instid1(VALU_DEP_3)
	v_sub_nc_u32_e32 v14, 0x79, v96
	v_cmp_gt_u32_e32 vcc_lo, 0x7a, v96
	v_or_b32_e32 v16, 0x800000, v3
	s_delay_alu instid0(VALU_DEP_3) | instskip(SKIP_1) | instid1(VALU_DEP_2)
	v_cndmask_b32_e32 v14, 0, v14, vcc_lo
	v_cmp_eq_u32_e32 vcc_lo, 0, v96
	v_cndmask_b32_e64 v97, v14, 0x78, vcc_lo
	s_delay_alu instid0(VALU_DEP_1) | instskip(SKIP_1) | instid1(VALU_DEP_2)
	v_dual_cndmask_b32 v36, v16, v3, vcc_lo :: v_dual_add_nc_u32 v14, 20, v97
	v_add_nc_u32_e32 v17, 19, v97
	v_lshlrev_b64_e64 v[14:15], v14, -1
	s_delay_alu instid0(VALU_DEP_2) | instskip(NEXT) | instid1(VALU_DEP_2)
	v_lshlrev_b64_e64 v[16:17], v17, 1
	v_bfi_b32 v21, v15, 0, 0
	s_delay_alu instid0(VALU_DEP_3) | instskip(SKIP_1) | instid1(VALU_DEP_2)
	v_bfi_b32 v20, v14, 0, v36
	v_lshrrev_b64 v[14:15], v97, v[36:37]
	v_cmp_eq_u64_e64 s7, v[20:21], v[16:17]
	s_delay_alu instid0(VALU_DEP_2)
	v_mov_b64_e32 v[16:17], v[14:15]
	s_and_saveexec_b32 s43, s7
; %bb.4098:                             ;   in Loop: Header=BB4_4032 Depth=2
	v_bfe_u32 v36, v14, 20, 1
	s_delay_alu instid0(VALU_DEP_1) | instskip(NEXT) | instid1(VALU_DEP_1)
	v_add_nc_u64_e32 v[16:17], v[14:15], v[36:37]
	v_add_nc_u64_e32 v[16:17], -1, v[16:17]
; %bb.4099:                             ;   in Loop: Header=BB4_4032 Depth=2
	s_or_b32 exec_lo, exec_lo, s43
	v_add_nc_u32_e32 v3, 0xffffff81, v96
	v_lshrrev_b32_e32 v15, 23, v14
	s_mov_b32 s7, exec_lo
	s_delay_alu instid0(VALU_DEP_2) | instskip(NEXT) | instid1(VALU_DEP_1)
	v_cndmask_b32_e64 v3, v3, 0xffffff82, vcc_lo
	v_add3_u32 v17, v97, v3, v15
	v_and_b32_e32 v3, 0xfffff, v16
	s_delay_alu instid0(VALU_DEP_1) | instskip(NEXT) | instid1(VALU_DEP_1)
	v_dual_add_nc_u32 v16, 6, v17 :: v_dual_add_nc_u32 v36, v3, v14
                                        ; implicit-def: $vgpr14_vgpr15
                                        ; implicit-def: $vgpr3
	v_cmpx_ne_u32_e32 0, v16
	s_xor_b32 s7, exec_lo, s7
; %bb.4100:                             ;   in Loop: Header=BB4_4032 Depth=2
	s_delay_alu instid0(VALU_DEP_2) | instskip(SKIP_2) | instid1(VALU_DEP_2)
	v_cmp_lt_u64_e32 vcc_lo, 0xffffff, v[36:37]
	v_add_nc_u32_e32 v3, 7, v17
	v_cndmask_b32_e64 v14, 0, 1, vcc_lo
	v_cndmask_b32_e32 v3, v16, v3, vcc_lo
	s_delay_alu instid0(VALU_DEP_2)
	v_lshrrev_b64 v[14:15], v14, v[36:37]
; %bb.4101:                             ;   in Loop: Header=BB4_4032 Depth=2
	s_and_not1_saveexec_b32 s7, s7
; %bb.4102:                             ;   in Loop: Header=BB4_4032 Depth=2
	v_mov_b64_e32 v[14:15], v[36:37]
	v_bfe_u32 v3, v36, 23, 1
; %bb.4103:                             ;   in Loop: Header=BB4_4032 Depth=2
	s_or_b32 exec_lo, exec_lo, s7
	s_delay_alu instid0(VALU_DEP_2) | instskip(NEXT) | instid1(VALU_DEP_2)
	v_lshrrev_b64 v[14:15], 20, v[14:15]
	v_cmp_gt_i32_e32 vcc_lo, 16, v3
	v_min_i32_e32 v16, 15, v3
	v_cmp_eq_u32_e64 s7, 0, v3
	s_delay_alu instid0(VALU_DEP_2) | instskip(SKIP_1) | instid1(VALU_DEP_2)
	v_dual_cndmask_b32 v14, 7, v14, vcc_lo :: v_dual_lshlrev_b32 v16, 3, v16
	v_cndmask_b32_e32 v15, 0, v15, vcc_lo
	v_and_b32_e32 v16, 0xf8, v16
	s_delay_alu instid0(VALU_DEP_2) | instskip(NEXT) | instid1(VALU_DEP_2)
	v_cmp_eq_u64_e32 vcc_lo, 0, v[14:15]
	v_and_or_b32 v3, v14, 7, v16
	s_and_b32 s7, s7, vcc_lo
	s_delay_alu instid0(VALU_DEP_1) | instid1(SALU_CYCLE_1)
	v_cndmask_b32_e64 v3, v3, 0, s7
	s_delay_alu instid0(VALU_DEP_1)
	v_or_b32_e32 v96, v3, v2
.LBB4_4104:                             ;   in Loop: Header=BB4_4032 Depth=2
	s_or_b32 exec_lo, exec_lo, s42
                                        ; implicit-def: $vgpr2
.LBB4_4105:                             ;   in Loop: Header=BB4_4032 Depth=2
	s_and_not1_saveexec_b32 s7, s41
; %bb.4106:                             ;   in Loop: Header=BB4_4032 Depth=2
	v_or_b32_e32 v96, 0x7e, v2
; %bb.4107:                             ;   in Loop: Header=BB4_4032 Depth=2
	s_or_b32 exec_lo, exec_lo, s7
                                        ; implicit-def: $vgpr2
.LBB4_4108:                             ;   in Loop: Header=BB4_4032 Depth=2
	s_and_not1_saveexec_b32 s7, s40
; %bb.4109:                             ;   in Loop: Header=BB4_4032 Depth=2
	v_or_b32_e32 v96, 0x7f, v2
; %bb.4110:                             ;   in Loop: Header=BB4_4032 Depth=2
	s_or_b32 exec_lo, exec_lo, s7
	v_mov_b32_e32 v3, 0
	s_mov_b32 s7, exec_lo
	v_cmpx_lt_u32_e32 0xffffff, v10
	s_cbranch_execz .LBB4_4118
; %bb.4111:                             ;   in Loop: Header=BB4_4032 Depth=2
	v_lshrrev_b32_e32 v2, 24, v10
	v_bfrev_b32_e32 v3, 1
	s_mov_b32 s40, exec_lo
	s_delay_alu instid0(VALU_DEP_2)
	v_cmpx_ne_u32_e32 0x80, v2
	s_cbranch_execz .LBB4_4117
; %bb.4112:                             ;   in Loop: Header=BB4_4032 Depth=2
	v_bfe_u32 v14, v10, 24, 7
	v_mov_b32_e32 v3, 0x7f800001
	s_mov_b32 s41, exec_lo
	s_delay_alu instid0(VALU_DEP_2)
	v_cmpx_ne_u32_e32 0x7f, v14
	s_cbranch_execz .LBB4_4116
; %bb.4113:                             ;   in Loop: Header=BB4_4032 Depth=2
	v_and_b32_e32 v36, 7, v2
	v_lshrrev_b32_e32 v3, 3, v14
	s_mov_b32 s42, exec_lo
	v_cmpx_gt_u32_e32 8, v14
; %bb.4114:                             ;   in Loop: Header=BB4_4032 Depth=2
	s_delay_alu instid0(VALU_DEP_3) | instskip(NEXT) | instid1(VALU_DEP_1)
	v_clz_i32_u32_e32 v3, v36
	v_min_u32_e32 v3, 32, v3
	s_delay_alu instid0(VALU_DEP_1) | instskip(NEXT) | instid1(VALU_DEP_1)
	v_subrev_nc_u32_e32 v14, 28, v3
	v_lshlrev_b64_e32 v[14:15], v14, v[36:37]
	s_delay_alu instid0(VALU_DEP_1)
	v_dual_sub_nc_u32 v3, 29, v3 :: v_dual_bitop2_b32 v36, 7, v14 bitop3:0x40
; %bb.4115:                             ;   in Loop: Header=BB4_4032 Depth=2
	s_or_b32 exec_lo, exec_lo, s42
	s_delay_alu instid0(VALU_DEP_1) | instskip(NEXT) | instid1(VALU_DEP_2)
	v_dual_lshlrev_b32 v2, 24, v2 :: v_dual_lshlrev_b32 v14, 20, v36
	v_lshl_add_u32 v3, v3, 23, 0x3c000000
	s_delay_alu instid0(VALU_DEP_2) | instskip(NEXT) | instid1(VALU_DEP_1)
	v_and_b32_e32 v2, 0x80000000, v2
	v_or3_b32 v3, v14, v2, v3
.LBB4_4116:                             ;   in Loop: Header=BB4_4032 Depth=2
	s_or_b32 exec_lo, exec_lo, s41
.LBB4_4117:                             ;   in Loop: Header=BB4_4032 Depth=2
	s_delay_alu instid0(SALU_CYCLE_1)
	s_or_b32 exec_lo, exec_lo, s40
.LBB4_4118:                             ;   in Loop: Header=BB4_4032 Depth=2
	s_delay_alu instid0(SALU_CYCLE_1) | instskip(NEXT) | instid1(VALU_DEP_1)
	s_or_b32 exec_lo, exec_lo, s7
	v_mul_f32_e32 v3, s29, v3
                                        ; implicit-def: $vgpr97
	s_mov_b32 s7, exec_lo
	s_delay_alu instid0(VALU_DEP_1) | instskip(SKIP_1) | instid1(VALU_DEP_2)
	v_and_b32_e32 v36, 0x7f800000, v3
	v_lshrrev_b32_e32 v2, 24, v3
	v_cmpx_ne_u64_e32 0x7f800000, v[36:37]
	s_xor_b32 s40, exec_lo, s7
	s_cbranch_execz .LBB4_4132
; %bb.4119:                             ;   in Loop: Header=BB4_4032 Depth=2
	v_and_b32_e32 v36, 0x7fffffff, v3
	v_and_b32_e32 v2, 0x80, v2
                                        ; implicit-def: $vgpr97
	s_mov_b32 s7, exec_lo
	s_delay_alu instid0(VALU_DEP_2)
	v_cmpx_gt_u64_e32 0x43e00001, v[36:37]
	s_xor_b32 s41, exec_lo, s7
	s_cbranch_execz .LBB4_4129
; %bb.4120:                             ;   in Loop: Header=BB4_4032 Depth=2
	v_mov_b32_e32 v97, 0
	s_mov_b32 s42, exec_lo
	v_cmpx_ne_u32_e32 0, v3
	s_cbranch_execz .LBB4_4128
; %bb.4121:                             ;   in Loop: Header=BB4_4032 Depth=2
	v_bfe_u32 v97, v3, 23, 8
	v_and_b32_e32 v3, 0x7fffff, v3
	s_delay_alu instid0(VALU_DEP_2) | instskip(SKIP_1) | instid1(VALU_DEP_3)
	v_sub_nc_u32_e32 v14, 0x79, v97
	v_cmp_gt_u32_e32 vcc_lo, 0x7a, v97
	v_or_b32_e32 v16, 0x800000, v3
	s_delay_alu instid0(VALU_DEP_3) | instskip(SKIP_1) | instid1(VALU_DEP_2)
	v_cndmask_b32_e32 v14, 0, v14, vcc_lo
	v_cmp_eq_u32_e32 vcc_lo, 0, v97
	v_cndmask_b32_e64 v103, v14, 0x78, vcc_lo
	s_delay_alu instid0(VALU_DEP_4) | instskip(NEXT) | instid1(VALU_DEP_2)
	v_cndmask_b32_e32 v36, v16, v3, vcc_lo
	v_dual_add_nc_u32 v14, 20, v103 :: v_dual_add_nc_u32 v17, 19, v103
	s_delay_alu instid0(VALU_DEP_1) | instskip(NEXT) | instid1(VALU_DEP_2)
	v_lshlrev_b64_e64 v[14:15], v14, -1
	v_lshlrev_b64_e64 v[16:17], v17, 1
	s_delay_alu instid0(VALU_DEP_2) | instskip(NEXT) | instid1(VALU_DEP_3)
	v_bfi_b32 v21, v15, 0, 0
	v_bfi_b32 v20, v14, 0, v36
	v_lshrrev_b64 v[14:15], v103, v[36:37]
	s_delay_alu instid0(VALU_DEP_2) | instskip(NEXT) | instid1(VALU_DEP_2)
	v_cmp_eq_u64_e64 s7, v[20:21], v[16:17]
	v_mov_b64_e32 v[16:17], v[14:15]
	s_and_saveexec_b32 s43, s7
; %bb.4122:                             ;   in Loop: Header=BB4_4032 Depth=2
	v_bfe_u32 v36, v14, 20, 1
	s_delay_alu instid0(VALU_DEP_1) | instskip(NEXT) | instid1(VALU_DEP_1)
	v_add_nc_u64_e32 v[16:17], v[14:15], v[36:37]
	v_add_nc_u64_e32 v[16:17], -1, v[16:17]
; %bb.4123:                             ;   in Loop: Header=BB4_4032 Depth=2
	s_or_b32 exec_lo, exec_lo, s43
	v_add_nc_u32_e32 v3, 0xffffff81, v97
	v_lshrrev_b32_e32 v15, 23, v14
	s_mov_b32 s7, exec_lo
	s_delay_alu instid0(VALU_DEP_2) | instskip(NEXT) | instid1(VALU_DEP_1)
	v_cndmask_b32_e64 v3, v3, 0xffffff82, vcc_lo
	v_add3_u32 v17, v103, v3, v15
	v_and_b32_e32 v3, 0xfffff, v16
	s_delay_alu instid0(VALU_DEP_1) | instskip(NEXT) | instid1(VALU_DEP_1)
	v_dual_add_nc_u32 v16, 6, v17 :: v_dual_add_nc_u32 v36, v3, v14
                                        ; implicit-def: $vgpr14_vgpr15
                                        ; implicit-def: $vgpr3
	v_cmpx_ne_u32_e32 0, v16
	s_xor_b32 s7, exec_lo, s7
; %bb.4124:                             ;   in Loop: Header=BB4_4032 Depth=2
	s_delay_alu instid0(VALU_DEP_2) | instskip(SKIP_2) | instid1(VALU_DEP_2)
	v_cmp_lt_u64_e32 vcc_lo, 0xffffff, v[36:37]
	v_add_nc_u32_e32 v3, 7, v17
	v_cndmask_b32_e64 v14, 0, 1, vcc_lo
	v_cndmask_b32_e32 v3, v16, v3, vcc_lo
	s_delay_alu instid0(VALU_DEP_2)
	v_lshrrev_b64 v[14:15], v14, v[36:37]
; %bb.4125:                             ;   in Loop: Header=BB4_4032 Depth=2
	s_and_not1_saveexec_b32 s7, s7
; %bb.4126:                             ;   in Loop: Header=BB4_4032 Depth=2
	v_mov_b64_e32 v[14:15], v[36:37]
	v_bfe_u32 v3, v36, 23, 1
; %bb.4127:                             ;   in Loop: Header=BB4_4032 Depth=2
	s_or_b32 exec_lo, exec_lo, s7
	s_delay_alu instid0(VALU_DEP_2) | instskip(NEXT) | instid1(VALU_DEP_2)
	v_lshrrev_b64 v[14:15], 20, v[14:15]
	v_cmp_gt_i32_e32 vcc_lo, 16, v3
	v_min_i32_e32 v16, 15, v3
	v_cmp_eq_u32_e64 s7, 0, v3
	s_delay_alu instid0(VALU_DEP_2) | instskip(SKIP_1) | instid1(VALU_DEP_2)
	v_dual_cndmask_b32 v14, 7, v14, vcc_lo :: v_dual_lshlrev_b32 v16, 3, v16
	v_cndmask_b32_e32 v15, 0, v15, vcc_lo
	v_and_b32_e32 v16, 0xf8, v16
	s_delay_alu instid0(VALU_DEP_2) | instskip(NEXT) | instid1(VALU_DEP_2)
	v_cmp_eq_u64_e32 vcc_lo, 0, v[14:15]
	v_and_or_b32 v3, v14, 7, v16
	s_and_b32 s7, s7, vcc_lo
	s_delay_alu instid0(VALU_DEP_1) | instid1(SALU_CYCLE_1)
	v_cndmask_b32_e64 v3, v3, 0, s7
	s_delay_alu instid0(VALU_DEP_1)
	v_or_b32_e32 v97, v3, v2
.LBB4_4128:                             ;   in Loop: Header=BB4_4032 Depth=2
	s_or_b32 exec_lo, exec_lo, s42
                                        ; implicit-def: $vgpr2
.LBB4_4129:                             ;   in Loop: Header=BB4_4032 Depth=2
	s_and_not1_saveexec_b32 s7, s41
; %bb.4130:                             ;   in Loop: Header=BB4_4032 Depth=2
	v_or_b32_e32 v97, 0x7e, v2
; %bb.4131:                             ;   in Loop: Header=BB4_4032 Depth=2
	s_or_b32 exec_lo, exec_lo, s7
                                        ; implicit-def: $vgpr2
.LBB4_4132:                             ;   in Loop: Header=BB4_4032 Depth=2
	s_and_not1_saveexec_b32 s7, s40
; %bb.4133:                             ;   in Loop: Header=BB4_4032 Depth=2
	v_or_b32_e32 v97, 0x7f, v2
; %bb.4134:                             ;   in Loop: Header=BB4_4032 Depth=2
	s_or_b32 exec_lo, exec_lo, s7
	v_and_b32_e32 v3, 0xff, v11
	v_dual_mov_b32 v36, v11 :: v_dual_mov_b32 v2, 0
	s_mov_b32 s7, exec_lo
	s_delay_alu instid0(VALU_DEP_2)
	v_cmpx_ne_u16_e32 0, v3
	s_cbranch_execz .LBB4_4140
; %bb.4135:                             ;   in Loop: Header=BB4_4032 Depth=2
	v_bfrev_b32_e32 v2, 1
	s_mov_b32 s40, exec_lo
	v_cmpx_ne_u16_e32 0x80, v3
	s_cbranch_execz .LBB4_4139
; %bb.4136:                             ;   in Loop: Header=BB4_4032 Depth=2
	v_and_b32_e32 v3, 0x7f, v11
	v_mov_b32_e32 v2, 0x7f800001
	s_mov_b32 s41, exec_lo
	s_delay_alu instid0(VALU_DEP_2)
	v_cmpx_ne_u32_e32 0x7f, v3
	s_cbranch_execz .LBB4_4138
; %bb.4137:                             ;   in Loop: Header=BB4_4032 Depth=2
	v_and_b32_e32 v2, 7, v11
	v_cmp_gt_u32_e32 vcc_lo, 8, v3
	s_delay_alu instid0(VALU_DEP_2) | instskip(NEXT) | instid1(VALU_DEP_1)
	v_clz_i32_u32_e32 v2, v2
	v_min_u32_e32 v2, 32, v2
	v_lshrrev_b32_e32 v14, 3, v3
	s_delay_alu instid0(VALU_DEP_2) | instskip(SKIP_1) | instid1(VALU_DEP_1)
	v_subrev_nc_u32_e32 v15, 28, v2
	v_sub_nc_u32_e32 v2, 29, v2
	v_dual_cndmask_b32 v14, v14, v2, vcc_lo :: v_dual_cndmask_b32 v2, 0, v15, vcc_lo
	s_delay_alu instid0(VALU_DEP_1) | instskip(NEXT) | instid1(VALU_DEP_2)
	v_lshl_add_u32 v14, v14, 23, 0x3c000000
	v_lshlrev_b64_e32 v[2:3], v2, v[36:37]
	v_lshlrev_b32_e32 v3, 24, v36
	s_delay_alu instid0(VALU_DEP_1) | instskip(NEXT) | instid1(VALU_DEP_3)
	v_and_b32_e32 v3, 0x80000000, v3
	v_lshlrev_b32_e32 v2, 20, v2
	s_delay_alu instid0(VALU_DEP_1) | instskip(NEXT) | instid1(VALU_DEP_1)
	v_and_b32_e32 v2, 0x700000, v2
	v_or3_b32 v2, v2, v3, v14
.LBB4_4138:                             ;   in Loop: Header=BB4_4032 Depth=2
	s_or_b32 exec_lo, exec_lo, s41
.LBB4_4139:                             ;   in Loop: Header=BB4_4032 Depth=2
	s_delay_alu instid0(SALU_CYCLE_1)
	s_or_b32 exec_lo, exec_lo, s40
.LBB4_4140:                             ;   in Loop: Header=BB4_4032 Depth=2
	s_delay_alu instid0(SALU_CYCLE_1) | instskip(NEXT) | instid1(VALU_DEP_1)
	s_or_b32 exec_lo, exec_lo, s7
	v_dual_mul_f32 v3, s29, v2 :: v_dual_mov_b32 v15, v37
                                        ; implicit-def: $vgpr57
	s_mov_b32 s7, exec_lo
	s_delay_alu instid0(VALU_DEP_1) | instskip(SKIP_1) | instid1(VALU_DEP_2)
	v_and_b32_e32 v14, 0x7f800000, v3
	v_lshrrev_b32_e32 v2, 24, v3
	v_cmpx_ne_u64_e32 0x7f800000, v[14:15]
	s_xor_b32 s40, exec_lo, s7
	s_cbranch_execz .LBB4_4154
; %bb.4141:                             ;   in Loop: Header=BB4_4032 Depth=2
	v_and_b32_e32 v14, 0x7fffffff, v3
	v_mov_b32_e32 v15, v37
	v_and_b32_e32 v2, 0x80, v2
                                        ; implicit-def: $vgpr57
	s_mov_b32 s7, exec_lo
	s_delay_alu instid0(VALU_DEP_2)
	v_cmpx_gt_u64_e32 0x43e00001, v[14:15]
	s_xor_b32 s41, exec_lo, s7
	s_cbranch_execz .LBB4_4151
; %bb.4142:                             ;   in Loop: Header=BB4_4032 Depth=2
	v_mov_b32_e32 v57, 0
	s_mov_b32 s42, exec_lo
	v_cmpx_ne_u32_e32 0, v3
	s_cbranch_execz .LBB4_4150
; %bb.4143:                             ;   in Loop: Header=BB4_4032 Depth=2
	v_bfe_u32 v103, v3, 23, 8
	v_and_b32_e32 v3, 0x7fffff, v3
	s_mov_b32 s43, exec_lo
	s_delay_alu instid0(VALU_DEP_2) | instskip(SKIP_1) | instid1(VALU_DEP_3)
	v_dual_mov_b32 v17, v37 :: v_dual_sub_nc_u32 v14, 0x79, v103
	v_cmp_gt_u32_e32 vcc_lo, 0x7a, v103
	v_or_b32_e32 v16, 0x800000, v3
	s_delay_alu instid0(VALU_DEP_3) | instskip(SKIP_1) | instid1(VALU_DEP_2)
	v_cndmask_b32_e32 v14, 0, v14, vcc_lo
	v_cmp_eq_u32_e32 vcc_lo, 0, v103
	v_cndmask_b32_e64 v113, v14, 0x78, vcc_lo
	s_delay_alu instid0(VALU_DEP_1) | instskip(SKIP_1) | instid1(VALU_DEP_2)
	v_dual_cndmask_b32 v16, v16, v3, vcc_lo :: v_dual_add_nc_u32 v14, 20, v113
	v_add_nc_u32_e32 v20, 19, v113
	v_lshlrev_b64_e64 v[14:15], v14, -1
	s_delay_alu instid0(VALU_DEP_2) | instskip(NEXT) | instid1(VALU_DEP_2)
	v_lshlrev_b64_e64 v[20:21], v20, 1
	v_bfi_b32 v115, v15, 0, 0
	s_delay_alu instid0(VALU_DEP_3) | instskip(SKIP_1) | instid1(VALU_DEP_1)
	v_bfi_b32 v114, v14, 0, v16
	v_lshrrev_b64 v[14:15], v113, v[16:17]
	v_mov_b64_e32 v[16:17], v[14:15]
	s_delay_alu instid0(VALU_DEP_3)
	v_cmpx_eq_u64_e64 v[114:115], v[20:21]
; %bb.4144:                             ;   in Loop: Header=BB4_4032 Depth=2
	v_bfe_u32 v16, v14, 20, 1
	v_mov_b32_e32 v17, v37
	s_delay_alu instid0(VALU_DEP_1) | instskip(NEXT) | instid1(VALU_DEP_1)
	v_add_nc_u64_e32 v[16:17], v[14:15], v[16:17]
	v_add_nc_u64_e32 v[16:17], -1, v[16:17]
; %bb.4145:                             ;   in Loop: Header=BB4_4032 Depth=2
	s_or_b32 exec_lo, exec_lo, s43
	v_add_nc_u32_e32 v3, 0xffffff81, v103
	v_lshrrev_b32_e32 v15, 23, v14
	s_mov_b32 s7, exec_lo
	s_delay_alu instid0(VALU_DEP_2) | instskip(NEXT) | instid1(VALU_DEP_1)
	v_cndmask_b32_e64 v3, v3, 0xffffff82, vcc_lo
	v_add3_u32 v17, v113, v3, v15
	v_and_b32_e32 v3, 0xfffff, v16
	s_delay_alu instid0(VALU_DEP_2) | instskip(NEXT) | instid1(VALU_DEP_2)
	v_dual_mov_b32 v15, v37 :: v_dual_add_nc_u32 v16, 6, v17
	v_add_nc_u32_e32 v14, v3, v14
                                        ; implicit-def: $vgpr3
	s_delay_alu instid0(VALU_DEP_2)
	v_cmpx_ne_u32_e32 0, v16
	s_xor_b32 s7, exec_lo, s7
; %bb.4146:                             ;   in Loop: Header=BB4_4032 Depth=2
	s_delay_alu instid0(VALU_DEP_2) | instskip(SKIP_1) | instid1(VALU_DEP_1)
	v_cmp_lt_u64_e32 vcc_lo, 0xffffff, v[14:15]
	v_add_nc_u32_e32 v3, 7, v17
	v_cndmask_b32_e32 v3, v16, v3, vcc_lo
	v_cndmask_b32_e64 v16, 0, 1, vcc_lo
	s_delay_alu instid0(VALU_DEP_1)
	v_lshrrev_b64 v[14:15], v16, v[14:15]
; %bb.4147:                             ;   in Loop: Header=BB4_4032 Depth=2
	s_and_not1_saveexec_b32 s7, s7
; %bb.4148:                             ;   in Loop: Header=BB4_4032 Depth=2
	s_delay_alu instid0(VALU_DEP_1)
	v_bfe_u32 v3, v14, 23, 1
; %bb.4149:                             ;   in Loop: Header=BB4_4032 Depth=2
	s_or_b32 exec_lo, exec_lo, s7
	s_delay_alu instid0(VALU_DEP_2) | instskip(NEXT) | instid1(VALU_DEP_2)
	v_lshrrev_b64 v[14:15], 20, v[14:15]
	v_cmp_gt_i32_e32 vcc_lo, 16, v3
	v_min_i32_e32 v16, 15, v3
	v_cmp_eq_u32_e64 s7, 0, v3
	s_delay_alu instid0(VALU_DEP_2) | instskip(SKIP_1) | instid1(VALU_DEP_2)
	v_dual_cndmask_b32 v14, 7, v14, vcc_lo :: v_dual_lshlrev_b32 v16, 3, v16
	v_cndmask_b32_e32 v15, 0, v15, vcc_lo
	v_and_b32_e32 v16, 0xf8, v16
	s_delay_alu instid0(VALU_DEP_2) | instskip(NEXT) | instid1(VALU_DEP_2)
	v_cmp_eq_u64_e32 vcc_lo, 0, v[14:15]
	v_and_or_b32 v3, v14, 7, v16
	s_and_b32 s7, s7, vcc_lo
	s_delay_alu instid0(VALU_DEP_1) | instid1(SALU_CYCLE_1)
	v_cndmask_b32_e64 v3, v3, 0, s7
	s_delay_alu instid0(VALU_DEP_1)
	v_or_b32_e32 v57, v3, v2
.LBB4_4150:                             ;   in Loop: Header=BB4_4032 Depth=2
	s_or_b32 exec_lo, exec_lo, s42
                                        ; implicit-def: $vgpr2
.LBB4_4151:                             ;   in Loop: Header=BB4_4032 Depth=2
	s_and_not1_saveexec_b32 s7, s41
; %bb.4152:                             ;   in Loop: Header=BB4_4032 Depth=2
	v_or_b32_e32 v57, 0x7e, v2
; %bb.4153:                             ;   in Loop: Header=BB4_4032 Depth=2
	s_or_b32 exec_lo, exec_lo, s7
                                        ; implicit-def: $vgpr2
.LBB4_4154:                             ;   in Loop: Header=BB4_4032 Depth=2
	s_and_not1_saveexec_b32 s7, s40
; %bb.4155:                             ;   in Loop: Header=BB4_4032 Depth=2
	v_or_b32_e32 v57, 0x7f, v2
; %bb.4156:                             ;   in Loop: Header=BB4_4032 Depth=2
	s_or_b32 exec_lo, exec_lo, s7
	v_lshrrev_b16 v3, 8, v36
	v_mov_b32_e32 v2, 0
	s_mov_b32 s7, exec_lo
	s_delay_alu instid0(VALU_DEP_2)
	v_cmpx_ne_u16_e32 0, v3
	s_cbranch_execz .LBB4_4164
; %bb.4157:                             ;   in Loop: Header=BB4_4032 Depth=2
	v_bfrev_b32_e32 v2, 1
	s_mov_b32 s40, exec_lo
	v_cmpx_ne_u16_e32 0x80, v3
	s_cbranch_execz .LBB4_4163
; %bb.4158:                             ;   in Loop: Header=BB4_4032 Depth=2
	v_and_b32_e32 v14, 0xffff, v3
	v_mov_b32_e32 v2, 0x7f800001
	s_mov_b32 s41, exec_lo
	s_delay_alu instid0(VALU_DEP_2) | instskip(NEXT) | instid1(VALU_DEP_1)
	v_and_b32_e32 v3, 0x7f, v14
	v_cmpx_ne_u32_e32 0x7f, v3
	s_cbranch_execz .LBB4_4162
; %bb.4159:                             ;   in Loop: Header=BB4_4032 Depth=2
	v_dual_mov_b32 v15, v37 :: v_dual_bitop2_b32 v14, 7, v14 bitop3:0x40
	v_lshrrev_b32_e32 v2, 3, v3
	s_mov_b32 s42, exec_lo
	v_cmpx_gt_u32_e32 8, v3
; %bb.4160:                             ;   in Loop: Header=BB4_4032 Depth=2
	s_delay_alu instid0(VALU_DEP_3) | instskip(NEXT) | instid1(VALU_DEP_1)
	v_clz_i32_u32_e32 v2, v14
	v_min_u32_e32 v2, 32, v2
	s_delay_alu instid0(VALU_DEP_1) | instskip(SKIP_1) | instid1(VALU_DEP_2)
	v_subrev_nc_u32_e32 v3, 28, v2
	v_sub_nc_u32_e32 v2, 29, v2
	v_lshlrev_b64_e32 v[14:15], v3, v[14:15]
	s_delay_alu instid0(VALU_DEP_1)
	v_and_b32_e32 v14, 7, v14
; %bb.4161:                             ;   in Loop: Header=BB4_4032 Depth=2
	s_or_b32 exec_lo, exec_lo, s42
	s_delay_alu instid0(VALU_DEP_1) | instskip(SKIP_1) | instid1(VALU_DEP_2)
	v_dual_lshlrev_b32 v3, 16, v36 :: v_dual_lshlrev_b32 v14, 20, v14
	v_lshl_add_u32 v2, v2, 23, 0x3c000000
	v_and_b32_e32 v3, 0x80000000, v3
	s_delay_alu instid0(VALU_DEP_1)
	v_or3_b32 v2, v14, v3, v2
.LBB4_4162:                             ;   in Loop: Header=BB4_4032 Depth=2
	s_or_b32 exec_lo, exec_lo, s41
.LBB4_4163:                             ;   in Loop: Header=BB4_4032 Depth=2
	s_delay_alu instid0(SALU_CYCLE_1)
	s_or_b32 exec_lo, exec_lo, s40
.LBB4_4164:                             ;   in Loop: Header=BB4_4032 Depth=2
	s_delay_alu instid0(SALU_CYCLE_1) | instskip(NEXT) | instid1(VALU_DEP_1)
	s_or_b32 exec_lo, exec_lo, s7
	v_mul_f32_e32 v3, s29, v2
                                        ; implicit-def: $vgpr72
	s_mov_b32 s7, exec_lo
	s_delay_alu instid0(VALU_DEP_1) | instskip(SKIP_1) | instid1(VALU_DEP_2)
	v_and_b32_e32 v36, 0x7f800000, v3
	v_lshrrev_b32_e32 v2, 24, v3
	v_cmpx_ne_u64_e32 0x7f800000, v[36:37]
	s_xor_b32 s40, exec_lo, s7
	s_cbranch_execz .LBB4_4178
; %bb.4165:                             ;   in Loop: Header=BB4_4032 Depth=2
	v_and_b32_e32 v36, 0x7fffffff, v3
	v_and_b32_e32 v2, 0x80, v2
                                        ; implicit-def: $vgpr72
	s_mov_b32 s7, exec_lo
	s_delay_alu instid0(VALU_DEP_2)
	v_cmpx_gt_u64_e32 0x43e00001, v[36:37]
	s_xor_b32 s41, exec_lo, s7
	s_cbranch_execz .LBB4_4175
; %bb.4166:                             ;   in Loop: Header=BB4_4032 Depth=2
	v_mov_b32_e32 v72, 0
	s_mov_b32 s42, exec_lo
	v_cmpx_ne_u32_e32 0, v3
	s_cbranch_execz .LBB4_4174
; %bb.4167:                             ;   in Loop: Header=BB4_4032 Depth=2
	v_bfe_u32 v103, v3, 23, 8
	v_and_b32_e32 v3, 0x7fffff, v3
	s_delay_alu instid0(VALU_DEP_2) | instskip(SKIP_1) | instid1(VALU_DEP_3)
	v_sub_nc_u32_e32 v14, 0x79, v103
	v_cmp_gt_u32_e32 vcc_lo, 0x7a, v103
	v_or_b32_e32 v16, 0x800000, v3
	s_delay_alu instid0(VALU_DEP_3) | instskip(SKIP_1) | instid1(VALU_DEP_2)
	v_cndmask_b32_e32 v14, 0, v14, vcc_lo
	v_cmp_eq_u32_e32 vcc_lo, 0, v103
	v_cndmask_b32_e64 v113, v14, 0x78, vcc_lo
	s_delay_alu instid0(VALU_DEP_1) | instskip(SKIP_1) | instid1(VALU_DEP_2)
	v_dual_cndmask_b32 v36, v16, v3, vcc_lo :: v_dual_add_nc_u32 v14, 20, v113
	v_add_nc_u32_e32 v17, 19, v113
	v_lshlrev_b64_e64 v[14:15], v14, -1
	s_delay_alu instid0(VALU_DEP_2) | instskip(NEXT) | instid1(VALU_DEP_2)
	v_lshlrev_b64_e64 v[16:17], v17, 1
	v_bfi_b32 v21, v15, 0, 0
	s_delay_alu instid0(VALU_DEP_3) | instskip(SKIP_1) | instid1(VALU_DEP_2)
	v_bfi_b32 v20, v14, 0, v36
	v_lshrrev_b64 v[14:15], v113, v[36:37]
	v_cmp_eq_u64_e64 s7, v[20:21], v[16:17]
	s_delay_alu instid0(VALU_DEP_2)
	v_mov_b64_e32 v[16:17], v[14:15]
	s_and_saveexec_b32 s43, s7
; %bb.4168:                             ;   in Loop: Header=BB4_4032 Depth=2
	v_bfe_u32 v36, v14, 20, 1
	s_delay_alu instid0(VALU_DEP_1) | instskip(NEXT) | instid1(VALU_DEP_1)
	v_add_nc_u64_e32 v[16:17], v[14:15], v[36:37]
	v_add_nc_u64_e32 v[16:17], -1, v[16:17]
; %bb.4169:                             ;   in Loop: Header=BB4_4032 Depth=2
	s_or_b32 exec_lo, exec_lo, s43
	v_add_nc_u32_e32 v3, 0xffffff81, v103
	v_lshrrev_b32_e32 v15, 23, v14
	s_mov_b32 s7, exec_lo
	s_delay_alu instid0(VALU_DEP_2) | instskip(NEXT) | instid1(VALU_DEP_1)
	v_cndmask_b32_e64 v3, v3, 0xffffff82, vcc_lo
	v_add3_u32 v17, v113, v3, v15
	v_and_b32_e32 v3, 0xfffff, v16
	s_delay_alu instid0(VALU_DEP_1) | instskip(NEXT) | instid1(VALU_DEP_1)
	v_dual_add_nc_u32 v16, 6, v17 :: v_dual_add_nc_u32 v36, v3, v14
                                        ; implicit-def: $vgpr14_vgpr15
                                        ; implicit-def: $vgpr3
	v_cmpx_ne_u32_e32 0, v16
	s_xor_b32 s7, exec_lo, s7
; %bb.4170:                             ;   in Loop: Header=BB4_4032 Depth=2
	s_delay_alu instid0(VALU_DEP_2) | instskip(SKIP_2) | instid1(VALU_DEP_2)
	v_cmp_lt_u64_e32 vcc_lo, 0xffffff, v[36:37]
	v_add_nc_u32_e32 v3, 7, v17
	v_cndmask_b32_e64 v14, 0, 1, vcc_lo
	v_cndmask_b32_e32 v3, v16, v3, vcc_lo
	s_delay_alu instid0(VALU_DEP_2)
	v_lshrrev_b64 v[14:15], v14, v[36:37]
; %bb.4171:                             ;   in Loop: Header=BB4_4032 Depth=2
	s_and_not1_saveexec_b32 s7, s7
; %bb.4172:                             ;   in Loop: Header=BB4_4032 Depth=2
	v_mov_b64_e32 v[14:15], v[36:37]
	v_bfe_u32 v3, v36, 23, 1
; %bb.4173:                             ;   in Loop: Header=BB4_4032 Depth=2
	s_or_b32 exec_lo, exec_lo, s7
	s_delay_alu instid0(VALU_DEP_2) | instskip(NEXT) | instid1(VALU_DEP_2)
	v_lshrrev_b64 v[14:15], 20, v[14:15]
	v_cmp_gt_i32_e32 vcc_lo, 16, v3
	v_min_i32_e32 v16, 15, v3
	v_cmp_eq_u32_e64 s7, 0, v3
	s_delay_alu instid0(VALU_DEP_2) | instskip(SKIP_1) | instid1(VALU_DEP_2)
	v_dual_cndmask_b32 v14, 7, v14, vcc_lo :: v_dual_lshlrev_b32 v16, 3, v16
	v_cndmask_b32_e32 v15, 0, v15, vcc_lo
	v_and_b32_e32 v16, 0xf8, v16
	s_delay_alu instid0(VALU_DEP_2) | instskip(NEXT) | instid1(VALU_DEP_2)
	v_cmp_eq_u64_e32 vcc_lo, 0, v[14:15]
	v_and_or_b32 v3, v14, 7, v16
	s_and_b32 s7, s7, vcc_lo
	s_delay_alu instid0(VALU_DEP_1) | instid1(SALU_CYCLE_1)
	v_cndmask_b32_e64 v3, v3, 0, s7
	s_delay_alu instid0(VALU_DEP_1)
	v_or_b32_e32 v72, v3, v2
.LBB4_4174:                             ;   in Loop: Header=BB4_4032 Depth=2
	s_or_b32 exec_lo, exec_lo, s42
                                        ; implicit-def: $vgpr2
.LBB4_4175:                             ;   in Loop: Header=BB4_4032 Depth=2
	s_and_not1_saveexec_b32 s7, s41
; %bb.4176:                             ;   in Loop: Header=BB4_4032 Depth=2
	v_or_b32_e32 v72, 0x7e, v2
; %bb.4177:                             ;   in Loop: Header=BB4_4032 Depth=2
	s_or_b32 exec_lo, exec_lo, s7
                                        ; implicit-def: $vgpr2
.LBB4_4178:                             ;   in Loop: Header=BB4_4032 Depth=2
	s_and_not1_saveexec_b32 s7, s40
; %bb.4179:                             ;   in Loop: Header=BB4_4032 Depth=2
	v_or_b32_e32 v72, 0x7f, v2
; %bb.4180:                             ;   in Loop: Header=BB4_4032 Depth=2
	s_or_b32 exec_lo, exec_lo, s7
	v_dual_mov_b32 v3, 0 :: v_dual_lshrrev_b32 v2, 16, v11
	s_mov_b32 s7, exec_lo
	s_delay_alu instid0(VALU_DEP_1) | instskip(NEXT) | instid1(VALU_DEP_1)
	v_and_b32_e32 v14, 0xff, v2
	v_cmpx_ne_u16_e32 0, v14
	s_cbranch_execz .LBB4_4188
; %bb.4181:                             ;   in Loop: Header=BB4_4032 Depth=2
	v_bfrev_b32_e32 v3, 1
	s_mov_b32 s40, exec_lo
	v_cmpx_ne_u16_e32 0x80, v14
	s_cbranch_execz .LBB4_4187
; %bb.4182:                             ;   in Loop: Header=BB4_4032 Depth=2
	v_bfe_u32 v14, v11, 16, 7
	v_mov_b32_e32 v3, 0x7f800001
	s_mov_b32 s41, exec_lo
	s_delay_alu instid0(VALU_DEP_2)
	v_cmpx_ne_u32_e32 0x7f, v14
	s_cbranch_execz .LBB4_4186
; %bb.4183:                             ;   in Loop: Header=BB4_4032 Depth=2
	v_and_b32_e32 v36, 7, v2
	v_lshrrev_b32_e32 v3, 3, v14
	s_mov_b32 s42, exec_lo
	v_cmpx_gt_u32_e32 8, v14
; %bb.4184:                             ;   in Loop: Header=BB4_4032 Depth=2
	s_delay_alu instid0(VALU_DEP_3) | instskip(NEXT) | instid1(VALU_DEP_1)
	v_clz_i32_u32_e32 v3, v36
	v_min_u32_e32 v3, 32, v3
	s_delay_alu instid0(VALU_DEP_1) | instskip(NEXT) | instid1(VALU_DEP_1)
	v_subrev_nc_u32_e32 v14, 28, v3
	v_lshlrev_b64_e32 v[14:15], v14, v[36:37]
	s_delay_alu instid0(VALU_DEP_1)
	v_dual_sub_nc_u32 v3, 29, v3 :: v_dual_bitop2_b32 v36, 7, v14 bitop3:0x40
; %bb.4185:                             ;   in Loop: Header=BB4_4032 Depth=2
	s_or_b32 exec_lo, exec_lo, s42
	s_delay_alu instid0(VALU_DEP_1) | instskip(NEXT) | instid1(VALU_DEP_2)
	v_dual_lshlrev_b32 v2, 24, v2 :: v_dual_lshlrev_b32 v14, 20, v36
	v_lshl_add_u32 v3, v3, 23, 0x3c000000
	s_delay_alu instid0(VALU_DEP_2) | instskip(NEXT) | instid1(VALU_DEP_1)
	v_and_b32_e32 v2, 0x80000000, v2
	v_or3_b32 v3, v14, v2, v3
.LBB4_4186:                             ;   in Loop: Header=BB4_4032 Depth=2
	s_or_b32 exec_lo, exec_lo, s41
.LBB4_4187:                             ;   in Loop: Header=BB4_4032 Depth=2
	s_delay_alu instid0(SALU_CYCLE_1)
	s_or_b32 exec_lo, exec_lo, s40
.LBB4_4188:                             ;   in Loop: Header=BB4_4032 Depth=2
	s_delay_alu instid0(SALU_CYCLE_1) | instskip(NEXT) | instid1(VALU_DEP_1)
	s_or_b32 exec_lo, exec_lo, s7
	v_mul_f32_e32 v3, s29, v3
                                        ; implicit-def: $vgpr79
	s_mov_b32 s7, exec_lo
	s_delay_alu instid0(VALU_DEP_1) | instskip(SKIP_1) | instid1(VALU_DEP_2)
	v_and_b32_e32 v36, 0x7f800000, v3
	v_lshrrev_b32_e32 v2, 24, v3
	v_cmpx_ne_u64_e32 0x7f800000, v[36:37]
	s_xor_b32 s40, exec_lo, s7
	s_cbranch_execz .LBB4_4202
; %bb.4189:                             ;   in Loop: Header=BB4_4032 Depth=2
	v_and_b32_e32 v36, 0x7fffffff, v3
	v_and_b32_e32 v2, 0x80, v2
                                        ; implicit-def: $vgpr79
	s_mov_b32 s7, exec_lo
	s_delay_alu instid0(VALU_DEP_2)
	v_cmpx_gt_u64_e32 0x43e00001, v[36:37]
	s_xor_b32 s41, exec_lo, s7
	s_cbranch_execz .LBB4_4199
; %bb.4190:                             ;   in Loop: Header=BB4_4032 Depth=2
	v_mov_b32_e32 v79, 0
	s_mov_b32 s42, exec_lo
	v_cmpx_ne_u32_e32 0, v3
	s_cbranch_execz .LBB4_4198
; %bb.4191:                             ;   in Loop: Header=BB4_4032 Depth=2
	v_bfe_u32 v103, v3, 23, 8
	v_and_b32_e32 v3, 0x7fffff, v3
	s_delay_alu instid0(VALU_DEP_2) | instskip(SKIP_1) | instid1(VALU_DEP_3)
	v_sub_nc_u32_e32 v14, 0x79, v103
	v_cmp_gt_u32_e32 vcc_lo, 0x7a, v103
	v_or_b32_e32 v16, 0x800000, v3
	s_delay_alu instid0(VALU_DEP_3) | instskip(SKIP_1) | instid1(VALU_DEP_2)
	v_cndmask_b32_e32 v14, 0, v14, vcc_lo
	v_cmp_eq_u32_e32 vcc_lo, 0, v103
	v_cndmask_b32_e64 v113, v14, 0x78, vcc_lo
	s_delay_alu instid0(VALU_DEP_1) | instskip(SKIP_1) | instid1(VALU_DEP_2)
	v_dual_cndmask_b32 v36, v16, v3, vcc_lo :: v_dual_add_nc_u32 v14, 20, v113
	v_add_nc_u32_e32 v17, 19, v113
	v_lshlrev_b64_e64 v[14:15], v14, -1
	s_delay_alu instid0(VALU_DEP_2) | instskip(NEXT) | instid1(VALU_DEP_2)
	v_lshlrev_b64_e64 v[16:17], v17, 1
	v_bfi_b32 v21, v15, 0, 0
	s_delay_alu instid0(VALU_DEP_3) | instskip(SKIP_1) | instid1(VALU_DEP_2)
	v_bfi_b32 v20, v14, 0, v36
	v_lshrrev_b64 v[14:15], v113, v[36:37]
	v_cmp_eq_u64_e64 s7, v[20:21], v[16:17]
	s_delay_alu instid0(VALU_DEP_2)
	v_mov_b64_e32 v[16:17], v[14:15]
	s_and_saveexec_b32 s43, s7
; %bb.4192:                             ;   in Loop: Header=BB4_4032 Depth=2
	v_bfe_u32 v36, v14, 20, 1
	s_delay_alu instid0(VALU_DEP_1) | instskip(NEXT) | instid1(VALU_DEP_1)
	v_add_nc_u64_e32 v[16:17], v[14:15], v[36:37]
	v_add_nc_u64_e32 v[16:17], -1, v[16:17]
; %bb.4193:                             ;   in Loop: Header=BB4_4032 Depth=2
	s_or_b32 exec_lo, exec_lo, s43
	v_add_nc_u32_e32 v3, 0xffffff81, v103
	v_lshrrev_b32_e32 v15, 23, v14
	s_mov_b32 s7, exec_lo
	s_delay_alu instid0(VALU_DEP_2) | instskip(NEXT) | instid1(VALU_DEP_1)
	v_cndmask_b32_e64 v3, v3, 0xffffff82, vcc_lo
	v_add3_u32 v17, v113, v3, v15
	v_and_b32_e32 v3, 0xfffff, v16
	s_delay_alu instid0(VALU_DEP_1) | instskip(NEXT) | instid1(VALU_DEP_1)
	v_dual_add_nc_u32 v16, 6, v17 :: v_dual_add_nc_u32 v36, v3, v14
                                        ; implicit-def: $vgpr14_vgpr15
                                        ; implicit-def: $vgpr3
	v_cmpx_ne_u32_e32 0, v16
	s_xor_b32 s7, exec_lo, s7
; %bb.4194:                             ;   in Loop: Header=BB4_4032 Depth=2
	s_delay_alu instid0(VALU_DEP_2) | instskip(SKIP_2) | instid1(VALU_DEP_2)
	v_cmp_lt_u64_e32 vcc_lo, 0xffffff, v[36:37]
	v_add_nc_u32_e32 v3, 7, v17
	v_cndmask_b32_e64 v14, 0, 1, vcc_lo
	v_cndmask_b32_e32 v3, v16, v3, vcc_lo
	s_delay_alu instid0(VALU_DEP_2)
	v_lshrrev_b64 v[14:15], v14, v[36:37]
; %bb.4195:                             ;   in Loop: Header=BB4_4032 Depth=2
	s_and_not1_saveexec_b32 s7, s7
; %bb.4196:                             ;   in Loop: Header=BB4_4032 Depth=2
	v_mov_b64_e32 v[14:15], v[36:37]
	v_bfe_u32 v3, v36, 23, 1
; %bb.4197:                             ;   in Loop: Header=BB4_4032 Depth=2
	s_or_b32 exec_lo, exec_lo, s7
	s_delay_alu instid0(VALU_DEP_2) | instskip(NEXT) | instid1(VALU_DEP_2)
	v_lshrrev_b64 v[14:15], 20, v[14:15]
	v_cmp_gt_i32_e32 vcc_lo, 16, v3
	v_min_i32_e32 v16, 15, v3
	v_cmp_eq_u32_e64 s7, 0, v3
	s_delay_alu instid0(VALU_DEP_2) | instskip(SKIP_1) | instid1(VALU_DEP_2)
	v_dual_cndmask_b32 v14, 7, v14, vcc_lo :: v_dual_lshlrev_b32 v16, 3, v16
	v_cndmask_b32_e32 v15, 0, v15, vcc_lo
	v_and_b32_e32 v16, 0xf8, v16
	s_delay_alu instid0(VALU_DEP_2) | instskip(NEXT) | instid1(VALU_DEP_2)
	v_cmp_eq_u64_e32 vcc_lo, 0, v[14:15]
	v_and_or_b32 v3, v14, 7, v16
	s_and_b32 s7, s7, vcc_lo
	s_delay_alu instid0(VALU_DEP_1) | instid1(SALU_CYCLE_1)
	v_cndmask_b32_e64 v3, v3, 0, s7
	s_delay_alu instid0(VALU_DEP_1)
	v_or_b32_e32 v79, v3, v2
.LBB4_4198:                             ;   in Loop: Header=BB4_4032 Depth=2
	s_or_b32 exec_lo, exec_lo, s42
                                        ; implicit-def: $vgpr2
.LBB4_4199:                             ;   in Loop: Header=BB4_4032 Depth=2
	s_and_not1_saveexec_b32 s7, s41
; %bb.4200:                             ;   in Loop: Header=BB4_4032 Depth=2
	v_or_b32_e32 v79, 0x7e, v2
; %bb.4201:                             ;   in Loop: Header=BB4_4032 Depth=2
	s_or_b32 exec_lo, exec_lo, s7
                                        ; implicit-def: $vgpr2
.LBB4_4202:                             ;   in Loop: Header=BB4_4032 Depth=2
	s_and_not1_saveexec_b32 s7, s40
; %bb.4203:                             ;   in Loop: Header=BB4_4032 Depth=2
	v_or_b32_e32 v79, 0x7f, v2
; %bb.4204:                             ;   in Loop: Header=BB4_4032 Depth=2
	s_or_b32 exec_lo, exec_lo, s7
	v_mov_b32_e32 v3, 0
	s_mov_b32 s7, exec_lo
	v_cmpx_lt_u64_e64 s[12:13], v[10:11]
	s_cbranch_execz .LBB4_4212
; %bb.4205:                             ;   in Loop: Header=BB4_4032 Depth=2
	v_lshrrev_b32_e32 v2, 24, v11
	v_bfrev_b32_e32 v3, 1
	s_mov_b32 s40, exec_lo
	s_delay_alu instid0(VALU_DEP_2)
	v_cmpx_ne_u32_e32 0x80, v2
	s_cbranch_execz .LBB4_4211
; %bb.4206:                             ;   in Loop: Header=BB4_4032 Depth=2
	v_bfe_u32 v10, v11, 24, 7
	v_mov_b32_e32 v3, 0x7f800001
	s_mov_b32 s41, exec_lo
	s_delay_alu instid0(VALU_DEP_2)
	v_cmpx_ne_u32_e32 0x7f, v10
	s_cbranch_execz .LBB4_4210
; %bb.4207:                             ;   in Loop: Header=BB4_4032 Depth=2
	v_and_b32_e32 v36, 7, v2
	v_lshrrev_b32_e32 v3, 3, v10
	s_mov_b32 s42, exec_lo
	v_cmpx_gt_u32_e32 8, v10
; %bb.4208:                             ;   in Loop: Header=BB4_4032 Depth=2
	s_delay_alu instid0(VALU_DEP_3) | instskip(NEXT) | instid1(VALU_DEP_1)
	v_clz_i32_u32_e32 v3, v36
	v_min_u32_e32 v3, 32, v3
	s_delay_alu instid0(VALU_DEP_1) | instskip(NEXT) | instid1(VALU_DEP_1)
	v_subrev_nc_u32_e32 v10, 28, v3
	v_lshlrev_b64_e32 v[10:11], v10, v[36:37]
	s_delay_alu instid0(VALU_DEP_1)
	v_dual_sub_nc_u32 v3, 29, v3 :: v_dual_bitop2_b32 v36, 7, v10 bitop3:0x40
; %bb.4209:                             ;   in Loop: Header=BB4_4032 Depth=2
	s_or_b32 exec_lo, exec_lo, s42
	s_delay_alu instid0(VALU_DEP_1) | instskip(NEXT) | instid1(VALU_DEP_2)
	v_dual_lshlrev_b32 v2, 24, v2 :: v_dual_lshlrev_b32 v10, 20, v36
	v_lshl_add_u32 v3, v3, 23, 0x3c000000
	s_delay_alu instid0(VALU_DEP_2) | instskip(NEXT) | instid1(VALU_DEP_1)
	v_and_b32_e32 v2, 0x80000000, v2
	v_or3_b32 v3, v10, v2, v3
.LBB4_4210:                             ;   in Loop: Header=BB4_4032 Depth=2
	s_or_b32 exec_lo, exec_lo, s41
.LBB4_4211:                             ;   in Loop: Header=BB4_4032 Depth=2
	s_delay_alu instid0(SALU_CYCLE_1)
	s_or_b32 exec_lo, exec_lo, s40
.LBB4_4212:                             ;   in Loop: Header=BB4_4032 Depth=2
	s_delay_alu instid0(SALU_CYCLE_1) | instskip(NEXT) | instid1(VALU_DEP_1)
	s_or_b32 exec_lo, exec_lo, s7
	v_mul_f32_e32 v3, s29, v3
                                        ; implicit-def: $vgpr88
	s_mov_b32 s7, exec_lo
	s_delay_alu instid0(VALU_DEP_1) | instskip(SKIP_1) | instid1(VALU_DEP_2)
	v_and_b32_e32 v36, 0x7f800000, v3
	v_lshrrev_b32_e32 v2, 24, v3
	v_cmpx_ne_u64_e32 0x7f800000, v[36:37]
	s_xor_b32 s40, exec_lo, s7
	s_cbranch_execz .LBB4_4226
; %bb.4213:                             ;   in Loop: Header=BB4_4032 Depth=2
	v_and_b32_e32 v36, 0x7fffffff, v3
	v_and_b32_e32 v2, 0x80, v2
                                        ; implicit-def: $vgpr88
	s_mov_b32 s7, exec_lo
	s_delay_alu instid0(VALU_DEP_2)
	v_cmpx_gt_u64_e32 0x43e00001, v[36:37]
	s_xor_b32 s41, exec_lo, s7
	s_cbranch_execz .LBB4_4223
; %bb.4214:                             ;   in Loop: Header=BB4_4032 Depth=2
	v_mov_b32_e32 v88, 0
	s_mov_b32 s42, exec_lo
	v_cmpx_ne_u32_e32 0, v3
	s_cbranch_execz .LBB4_4222
; %bb.4215:                             ;   in Loop: Header=BB4_4032 Depth=2
	v_bfe_u32 v16, v3, 23, 8
	v_and_b32_e32 v3, 0x7fffff, v3
	s_delay_alu instid0(VALU_DEP_2) | instskip(SKIP_1) | instid1(VALU_DEP_3)
	v_sub_nc_u32_e32 v10, 0x79, v16
	v_cmp_gt_u32_e32 vcc_lo, 0x7a, v16
	v_or_b32_e32 v14, 0x800000, v3
	s_delay_alu instid0(VALU_DEP_3) | instskip(SKIP_1) | instid1(VALU_DEP_2)
	v_cndmask_b32_e32 v10, 0, v10, vcc_lo
	v_cmp_eq_u32_e32 vcc_lo, 0, v16
	v_cndmask_b32_e64 v17, v10, 0x78, vcc_lo
	s_delay_alu instid0(VALU_DEP_1) | instskip(SKIP_1) | instid1(VALU_DEP_2)
	v_dual_cndmask_b32 v36, v14, v3, vcc_lo :: v_dual_add_nc_u32 v10, 20, v17
	v_add_nc_u32_e32 v15, 19, v17
	v_lshlrev_b64_e64 v[10:11], v10, -1
	s_delay_alu instid0(VALU_DEP_2) | instskip(NEXT) | instid1(VALU_DEP_2)
	v_lshlrev_b64_e64 v[14:15], v15, 1
	v_bfi_b32 v21, v11, 0, 0
	s_delay_alu instid0(VALU_DEP_3) | instskip(SKIP_1) | instid1(VALU_DEP_2)
	v_bfi_b32 v20, v10, 0, v36
	v_lshrrev_b64 v[10:11], v17, v[36:37]
	v_cmp_eq_u64_e64 s7, v[20:21], v[14:15]
	s_delay_alu instid0(VALU_DEP_2)
	v_mov_b64_e32 v[14:15], v[10:11]
	s_and_saveexec_b32 s43, s7
; %bb.4216:                             ;   in Loop: Header=BB4_4032 Depth=2
	v_bfe_u32 v36, v10, 20, 1
	s_delay_alu instid0(VALU_DEP_1) | instskip(NEXT) | instid1(VALU_DEP_1)
	v_add_nc_u64_e32 v[14:15], v[10:11], v[36:37]
	v_add_nc_u64_e32 v[14:15], -1, v[14:15]
; %bb.4217:                             ;   in Loop: Header=BB4_4032 Depth=2
	s_or_b32 exec_lo, exec_lo, s43
	v_add_nc_u32_e32 v3, 0xffffff81, v16
	v_lshrrev_b32_e32 v11, 23, v10
	s_mov_b32 s7, exec_lo
	s_delay_alu instid0(VALU_DEP_2) | instskip(NEXT) | instid1(VALU_DEP_1)
	v_cndmask_b32_e64 v3, v3, 0xffffff82, vcc_lo
	v_add3_u32 v15, v17, v3, v11
	v_and_b32_e32 v3, 0xfffff, v14
	s_delay_alu instid0(VALU_DEP_1) | instskip(NEXT) | instid1(VALU_DEP_1)
	v_dual_add_nc_u32 v14, 6, v15 :: v_dual_add_nc_u32 v36, v3, v10
                                        ; implicit-def: $vgpr10_vgpr11
                                        ; implicit-def: $vgpr3
	v_cmpx_ne_u32_e32 0, v14
	s_xor_b32 s7, exec_lo, s7
; %bb.4218:                             ;   in Loop: Header=BB4_4032 Depth=2
	s_delay_alu instid0(VALU_DEP_2) | instskip(SKIP_2) | instid1(VALU_DEP_2)
	v_cmp_lt_u64_e32 vcc_lo, 0xffffff, v[36:37]
	v_add_nc_u32_e32 v3, 7, v15
	v_cndmask_b32_e64 v10, 0, 1, vcc_lo
	v_cndmask_b32_e32 v3, v14, v3, vcc_lo
	s_delay_alu instid0(VALU_DEP_2)
	v_lshrrev_b64 v[10:11], v10, v[36:37]
; %bb.4219:                             ;   in Loop: Header=BB4_4032 Depth=2
	s_and_not1_saveexec_b32 s7, s7
; %bb.4220:                             ;   in Loop: Header=BB4_4032 Depth=2
	v_mov_b64_e32 v[10:11], v[36:37]
	v_bfe_u32 v3, v36, 23, 1
; %bb.4221:                             ;   in Loop: Header=BB4_4032 Depth=2
	s_or_b32 exec_lo, exec_lo, s7
	s_delay_alu instid0(VALU_DEP_2) | instskip(NEXT) | instid1(VALU_DEP_2)
	v_lshrrev_b64 v[10:11], 20, v[10:11]
	v_cmp_gt_i32_e32 vcc_lo, 16, v3
	v_min_i32_e32 v14, 15, v3
	v_cmp_eq_u32_e64 s7, 0, v3
	s_delay_alu instid0(VALU_DEP_4) | instskip(NEXT) | instid1(VALU_DEP_3)
	v_cndmask_b32_e32 v10, 7, v10, vcc_lo
	v_dual_cndmask_b32 v11, 0, v11 :: v_dual_lshlrev_b32 v14, 3, v14
	s_delay_alu instid0(VALU_DEP_1) | instskip(NEXT) | instid1(VALU_DEP_2)
	v_and_b32_e32 v14, 0xf8, v14
	v_cmp_eq_u64_e32 vcc_lo, 0, v[10:11]
	s_delay_alu instid0(VALU_DEP_2)
	v_and_or_b32 v3, v10, 7, v14
	s_and_b32 s7, s7, vcc_lo
	s_delay_alu instid0(VALU_DEP_1) | instid1(SALU_CYCLE_1)
	v_cndmask_b32_e64 v3, v3, 0, s7
	s_delay_alu instid0(VALU_DEP_1)
	v_or_b32_e32 v88, v3, v2
.LBB4_4222:                             ;   in Loop: Header=BB4_4032 Depth=2
	s_or_b32 exec_lo, exec_lo, s42
                                        ; implicit-def: $vgpr2
.LBB4_4223:                             ;   in Loop: Header=BB4_4032 Depth=2
	s_and_not1_saveexec_b32 s7, s41
; %bb.4224:                             ;   in Loop: Header=BB4_4032 Depth=2
	v_or_b32_e32 v88, 0x7e, v2
; %bb.4225:                             ;   in Loop: Header=BB4_4032 Depth=2
	s_or_b32 exec_lo, exec_lo, s7
                                        ; implicit-def: $vgpr2
.LBB4_4226:                             ;   in Loop: Header=BB4_4032 Depth=2
	s_and_not1_saveexec_b32 s7, s40
; %bb.4227:                             ;   in Loop: Header=BB4_4032 Depth=2
	v_or_b32_e32 v88, 0x7f, v2
; %bb.4228:                             ;   in Loop: Header=BB4_4032 Depth=2
	s_or_b32 exec_lo, exec_lo, s7
	v_and_b32_e32 v3, 0xff, v12
	v_mov_b32_e32 v2, 0
	s_mov_b32 s7, exec_lo
	s_delay_alu instid0(VALU_DEP_2)
	v_cmpx_ne_u16_e32 0, v3
	s_cbranch_execz .LBB4_4234
; %bb.4229:                             ;   in Loop: Header=BB4_4032 Depth=2
	v_bfrev_b32_e32 v2, 1
	s_mov_b32 s40, exec_lo
	v_cmpx_ne_u16_e32 0x80, v3
	s_cbranch_execz .LBB4_4233
; %bb.4230:                             ;   in Loop: Header=BB4_4032 Depth=2
	v_and_b32_e32 v3, 0x7f, v12
	v_mov_b32_e32 v2, 0x7f800001
	s_mov_b32 s41, exec_lo
	s_delay_alu instid0(VALU_DEP_2)
	v_cmpx_ne_u32_e32 0x7f, v3
	s_cbranch_execz .LBB4_4232
; %bb.4231:                             ;   in Loop: Header=BB4_4032 Depth=2
	v_dual_lshrrev_b32 v10, 3, v3 :: v_dual_bitop2_b32 v2, 7, v12 bitop3:0x40
	v_cmp_gt_u32_e32 vcc_lo, 8, v3
	s_delay_alu instid0(VALU_DEP_2) | instskip(NEXT) | instid1(VALU_DEP_1)
	v_clz_i32_u32_e32 v2, v2
	v_min_u32_e32 v2, 32, v2
	s_delay_alu instid0(VALU_DEP_1) | instskip(SKIP_1) | instid1(VALU_DEP_1)
	v_subrev_nc_u32_e32 v11, 28, v2
	v_sub_nc_u32_e32 v2, 29, v2
	v_dual_cndmask_b32 v10, v10, v2, vcc_lo :: v_dual_cndmask_b32 v2, 0, v11, vcc_lo
	s_delay_alu instid0(VALU_DEP_1) | instskip(NEXT) | instid1(VALU_DEP_2)
	v_lshl_add_u32 v10, v10, 23, 0x3c000000
	v_lshlrev_b64_e32 v[2:3], v2, v[12:13]
	v_lshlrev_b32_e32 v3, 24, v12
	s_delay_alu instid0(VALU_DEP_1) | instskip(NEXT) | instid1(VALU_DEP_3)
	v_and_b32_e32 v3, 0x80000000, v3
	v_lshlrev_b32_e32 v2, 20, v2
	s_delay_alu instid0(VALU_DEP_1) | instskip(NEXT) | instid1(VALU_DEP_1)
	v_and_b32_e32 v2, 0x700000, v2
	v_or3_b32 v2, v2, v3, v10
.LBB4_4232:                             ;   in Loop: Header=BB4_4032 Depth=2
	s_or_b32 exec_lo, exec_lo, s41
.LBB4_4233:                             ;   in Loop: Header=BB4_4032 Depth=2
	s_delay_alu instid0(SALU_CYCLE_1)
	s_or_b32 exec_lo, exec_lo, s40
.LBB4_4234:                             ;   in Loop: Header=BB4_4032 Depth=2
	s_delay_alu instid0(SALU_CYCLE_1) | instskip(NEXT) | instid1(VALU_DEP_1)
	s_or_b32 exec_lo, exec_lo, s7
	v_mul_f32_e32 v3, s29, v2
                                        ; implicit-def: $vgpr62
	s_mov_b32 s7, exec_lo
	s_delay_alu instid0(VALU_DEP_1) | instskip(SKIP_1) | instid1(VALU_DEP_2)
	v_and_b32_e32 v36, 0x7f800000, v3
	v_lshrrev_b32_e32 v2, 24, v3
	v_cmpx_ne_u64_e32 0x7f800000, v[36:37]
	s_xor_b32 s40, exec_lo, s7
	s_cbranch_execz .LBB4_4248
; %bb.4235:                             ;   in Loop: Header=BB4_4032 Depth=2
	v_and_b32_e32 v36, 0x7fffffff, v3
	v_and_b32_e32 v2, 0x80, v2
                                        ; implicit-def: $vgpr62
	s_mov_b32 s7, exec_lo
	s_delay_alu instid0(VALU_DEP_2)
	v_cmpx_gt_u64_e32 0x43e00001, v[36:37]
	s_xor_b32 s41, exec_lo, s7
	s_cbranch_execz .LBB4_4245
; %bb.4236:                             ;   in Loop: Header=BB4_4032 Depth=2
	v_mov_b32_e32 v62, 0
	s_mov_b32 s42, exec_lo
	v_cmpx_ne_u32_e32 0, v3
	s_cbranch_execz .LBB4_4244
; %bb.4237:                             ;   in Loop: Header=BB4_4032 Depth=2
	v_bfe_u32 v16, v3, 23, 8
	v_and_b32_e32 v3, 0x7fffff, v3
	s_delay_alu instid0(VALU_DEP_2) | instskip(SKIP_1) | instid1(VALU_DEP_3)
	v_sub_nc_u32_e32 v10, 0x79, v16
	v_cmp_gt_u32_e32 vcc_lo, 0x7a, v16
	v_or_b32_e32 v14, 0x800000, v3
	s_delay_alu instid0(VALU_DEP_3) | instskip(SKIP_1) | instid1(VALU_DEP_2)
	v_cndmask_b32_e32 v10, 0, v10, vcc_lo
	v_cmp_eq_u32_e32 vcc_lo, 0, v16
	v_cndmask_b32_e64 v17, v10, 0x78, vcc_lo
	s_delay_alu instid0(VALU_DEP_1) | instskip(SKIP_1) | instid1(VALU_DEP_2)
	v_dual_cndmask_b32 v36, v14, v3, vcc_lo :: v_dual_add_nc_u32 v10, 20, v17
	v_add_nc_u32_e32 v15, 19, v17
	v_lshlrev_b64_e64 v[10:11], v10, -1
	s_delay_alu instid0(VALU_DEP_2) | instskip(NEXT) | instid1(VALU_DEP_2)
	v_lshlrev_b64_e64 v[14:15], v15, 1
	v_bfi_b32 v21, v11, 0, 0
	s_delay_alu instid0(VALU_DEP_3) | instskip(SKIP_1) | instid1(VALU_DEP_2)
	v_bfi_b32 v20, v10, 0, v36
	v_lshrrev_b64 v[10:11], v17, v[36:37]
	v_cmp_eq_u64_e64 s7, v[20:21], v[14:15]
	s_delay_alu instid0(VALU_DEP_2)
	v_mov_b64_e32 v[14:15], v[10:11]
	s_and_saveexec_b32 s43, s7
; %bb.4238:                             ;   in Loop: Header=BB4_4032 Depth=2
	v_bfe_u32 v36, v10, 20, 1
	s_delay_alu instid0(VALU_DEP_1) | instskip(NEXT) | instid1(VALU_DEP_1)
	v_add_nc_u64_e32 v[14:15], v[10:11], v[36:37]
	v_add_nc_u64_e32 v[14:15], -1, v[14:15]
; %bb.4239:                             ;   in Loop: Header=BB4_4032 Depth=2
	s_or_b32 exec_lo, exec_lo, s43
	v_add_nc_u32_e32 v3, 0xffffff81, v16
	v_lshrrev_b32_e32 v11, 23, v10
	s_mov_b32 s7, exec_lo
	s_delay_alu instid0(VALU_DEP_2) | instskip(NEXT) | instid1(VALU_DEP_1)
	v_cndmask_b32_e64 v3, v3, 0xffffff82, vcc_lo
	v_add3_u32 v15, v17, v3, v11
	v_and_b32_e32 v3, 0xfffff, v14
	s_delay_alu instid0(VALU_DEP_1) | instskip(NEXT) | instid1(VALU_DEP_1)
	v_dual_add_nc_u32 v14, 6, v15 :: v_dual_add_nc_u32 v36, v3, v10
                                        ; implicit-def: $vgpr10_vgpr11
                                        ; implicit-def: $vgpr3
	v_cmpx_ne_u32_e32 0, v14
	s_xor_b32 s7, exec_lo, s7
; %bb.4240:                             ;   in Loop: Header=BB4_4032 Depth=2
	s_delay_alu instid0(VALU_DEP_2) | instskip(SKIP_2) | instid1(VALU_DEP_2)
	v_cmp_lt_u64_e32 vcc_lo, 0xffffff, v[36:37]
	v_add_nc_u32_e32 v3, 7, v15
	v_cndmask_b32_e64 v10, 0, 1, vcc_lo
	v_cndmask_b32_e32 v3, v14, v3, vcc_lo
	s_delay_alu instid0(VALU_DEP_2)
	v_lshrrev_b64 v[10:11], v10, v[36:37]
; %bb.4241:                             ;   in Loop: Header=BB4_4032 Depth=2
	s_and_not1_saveexec_b32 s7, s7
; %bb.4242:                             ;   in Loop: Header=BB4_4032 Depth=2
	v_mov_b64_e32 v[10:11], v[36:37]
	v_bfe_u32 v3, v36, 23, 1
; %bb.4243:                             ;   in Loop: Header=BB4_4032 Depth=2
	s_or_b32 exec_lo, exec_lo, s7
	s_delay_alu instid0(VALU_DEP_2) | instskip(NEXT) | instid1(VALU_DEP_2)
	v_lshrrev_b64 v[10:11], 20, v[10:11]
	v_cmp_gt_i32_e32 vcc_lo, 16, v3
	v_min_i32_e32 v14, 15, v3
	v_cmp_eq_u32_e64 s7, 0, v3
	s_delay_alu instid0(VALU_DEP_4) | instskip(NEXT) | instid1(VALU_DEP_3)
	v_cndmask_b32_e32 v10, 7, v10, vcc_lo
	v_dual_cndmask_b32 v11, 0, v11 :: v_dual_lshlrev_b32 v14, 3, v14
	s_delay_alu instid0(VALU_DEP_1) | instskip(NEXT) | instid1(VALU_DEP_2)
	v_and_b32_e32 v14, 0xf8, v14
	v_cmp_eq_u64_e32 vcc_lo, 0, v[10:11]
	s_delay_alu instid0(VALU_DEP_2)
	v_and_or_b32 v3, v10, 7, v14
	s_and_b32 s7, s7, vcc_lo
	s_delay_alu instid0(VALU_DEP_1) | instid1(SALU_CYCLE_1)
	v_cndmask_b32_e64 v3, v3, 0, s7
	s_delay_alu instid0(VALU_DEP_1)
	v_or_b32_e32 v62, v3, v2
.LBB4_4244:                             ;   in Loop: Header=BB4_4032 Depth=2
	s_or_b32 exec_lo, exec_lo, s42
                                        ; implicit-def: $vgpr2
.LBB4_4245:                             ;   in Loop: Header=BB4_4032 Depth=2
	s_and_not1_saveexec_b32 s7, s41
; %bb.4246:                             ;   in Loop: Header=BB4_4032 Depth=2
	v_or_b32_e32 v62, 0x7e, v2
; %bb.4247:                             ;   in Loop: Header=BB4_4032 Depth=2
	s_or_b32 exec_lo, exec_lo, s7
                                        ; implicit-def: $vgpr2
.LBB4_4248:                             ;   in Loop: Header=BB4_4032 Depth=2
	s_and_not1_saveexec_b32 s7, s40
; %bb.4249:                             ;   in Loop: Header=BB4_4032 Depth=2
	v_or_b32_e32 v62, 0x7f, v2
; %bb.4250:                             ;   in Loop: Header=BB4_4032 Depth=2
	s_or_b32 exec_lo, exec_lo, s7
	v_lshrrev_b16 v3, 8, v12
	v_mov_b32_e32 v2, 0
	s_mov_b32 s7, exec_lo
	s_delay_alu instid0(VALU_DEP_2)
	v_cmpx_ne_u16_e32 0, v3
	s_cbranch_execz .LBB4_4258
; %bb.4251:                             ;   in Loop: Header=BB4_4032 Depth=2
	v_bfrev_b32_e32 v2, 1
	s_mov_b32 s40, exec_lo
	v_cmpx_ne_u16_e32 0x80, v3
	s_cbranch_execz .LBB4_4257
; %bb.4252:                             ;   in Loop: Header=BB4_4032 Depth=2
	v_and_b32_e32 v10, 0xffff, v3
	v_mov_b32_e32 v2, 0x7f800001
	s_mov_b32 s41, exec_lo
	s_delay_alu instid0(VALU_DEP_2) | instskip(NEXT) | instid1(VALU_DEP_1)
	v_and_b32_e32 v3, 0x7f, v10
	v_cmpx_ne_u32_e32 0x7f, v3
	s_cbranch_execz .LBB4_4256
; %bb.4253:                             ;   in Loop: Header=BB4_4032 Depth=2
	v_dual_lshrrev_b32 v2, 3, v3 :: v_dual_bitop2_b32 v36, 7, v10 bitop3:0x40
	s_mov_b32 s42, exec_lo
	v_cmpx_gt_u32_e32 8, v3
; %bb.4254:                             ;   in Loop: Header=BB4_4032 Depth=2
	s_delay_alu instid0(VALU_DEP_2) | instskip(NEXT) | instid1(VALU_DEP_1)
	v_clz_i32_u32_e32 v2, v36
	v_min_u32_e32 v2, 32, v2
	s_delay_alu instid0(VALU_DEP_1) | instskip(SKIP_1) | instid1(VALU_DEP_2)
	v_subrev_nc_u32_e32 v3, 28, v2
	v_sub_nc_u32_e32 v2, 29, v2
	v_lshlrev_b64_e32 v[10:11], v3, v[36:37]
	s_delay_alu instid0(VALU_DEP_1)
	v_and_b32_e32 v36, 7, v10
; %bb.4255:                             ;   in Loop: Header=BB4_4032 Depth=2
	s_or_b32 exec_lo, exec_lo, s42
	v_lshlrev_b32_e32 v3, 16, v12
	s_delay_alu instid0(VALU_DEP_2) | instskip(SKIP_1) | instid1(VALU_DEP_3)
	v_lshlrev_b32_e32 v10, 20, v36
	v_lshl_add_u32 v2, v2, 23, 0x3c000000
	v_and_b32_e32 v3, 0x80000000, v3
	s_delay_alu instid0(VALU_DEP_1)
	v_or3_b32 v2, v10, v3, v2
.LBB4_4256:                             ;   in Loop: Header=BB4_4032 Depth=2
	s_or_b32 exec_lo, exec_lo, s41
.LBB4_4257:                             ;   in Loop: Header=BB4_4032 Depth=2
	s_delay_alu instid0(SALU_CYCLE_1)
	s_or_b32 exec_lo, exec_lo, s40
.LBB4_4258:                             ;   in Loop: Header=BB4_4032 Depth=2
	s_delay_alu instid0(SALU_CYCLE_1) | instskip(NEXT) | instid1(VALU_DEP_1)
	s_or_b32 exec_lo, exec_lo, s7
	v_mul_f32_e32 v3, s29, v2
                                        ; implicit-def: $vgpr75
	s_mov_b32 s7, exec_lo
	s_delay_alu instid0(VALU_DEP_1) | instskip(SKIP_1) | instid1(VALU_DEP_2)
	v_and_b32_e32 v36, 0x7f800000, v3
	v_lshrrev_b32_e32 v2, 24, v3
	v_cmpx_ne_u64_e32 0x7f800000, v[36:37]
	s_xor_b32 s40, exec_lo, s7
	s_cbranch_execz .LBB4_4272
; %bb.4259:                             ;   in Loop: Header=BB4_4032 Depth=2
	v_and_b32_e32 v36, 0x7fffffff, v3
	v_and_b32_e32 v2, 0x80, v2
                                        ; implicit-def: $vgpr75
	s_mov_b32 s7, exec_lo
	s_delay_alu instid0(VALU_DEP_2)
	v_cmpx_gt_u64_e32 0x43e00001, v[36:37]
	s_xor_b32 s41, exec_lo, s7
	s_cbranch_execz .LBB4_4269
; %bb.4260:                             ;   in Loop: Header=BB4_4032 Depth=2
	v_mov_b32_e32 v75, 0
	s_mov_b32 s42, exec_lo
	v_cmpx_ne_u32_e32 0, v3
	s_cbranch_execz .LBB4_4268
; %bb.4261:                             ;   in Loop: Header=BB4_4032 Depth=2
	v_bfe_u32 v16, v3, 23, 8
	v_and_b32_e32 v3, 0x7fffff, v3
	s_delay_alu instid0(VALU_DEP_2) | instskip(SKIP_1) | instid1(VALU_DEP_3)
	v_sub_nc_u32_e32 v10, 0x79, v16
	v_cmp_gt_u32_e32 vcc_lo, 0x7a, v16
	v_or_b32_e32 v14, 0x800000, v3
	s_delay_alu instid0(VALU_DEP_3) | instskip(SKIP_1) | instid1(VALU_DEP_2)
	v_cndmask_b32_e32 v10, 0, v10, vcc_lo
	v_cmp_eq_u32_e32 vcc_lo, 0, v16
	v_cndmask_b32_e64 v17, v10, 0x78, vcc_lo
	s_delay_alu instid0(VALU_DEP_1) | instskip(SKIP_1) | instid1(VALU_DEP_2)
	v_dual_cndmask_b32 v36, v14, v3, vcc_lo :: v_dual_add_nc_u32 v10, 20, v17
	v_add_nc_u32_e32 v15, 19, v17
	v_lshlrev_b64_e64 v[10:11], v10, -1
	s_delay_alu instid0(VALU_DEP_2) | instskip(NEXT) | instid1(VALU_DEP_2)
	v_lshlrev_b64_e64 v[14:15], v15, 1
	v_bfi_b32 v21, v11, 0, 0
	s_delay_alu instid0(VALU_DEP_3) | instskip(SKIP_1) | instid1(VALU_DEP_2)
	v_bfi_b32 v20, v10, 0, v36
	v_lshrrev_b64 v[10:11], v17, v[36:37]
	v_cmp_eq_u64_e64 s7, v[20:21], v[14:15]
	s_delay_alu instid0(VALU_DEP_2)
	v_mov_b64_e32 v[14:15], v[10:11]
	s_and_saveexec_b32 s43, s7
; %bb.4262:                             ;   in Loop: Header=BB4_4032 Depth=2
	v_bfe_u32 v36, v10, 20, 1
	s_delay_alu instid0(VALU_DEP_1) | instskip(NEXT) | instid1(VALU_DEP_1)
	v_add_nc_u64_e32 v[14:15], v[10:11], v[36:37]
	v_add_nc_u64_e32 v[14:15], -1, v[14:15]
; %bb.4263:                             ;   in Loop: Header=BB4_4032 Depth=2
	s_or_b32 exec_lo, exec_lo, s43
	v_add_nc_u32_e32 v3, 0xffffff81, v16
	v_lshrrev_b32_e32 v11, 23, v10
	s_mov_b32 s7, exec_lo
	s_delay_alu instid0(VALU_DEP_2) | instskip(NEXT) | instid1(VALU_DEP_1)
	v_cndmask_b32_e64 v3, v3, 0xffffff82, vcc_lo
	v_add3_u32 v15, v17, v3, v11
	v_and_b32_e32 v3, 0xfffff, v14
	s_delay_alu instid0(VALU_DEP_1) | instskip(NEXT) | instid1(VALU_DEP_1)
	v_dual_add_nc_u32 v14, 6, v15 :: v_dual_add_nc_u32 v36, v3, v10
                                        ; implicit-def: $vgpr10_vgpr11
                                        ; implicit-def: $vgpr3
	v_cmpx_ne_u32_e32 0, v14
	s_xor_b32 s7, exec_lo, s7
; %bb.4264:                             ;   in Loop: Header=BB4_4032 Depth=2
	s_delay_alu instid0(VALU_DEP_2) | instskip(SKIP_2) | instid1(VALU_DEP_2)
	v_cmp_lt_u64_e32 vcc_lo, 0xffffff, v[36:37]
	v_add_nc_u32_e32 v3, 7, v15
	v_cndmask_b32_e64 v10, 0, 1, vcc_lo
	v_cndmask_b32_e32 v3, v14, v3, vcc_lo
	s_delay_alu instid0(VALU_DEP_2)
	v_lshrrev_b64 v[10:11], v10, v[36:37]
; %bb.4265:                             ;   in Loop: Header=BB4_4032 Depth=2
	s_and_not1_saveexec_b32 s7, s7
; %bb.4266:                             ;   in Loop: Header=BB4_4032 Depth=2
	v_mov_b64_e32 v[10:11], v[36:37]
	v_bfe_u32 v3, v36, 23, 1
; %bb.4267:                             ;   in Loop: Header=BB4_4032 Depth=2
	s_or_b32 exec_lo, exec_lo, s7
	s_delay_alu instid0(VALU_DEP_2) | instskip(NEXT) | instid1(VALU_DEP_2)
	v_lshrrev_b64 v[10:11], 20, v[10:11]
	v_cmp_gt_i32_e32 vcc_lo, 16, v3
	v_min_i32_e32 v14, 15, v3
	v_cmp_eq_u32_e64 s7, 0, v3
	s_delay_alu instid0(VALU_DEP_4) | instskip(NEXT) | instid1(VALU_DEP_3)
	v_cndmask_b32_e32 v10, 7, v10, vcc_lo
	v_dual_cndmask_b32 v11, 0, v11 :: v_dual_lshlrev_b32 v14, 3, v14
	s_delay_alu instid0(VALU_DEP_1) | instskip(NEXT) | instid1(VALU_DEP_2)
	v_and_b32_e32 v14, 0xf8, v14
	v_cmp_eq_u64_e32 vcc_lo, 0, v[10:11]
	s_delay_alu instid0(VALU_DEP_2)
	v_and_or_b32 v3, v10, 7, v14
	s_and_b32 s7, s7, vcc_lo
	s_delay_alu instid0(VALU_DEP_1) | instid1(SALU_CYCLE_1)
	v_cndmask_b32_e64 v3, v3, 0, s7
	s_delay_alu instid0(VALU_DEP_1)
	v_or_b32_e32 v75, v3, v2
.LBB4_4268:                             ;   in Loop: Header=BB4_4032 Depth=2
	s_or_b32 exec_lo, exec_lo, s42
                                        ; implicit-def: $vgpr2
.LBB4_4269:                             ;   in Loop: Header=BB4_4032 Depth=2
	s_and_not1_saveexec_b32 s7, s41
; %bb.4270:                             ;   in Loop: Header=BB4_4032 Depth=2
	v_or_b32_e32 v75, 0x7e, v2
; %bb.4271:                             ;   in Loop: Header=BB4_4032 Depth=2
	s_or_b32 exec_lo, exec_lo, s7
                                        ; implicit-def: $vgpr2
.LBB4_4272:                             ;   in Loop: Header=BB4_4032 Depth=2
	s_and_not1_saveexec_b32 s7, s40
; %bb.4273:                             ;   in Loop: Header=BB4_4032 Depth=2
	v_or_b32_e32 v75, 0x7f, v2
; %bb.4274:                             ;   in Loop: Header=BB4_4032 Depth=2
	s_or_b32 exec_lo, exec_lo, s7
	v_dual_mov_b32 v3, 0 :: v_dual_lshrrev_b32 v2, 16, v12
	s_mov_b32 s7, exec_lo
	s_delay_alu instid0(VALU_DEP_1) | instskip(NEXT) | instid1(VALU_DEP_1)
	v_and_b32_e32 v10, 0xff, v2
	v_cmpx_ne_u16_e32 0, v10
	s_cbranch_execz .LBB4_4282
; %bb.4275:                             ;   in Loop: Header=BB4_4032 Depth=2
	v_bfrev_b32_e32 v3, 1
	s_mov_b32 s40, exec_lo
	v_cmpx_ne_u16_e32 0x80, v10
	s_cbranch_execz .LBB4_4281
; %bb.4276:                             ;   in Loop: Header=BB4_4032 Depth=2
	v_bfe_u32 v10, v12, 16, 7
	v_mov_b32_e32 v3, 0x7f800001
	s_mov_b32 s41, exec_lo
	s_delay_alu instid0(VALU_DEP_2)
	v_cmpx_ne_u32_e32 0x7f, v10
	s_cbranch_execz .LBB4_4280
; %bb.4277:                             ;   in Loop: Header=BB4_4032 Depth=2
	v_and_b32_e32 v36, 7, v2
	v_lshrrev_b32_e32 v3, 3, v10
	s_mov_b32 s42, exec_lo
	v_cmpx_gt_u32_e32 8, v10
; %bb.4278:                             ;   in Loop: Header=BB4_4032 Depth=2
	s_delay_alu instid0(VALU_DEP_3) | instskip(NEXT) | instid1(VALU_DEP_1)
	v_clz_i32_u32_e32 v3, v36
	v_min_u32_e32 v3, 32, v3
	s_delay_alu instid0(VALU_DEP_1) | instskip(NEXT) | instid1(VALU_DEP_1)
	v_subrev_nc_u32_e32 v10, 28, v3
	v_lshlrev_b64_e32 v[10:11], v10, v[36:37]
	s_delay_alu instid0(VALU_DEP_1)
	v_dual_sub_nc_u32 v3, 29, v3 :: v_dual_bitop2_b32 v36, 7, v10 bitop3:0x40
; %bb.4279:                             ;   in Loop: Header=BB4_4032 Depth=2
	s_or_b32 exec_lo, exec_lo, s42
	s_delay_alu instid0(VALU_DEP_1) | instskip(NEXT) | instid1(VALU_DEP_2)
	v_dual_lshlrev_b32 v2, 24, v2 :: v_dual_lshlrev_b32 v10, 20, v36
	v_lshl_add_u32 v3, v3, 23, 0x3c000000
	s_delay_alu instid0(VALU_DEP_2) | instskip(NEXT) | instid1(VALU_DEP_1)
	v_and_b32_e32 v2, 0x80000000, v2
	v_or3_b32 v3, v10, v2, v3
.LBB4_4280:                             ;   in Loop: Header=BB4_4032 Depth=2
	s_or_b32 exec_lo, exec_lo, s41
.LBB4_4281:                             ;   in Loop: Header=BB4_4032 Depth=2
	s_delay_alu instid0(SALU_CYCLE_1)
	s_or_b32 exec_lo, exec_lo, s40
.LBB4_4282:                             ;   in Loop: Header=BB4_4032 Depth=2
	s_delay_alu instid0(SALU_CYCLE_1) | instskip(NEXT) | instid1(VALU_DEP_1)
	s_or_b32 exec_lo, exec_lo, s7
	v_mul_f32_e32 v3, s29, v3
                                        ; implicit-def: $vgpr77
	s_mov_b32 s7, exec_lo
	s_delay_alu instid0(VALU_DEP_1) | instskip(SKIP_1) | instid1(VALU_DEP_2)
	v_and_b32_e32 v36, 0x7f800000, v3
	v_lshrrev_b32_e32 v2, 24, v3
	v_cmpx_ne_u64_e32 0x7f800000, v[36:37]
	s_xor_b32 s40, exec_lo, s7
	s_cbranch_execz .LBB4_4296
; %bb.4283:                             ;   in Loop: Header=BB4_4032 Depth=2
	v_and_b32_e32 v36, 0x7fffffff, v3
	v_and_b32_e32 v2, 0x80, v2
                                        ; implicit-def: $vgpr77
	s_mov_b32 s7, exec_lo
	s_delay_alu instid0(VALU_DEP_2)
	v_cmpx_gt_u64_e32 0x43e00001, v[36:37]
	s_xor_b32 s41, exec_lo, s7
	s_cbranch_execz .LBB4_4293
; %bb.4284:                             ;   in Loop: Header=BB4_4032 Depth=2
	v_mov_b32_e32 v77, 0
	s_mov_b32 s42, exec_lo
	v_cmpx_ne_u32_e32 0, v3
	s_cbranch_execz .LBB4_4292
; %bb.4285:                             ;   in Loop: Header=BB4_4032 Depth=2
	v_bfe_u32 v16, v3, 23, 8
	v_and_b32_e32 v3, 0x7fffff, v3
	s_delay_alu instid0(VALU_DEP_2) | instskip(SKIP_1) | instid1(VALU_DEP_3)
	v_sub_nc_u32_e32 v10, 0x79, v16
	v_cmp_gt_u32_e32 vcc_lo, 0x7a, v16
	v_or_b32_e32 v14, 0x800000, v3
	s_delay_alu instid0(VALU_DEP_3) | instskip(SKIP_1) | instid1(VALU_DEP_2)
	v_cndmask_b32_e32 v10, 0, v10, vcc_lo
	v_cmp_eq_u32_e32 vcc_lo, 0, v16
	v_cndmask_b32_e64 v17, v10, 0x78, vcc_lo
	s_delay_alu instid0(VALU_DEP_1) | instskip(SKIP_1) | instid1(VALU_DEP_2)
	v_dual_cndmask_b32 v36, v14, v3, vcc_lo :: v_dual_add_nc_u32 v10, 20, v17
	v_add_nc_u32_e32 v15, 19, v17
	v_lshlrev_b64_e64 v[10:11], v10, -1
	s_delay_alu instid0(VALU_DEP_2) | instskip(NEXT) | instid1(VALU_DEP_2)
	v_lshlrev_b64_e64 v[14:15], v15, 1
	v_bfi_b32 v21, v11, 0, 0
	s_delay_alu instid0(VALU_DEP_3) | instskip(SKIP_1) | instid1(VALU_DEP_2)
	v_bfi_b32 v20, v10, 0, v36
	v_lshrrev_b64 v[10:11], v17, v[36:37]
	v_cmp_eq_u64_e64 s7, v[20:21], v[14:15]
	s_delay_alu instid0(VALU_DEP_2)
	v_mov_b64_e32 v[14:15], v[10:11]
	s_and_saveexec_b32 s43, s7
; %bb.4286:                             ;   in Loop: Header=BB4_4032 Depth=2
	v_bfe_u32 v36, v10, 20, 1
	s_delay_alu instid0(VALU_DEP_1) | instskip(NEXT) | instid1(VALU_DEP_1)
	v_add_nc_u64_e32 v[14:15], v[10:11], v[36:37]
	v_add_nc_u64_e32 v[14:15], -1, v[14:15]
; %bb.4287:                             ;   in Loop: Header=BB4_4032 Depth=2
	s_or_b32 exec_lo, exec_lo, s43
	v_add_nc_u32_e32 v3, 0xffffff81, v16
	v_lshrrev_b32_e32 v11, 23, v10
	s_mov_b32 s7, exec_lo
	s_delay_alu instid0(VALU_DEP_2) | instskip(NEXT) | instid1(VALU_DEP_1)
	v_cndmask_b32_e64 v3, v3, 0xffffff82, vcc_lo
	v_add3_u32 v15, v17, v3, v11
	v_and_b32_e32 v3, 0xfffff, v14
	s_delay_alu instid0(VALU_DEP_1) | instskip(NEXT) | instid1(VALU_DEP_1)
	v_dual_add_nc_u32 v14, 6, v15 :: v_dual_add_nc_u32 v36, v3, v10
                                        ; implicit-def: $vgpr10_vgpr11
                                        ; implicit-def: $vgpr3
	v_cmpx_ne_u32_e32 0, v14
	s_xor_b32 s7, exec_lo, s7
; %bb.4288:                             ;   in Loop: Header=BB4_4032 Depth=2
	s_delay_alu instid0(VALU_DEP_2) | instskip(SKIP_2) | instid1(VALU_DEP_2)
	v_cmp_lt_u64_e32 vcc_lo, 0xffffff, v[36:37]
	v_add_nc_u32_e32 v3, 7, v15
	v_cndmask_b32_e64 v10, 0, 1, vcc_lo
	v_cndmask_b32_e32 v3, v14, v3, vcc_lo
	s_delay_alu instid0(VALU_DEP_2)
	v_lshrrev_b64 v[10:11], v10, v[36:37]
; %bb.4289:                             ;   in Loop: Header=BB4_4032 Depth=2
	s_and_not1_saveexec_b32 s7, s7
; %bb.4290:                             ;   in Loop: Header=BB4_4032 Depth=2
	v_mov_b64_e32 v[10:11], v[36:37]
	v_bfe_u32 v3, v36, 23, 1
; %bb.4291:                             ;   in Loop: Header=BB4_4032 Depth=2
	s_or_b32 exec_lo, exec_lo, s7
	s_delay_alu instid0(VALU_DEP_2) | instskip(NEXT) | instid1(VALU_DEP_2)
	v_lshrrev_b64 v[10:11], 20, v[10:11]
	v_cmp_gt_i32_e32 vcc_lo, 16, v3
	v_min_i32_e32 v14, 15, v3
	v_cmp_eq_u32_e64 s7, 0, v3
	s_delay_alu instid0(VALU_DEP_4) | instskip(NEXT) | instid1(VALU_DEP_3)
	v_cndmask_b32_e32 v10, 7, v10, vcc_lo
	v_dual_cndmask_b32 v11, 0, v11 :: v_dual_lshlrev_b32 v14, 3, v14
	s_delay_alu instid0(VALU_DEP_1) | instskip(NEXT) | instid1(VALU_DEP_2)
	v_and_b32_e32 v14, 0xf8, v14
	v_cmp_eq_u64_e32 vcc_lo, 0, v[10:11]
	s_delay_alu instid0(VALU_DEP_2)
	v_and_or_b32 v3, v10, 7, v14
	s_and_b32 s7, s7, vcc_lo
	s_delay_alu instid0(VALU_DEP_1) | instid1(SALU_CYCLE_1)
	v_cndmask_b32_e64 v3, v3, 0, s7
	s_delay_alu instid0(VALU_DEP_1)
	v_or_b32_e32 v77, v3, v2
.LBB4_4292:                             ;   in Loop: Header=BB4_4032 Depth=2
	s_or_b32 exec_lo, exec_lo, s42
                                        ; implicit-def: $vgpr2
.LBB4_4293:                             ;   in Loop: Header=BB4_4032 Depth=2
	s_and_not1_saveexec_b32 s7, s41
; %bb.4294:                             ;   in Loop: Header=BB4_4032 Depth=2
	v_or_b32_e32 v77, 0x7e, v2
; %bb.4295:                             ;   in Loop: Header=BB4_4032 Depth=2
	s_or_b32 exec_lo, exec_lo, s7
                                        ; implicit-def: $vgpr2
.LBB4_4296:                             ;   in Loop: Header=BB4_4032 Depth=2
	s_and_not1_saveexec_b32 s7, s40
; %bb.4297:                             ;   in Loop: Header=BB4_4032 Depth=2
	v_or_b32_e32 v77, 0x7f, v2
; %bb.4298:                             ;   in Loop: Header=BB4_4032 Depth=2
	s_or_b32 exec_lo, exec_lo, s7
	v_mov_b32_e32 v3, 0
	s_mov_b32 s7, exec_lo
	v_cmpx_lt_u32_e32 0xffffff, v12
	s_cbranch_execz .LBB4_4306
; %bb.4299:                             ;   in Loop: Header=BB4_4032 Depth=2
	v_lshrrev_b32_e32 v2, 24, v12
	v_bfrev_b32_e32 v3, 1
	s_mov_b32 s40, exec_lo
	s_delay_alu instid0(VALU_DEP_2)
	v_cmpx_ne_u32_e32 0x80, v2
	s_cbranch_execz .LBB4_4305
; %bb.4300:                             ;   in Loop: Header=BB4_4032 Depth=2
	v_bfe_u32 v10, v12, 24, 7
	v_mov_b32_e32 v3, 0x7f800001
	s_mov_b32 s41, exec_lo
	s_delay_alu instid0(VALU_DEP_2)
	v_cmpx_ne_u32_e32 0x7f, v10
	s_cbranch_execz .LBB4_4304
; %bb.4301:                             ;   in Loop: Header=BB4_4032 Depth=2
	v_and_b32_e32 v36, 7, v2
	v_lshrrev_b32_e32 v3, 3, v10
	s_mov_b32 s42, exec_lo
	v_cmpx_gt_u32_e32 8, v10
; %bb.4302:                             ;   in Loop: Header=BB4_4032 Depth=2
	s_delay_alu instid0(VALU_DEP_3) | instskip(NEXT) | instid1(VALU_DEP_1)
	v_clz_i32_u32_e32 v3, v36
	v_min_u32_e32 v3, 32, v3
	s_delay_alu instid0(VALU_DEP_1) | instskip(NEXT) | instid1(VALU_DEP_1)
	v_subrev_nc_u32_e32 v10, 28, v3
	v_lshlrev_b64_e32 v[10:11], v10, v[36:37]
	s_delay_alu instid0(VALU_DEP_1)
	v_dual_sub_nc_u32 v3, 29, v3 :: v_dual_bitop2_b32 v36, 7, v10 bitop3:0x40
; %bb.4303:                             ;   in Loop: Header=BB4_4032 Depth=2
	s_or_b32 exec_lo, exec_lo, s42
	s_delay_alu instid0(VALU_DEP_1) | instskip(NEXT) | instid1(VALU_DEP_2)
	v_dual_lshlrev_b32 v2, 24, v2 :: v_dual_lshlrev_b32 v10, 20, v36
	v_lshl_add_u32 v3, v3, 23, 0x3c000000
	s_delay_alu instid0(VALU_DEP_2) | instskip(NEXT) | instid1(VALU_DEP_1)
	v_and_b32_e32 v2, 0x80000000, v2
	v_or3_b32 v3, v10, v2, v3
.LBB4_4304:                             ;   in Loop: Header=BB4_4032 Depth=2
	s_or_b32 exec_lo, exec_lo, s41
.LBB4_4305:                             ;   in Loop: Header=BB4_4032 Depth=2
	s_delay_alu instid0(SALU_CYCLE_1)
	s_or_b32 exec_lo, exec_lo, s40
.LBB4_4306:                             ;   in Loop: Header=BB4_4032 Depth=2
	s_delay_alu instid0(SALU_CYCLE_1) | instskip(NEXT) | instid1(VALU_DEP_1)
	s_or_b32 exec_lo, exec_lo, s7
	v_mul_f32_e32 v3, s29, v3
                                        ; implicit-def: $vgpr78
	s_mov_b32 s7, exec_lo
	s_delay_alu instid0(VALU_DEP_1) | instskip(SKIP_1) | instid1(VALU_DEP_2)
	v_and_b32_e32 v36, 0x7f800000, v3
	v_lshrrev_b32_e32 v2, 24, v3
	v_cmpx_ne_u64_e32 0x7f800000, v[36:37]
	s_xor_b32 s40, exec_lo, s7
	s_cbranch_execz .LBB4_4320
; %bb.4307:                             ;   in Loop: Header=BB4_4032 Depth=2
	v_and_b32_e32 v36, 0x7fffffff, v3
	v_and_b32_e32 v2, 0x80, v2
                                        ; implicit-def: $vgpr78
	s_mov_b32 s7, exec_lo
	s_delay_alu instid0(VALU_DEP_2)
	v_cmpx_gt_u64_e32 0x43e00001, v[36:37]
	s_xor_b32 s41, exec_lo, s7
	s_cbranch_execz .LBB4_4317
; %bb.4308:                             ;   in Loop: Header=BB4_4032 Depth=2
	v_mov_b32_e32 v78, 0
	s_mov_b32 s42, exec_lo
	v_cmpx_ne_u32_e32 0, v3
	s_cbranch_execz .LBB4_4316
; %bb.4309:                             ;   in Loop: Header=BB4_4032 Depth=2
	v_bfe_u32 v16, v3, 23, 8
	v_and_b32_e32 v3, 0x7fffff, v3
	s_delay_alu instid0(VALU_DEP_2) | instskip(SKIP_1) | instid1(VALU_DEP_3)
	v_sub_nc_u32_e32 v10, 0x79, v16
	v_cmp_gt_u32_e32 vcc_lo, 0x7a, v16
	v_or_b32_e32 v14, 0x800000, v3
	s_delay_alu instid0(VALU_DEP_3) | instskip(SKIP_1) | instid1(VALU_DEP_2)
	v_cndmask_b32_e32 v10, 0, v10, vcc_lo
	v_cmp_eq_u32_e32 vcc_lo, 0, v16
	v_cndmask_b32_e64 v17, v10, 0x78, vcc_lo
	s_delay_alu instid0(VALU_DEP_1) | instskip(SKIP_1) | instid1(VALU_DEP_2)
	v_dual_cndmask_b32 v36, v14, v3, vcc_lo :: v_dual_add_nc_u32 v10, 20, v17
	v_add_nc_u32_e32 v15, 19, v17
	v_lshlrev_b64_e64 v[10:11], v10, -1
	s_delay_alu instid0(VALU_DEP_2) | instskip(NEXT) | instid1(VALU_DEP_2)
	v_lshlrev_b64_e64 v[14:15], v15, 1
	v_bfi_b32 v21, v11, 0, 0
	s_delay_alu instid0(VALU_DEP_3) | instskip(SKIP_1) | instid1(VALU_DEP_2)
	v_bfi_b32 v20, v10, 0, v36
	v_lshrrev_b64 v[10:11], v17, v[36:37]
	v_cmp_eq_u64_e64 s7, v[20:21], v[14:15]
	s_delay_alu instid0(VALU_DEP_2)
	v_mov_b64_e32 v[14:15], v[10:11]
	s_and_saveexec_b32 s43, s7
; %bb.4310:                             ;   in Loop: Header=BB4_4032 Depth=2
	v_bfe_u32 v36, v10, 20, 1
	s_delay_alu instid0(VALU_DEP_1) | instskip(NEXT) | instid1(VALU_DEP_1)
	v_add_nc_u64_e32 v[14:15], v[10:11], v[36:37]
	v_add_nc_u64_e32 v[14:15], -1, v[14:15]
; %bb.4311:                             ;   in Loop: Header=BB4_4032 Depth=2
	s_or_b32 exec_lo, exec_lo, s43
	v_add_nc_u32_e32 v3, 0xffffff81, v16
	v_lshrrev_b32_e32 v11, 23, v10
	s_mov_b32 s7, exec_lo
	s_delay_alu instid0(VALU_DEP_2) | instskip(NEXT) | instid1(VALU_DEP_1)
	v_cndmask_b32_e64 v3, v3, 0xffffff82, vcc_lo
	v_add3_u32 v15, v17, v3, v11
	v_and_b32_e32 v3, 0xfffff, v14
	s_delay_alu instid0(VALU_DEP_1) | instskip(NEXT) | instid1(VALU_DEP_1)
	v_dual_add_nc_u32 v14, 6, v15 :: v_dual_add_nc_u32 v36, v3, v10
                                        ; implicit-def: $vgpr10_vgpr11
                                        ; implicit-def: $vgpr3
	v_cmpx_ne_u32_e32 0, v14
	s_xor_b32 s7, exec_lo, s7
; %bb.4312:                             ;   in Loop: Header=BB4_4032 Depth=2
	s_delay_alu instid0(VALU_DEP_2) | instskip(SKIP_2) | instid1(VALU_DEP_2)
	v_cmp_lt_u64_e32 vcc_lo, 0xffffff, v[36:37]
	v_add_nc_u32_e32 v3, 7, v15
	v_cndmask_b32_e64 v10, 0, 1, vcc_lo
	v_cndmask_b32_e32 v3, v14, v3, vcc_lo
	s_delay_alu instid0(VALU_DEP_2)
	v_lshrrev_b64 v[10:11], v10, v[36:37]
; %bb.4313:                             ;   in Loop: Header=BB4_4032 Depth=2
	s_and_not1_saveexec_b32 s7, s7
; %bb.4314:                             ;   in Loop: Header=BB4_4032 Depth=2
	v_mov_b64_e32 v[10:11], v[36:37]
	v_bfe_u32 v3, v36, 23, 1
; %bb.4315:                             ;   in Loop: Header=BB4_4032 Depth=2
	s_or_b32 exec_lo, exec_lo, s7
	s_delay_alu instid0(VALU_DEP_2) | instskip(NEXT) | instid1(VALU_DEP_2)
	v_lshrrev_b64 v[10:11], 20, v[10:11]
	v_cmp_gt_i32_e32 vcc_lo, 16, v3
	v_min_i32_e32 v14, 15, v3
	v_cmp_eq_u32_e64 s7, 0, v3
	s_delay_alu instid0(VALU_DEP_4) | instskip(NEXT) | instid1(VALU_DEP_3)
	v_cndmask_b32_e32 v10, 7, v10, vcc_lo
	v_dual_cndmask_b32 v11, 0, v11 :: v_dual_lshlrev_b32 v14, 3, v14
	s_delay_alu instid0(VALU_DEP_1) | instskip(NEXT) | instid1(VALU_DEP_2)
	v_and_b32_e32 v14, 0xf8, v14
	v_cmp_eq_u64_e32 vcc_lo, 0, v[10:11]
	s_delay_alu instid0(VALU_DEP_2)
	v_and_or_b32 v3, v10, 7, v14
	s_and_b32 s7, s7, vcc_lo
	s_delay_alu instid0(VALU_DEP_1) | instid1(SALU_CYCLE_1)
	v_cndmask_b32_e64 v3, v3, 0, s7
	s_delay_alu instid0(VALU_DEP_1)
	v_or_b32_e32 v78, v3, v2
.LBB4_4316:                             ;   in Loop: Header=BB4_4032 Depth=2
	s_or_b32 exec_lo, exec_lo, s42
                                        ; implicit-def: $vgpr2
.LBB4_4317:                             ;   in Loop: Header=BB4_4032 Depth=2
	s_and_not1_saveexec_b32 s7, s41
; %bb.4318:                             ;   in Loop: Header=BB4_4032 Depth=2
	v_or_b32_e32 v78, 0x7e, v2
; %bb.4319:                             ;   in Loop: Header=BB4_4032 Depth=2
	s_or_b32 exec_lo, exec_lo, s7
                                        ; implicit-def: $vgpr2
.LBB4_4320:                             ;   in Loop: Header=BB4_4032 Depth=2
	s_and_not1_saveexec_b32 s7, s40
; %bb.4321:                             ;   in Loop: Header=BB4_4032 Depth=2
	v_or_b32_e32 v78, 0x7f, v2
; %bb.4322:                             ;   in Loop: Header=BB4_4032 Depth=2
	s_or_b32 exec_lo, exec_lo, s7
	v_and_b32_e32 v3, 0xff, v13
	v_dual_mov_b32 v36, v13 :: v_dual_mov_b32 v2, 0
	s_mov_b32 s7, exec_lo
	s_delay_alu instid0(VALU_DEP_2)
	v_cmpx_ne_u16_e32 0, v3
	s_cbranch_execz .LBB4_4328
; %bb.4323:                             ;   in Loop: Header=BB4_4032 Depth=2
	v_bfrev_b32_e32 v2, 1
	s_mov_b32 s40, exec_lo
	v_cmpx_ne_u16_e32 0x80, v3
	s_cbranch_execz .LBB4_4327
; %bb.4324:                             ;   in Loop: Header=BB4_4032 Depth=2
	v_and_b32_e32 v3, 0x7f, v13
	v_mov_b32_e32 v2, 0x7f800001
	s_mov_b32 s41, exec_lo
	s_delay_alu instid0(VALU_DEP_2)
	v_cmpx_ne_u32_e32 0x7f, v3
	s_cbranch_execz .LBB4_4326
; %bb.4325:                             ;   in Loop: Header=BB4_4032 Depth=2
	v_dual_lshrrev_b32 v10, 3, v3 :: v_dual_bitop2_b32 v2, 7, v13 bitop3:0x40
	v_cmp_gt_u32_e32 vcc_lo, 8, v3
	s_delay_alu instid0(VALU_DEP_2) | instskip(NEXT) | instid1(VALU_DEP_1)
	v_clz_i32_u32_e32 v2, v2
	v_min_u32_e32 v2, 32, v2
	s_delay_alu instid0(VALU_DEP_1) | instskip(SKIP_1) | instid1(VALU_DEP_1)
	v_subrev_nc_u32_e32 v11, 28, v2
	v_sub_nc_u32_e32 v2, 29, v2
	v_dual_cndmask_b32 v10, v10, v2, vcc_lo :: v_dual_cndmask_b32 v2, 0, v11, vcc_lo
	s_delay_alu instid0(VALU_DEP_1) | instskip(NEXT) | instid1(VALU_DEP_2)
	v_lshl_add_u32 v10, v10, 23, 0x3c000000
	v_lshlrev_b64_e32 v[2:3], v2, v[36:37]
	v_lshlrev_b32_e32 v3, 24, v36
	s_delay_alu instid0(VALU_DEP_1) | instskip(NEXT) | instid1(VALU_DEP_3)
	v_and_b32_e32 v3, 0x80000000, v3
	v_lshlrev_b32_e32 v2, 20, v2
	s_delay_alu instid0(VALU_DEP_1) | instskip(NEXT) | instid1(VALU_DEP_1)
	v_and_b32_e32 v2, 0x700000, v2
	v_or3_b32 v2, v2, v3, v10
.LBB4_4326:                             ;   in Loop: Header=BB4_4032 Depth=2
	s_or_b32 exec_lo, exec_lo, s41
.LBB4_4327:                             ;   in Loop: Header=BB4_4032 Depth=2
	s_delay_alu instid0(SALU_CYCLE_1)
	s_or_b32 exec_lo, exec_lo, s40
.LBB4_4328:                             ;   in Loop: Header=BB4_4032 Depth=2
	s_delay_alu instid0(SALU_CYCLE_1) | instskip(NEXT) | instid1(VALU_DEP_1)
	s_or_b32 exec_lo, exec_lo, s7
	v_dual_mul_f32 v3, s29, v2 :: v_dual_mov_b32 v11, v37
                                        ; implicit-def: $vgpr58
	s_mov_b32 s7, exec_lo
	s_delay_alu instid0(VALU_DEP_1) | instskip(SKIP_1) | instid1(VALU_DEP_2)
	v_and_b32_e32 v10, 0x7f800000, v3
	v_lshrrev_b32_e32 v2, 24, v3
	v_cmpx_ne_u64_e32 0x7f800000, v[10:11]
	s_xor_b32 s40, exec_lo, s7
	s_cbranch_execz .LBB4_4342
; %bb.4329:                             ;   in Loop: Header=BB4_4032 Depth=2
	v_and_b32_e32 v10, 0x7fffffff, v3
	v_mov_b32_e32 v11, v37
	v_and_b32_e32 v2, 0x80, v2
                                        ; implicit-def: $vgpr58
	s_mov_b32 s7, exec_lo
	s_delay_alu instid0(VALU_DEP_2)
	v_cmpx_gt_u64_e32 0x43e00001, v[10:11]
	s_xor_b32 s41, exec_lo, s7
	s_cbranch_execz .LBB4_4339
; %bb.4330:                             ;   in Loop: Header=BB4_4032 Depth=2
	v_mov_b32_e32 v58, 0
	s_mov_b32 s42, exec_lo
	v_cmpx_ne_u32_e32 0, v3
	s_cbranch_execz .LBB4_4338
; %bb.4331:                             ;   in Loop: Header=BB4_4032 Depth=2
	v_bfe_u32 v16, v3, 23, 8
	v_and_b32_e32 v3, 0x7fffff, v3
	s_mov_b32 s43, exec_lo
	s_delay_alu instid0(VALU_DEP_2) | instskip(SKIP_1) | instid1(VALU_DEP_3)
	v_dual_mov_b32 v15, v37 :: v_dual_sub_nc_u32 v10, 0x79, v16
	v_cmp_gt_u32_e32 vcc_lo, 0x7a, v16
	v_or_b32_e32 v14, 0x800000, v3
	s_delay_alu instid0(VALU_DEP_3) | instskip(SKIP_1) | instid1(VALU_DEP_2)
	v_cndmask_b32_e32 v10, 0, v10, vcc_lo
	v_cmp_eq_u32_e32 vcc_lo, 0, v16
	v_cndmask_b32_e64 v17, v10, 0x78, vcc_lo
	s_delay_alu instid0(VALU_DEP_1) | instskip(SKIP_1) | instid1(VALU_DEP_2)
	v_dual_cndmask_b32 v14, v14, v3, vcc_lo :: v_dual_add_nc_u32 v10, 20, v17
	v_add_nc_u32_e32 v20, 19, v17
	v_lshlrev_b64_e64 v[10:11], v10, -1
	s_delay_alu instid0(VALU_DEP_2) | instskip(NEXT) | instid1(VALU_DEP_2)
	v_lshlrev_b64_e64 v[20:21], v20, 1
	v_bfi_b32 v115, v11, 0, 0
	s_delay_alu instid0(VALU_DEP_3) | instskip(SKIP_1) | instid1(VALU_DEP_1)
	v_bfi_b32 v114, v10, 0, v14
	v_lshrrev_b64 v[10:11], v17, v[14:15]
	v_mov_b64_e32 v[14:15], v[10:11]
	s_delay_alu instid0(VALU_DEP_3)
	v_cmpx_eq_u64_e64 v[114:115], v[20:21]
; %bb.4332:                             ;   in Loop: Header=BB4_4032 Depth=2
	v_bfe_u32 v14, v10, 20, 1
	v_mov_b32_e32 v15, v37
	s_delay_alu instid0(VALU_DEP_1) | instskip(NEXT) | instid1(VALU_DEP_1)
	v_add_nc_u64_e32 v[14:15], v[10:11], v[14:15]
	v_add_nc_u64_e32 v[14:15], -1, v[14:15]
; %bb.4333:                             ;   in Loop: Header=BB4_4032 Depth=2
	s_or_b32 exec_lo, exec_lo, s43
	v_add_nc_u32_e32 v3, 0xffffff81, v16
	v_lshrrev_b32_e32 v11, 23, v10
	s_mov_b32 s7, exec_lo
	s_delay_alu instid0(VALU_DEP_2) | instskip(NEXT) | instid1(VALU_DEP_1)
	v_cndmask_b32_e64 v3, v3, 0xffffff82, vcc_lo
	v_add3_u32 v15, v17, v3, v11
	v_and_b32_e32 v3, 0xfffff, v14
	s_delay_alu instid0(VALU_DEP_2) | instskip(NEXT) | instid1(VALU_DEP_2)
	v_dual_mov_b32 v11, v37 :: v_dual_add_nc_u32 v14, 6, v15
	v_add_nc_u32_e32 v10, v3, v10
                                        ; implicit-def: $vgpr3
	s_delay_alu instid0(VALU_DEP_2)
	v_cmpx_ne_u32_e32 0, v14
	s_xor_b32 s7, exec_lo, s7
; %bb.4334:                             ;   in Loop: Header=BB4_4032 Depth=2
	s_delay_alu instid0(VALU_DEP_2) | instskip(SKIP_1) | instid1(VALU_DEP_1)
	v_cmp_lt_u64_e32 vcc_lo, 0xffffff, v[10:11]
	v_add_nc_u32_e32 v3, 7, v15
	v_cndmask_b32_e32 v3, v14, v3, vcc_lo
	v_cndmask_b32_e64 v14, 0, 1, vcc_lo
	s_delay_alu instid0(VALU_DEP_1)
	v_lshrrev_b64 v[10:11], v14, v[10:11]
; %bb.4335:                             ;   in Loop: Header=BB4_4032 Depth=2
	s_and_not1_saveexec_b32 s7, s7
; %bb.4336:                             ;   in Loop: Header=BB4_4032 Depth=2
	s_delay_alu instid0(VALU_DEP_1)
	v_bfe_u32 v3, v10, 23, 1
; %bb.4337:                             ;   in Loop: Header=BB4_4032 Depth=2
	s_or_b32 exec_lo, exec_lo, s7
	s_delay_alu instid0(VALU_DEP_2) | instskip(NEXT) | instid1(VALU_DEP_2)
	v_lshrrev_b64 v[10:11], 20, v[10:11]
	v_cmp_gt_i32_e32 vcc_lo, 16, v3
	v_min_i32_e32 v14, 15, v3
	v_cmp_eq_u32_e64 s7, 0, v3
	s_delay_alu instid0(VALU_DEP_4) | instskip(NEXT) | instid1(VALU_DEP_3)
	v_cndmask_b32_e32 v10, 7, v10, vcc_lo
	v_dual_cndmask_b32 v11, 0, v11 :: v_dual_lshlrev_b32 v14, 3, v14
	s_delay_alu instid0(VALU_DEP_1) | instskip(NEXT) | instid1(VALU_DEP_2)
	v_and_b32_e32 v14, 0xf8, v14
	v_cmp_eq_u64_e32 vcc_lo, 0, v[10:11]
	s_delay_alu instid0(VALU_DEP_2)
	v_and_or_b32 v3, v10, 7, v14
	s_and_b32 s7, s7, vcc_lo
	s_delay_alu instid0(VALU_DEP_1) | instid1(SALU_CYCLE_1)
	v_cndmask_b32_e64 v3, v3, 0, s7
	s_delay_alu instid0(VALU_DEP_1)
	v_or_b32_e32 v58, v3, v2
.LBB4_4338:                             ;   in Loop: Header=BB4_4032 Depth=2
	s_or_b32 exec_lo, exec_lo, s42
                                        ; implicit-def: $vgpr2
.LBB4_4339:                             ;   in Loop: Header=BB4_4032 Depth=2
	s_and_not1_saveexec_b32 s7, s41
; %bb.4340:                             ;   in Loop: Header=BB4_4032 Depth=2
	v_or_b32_e32 v58, 0x7e, v2
; %bb.4341:                             ;   in Loop: Header=BB4_4032 Depth=2
	s_or_b32 exec_lo, exec_lo, s7
                                        ; implicit-def: $vgpr2
.LBB4_4342:                             ;   in Loop: Header=BB4_4032 Depth=2
	s_and_not1_saveexec_b32 s7, s40
; %bb.4343:                             ;   in Loop: Header=BB4_4032 Depth=2
	v_or_b32_e32 v58, 0x7f, v2
; %bb.4344:                             ;   in Loop: Header=BB4_4032 Depth=2
	s_or_b32 exec_lo, exec_lo, s7
	v_lshrrev_b16 v3, 8, v36
	v_mov_b32_e32 v2, 0
	s_mov_b32 s7, exec_lo
	s_delay_alu instid0(VALU_DEP_2)
	v_cmpx_ne_u16_e32 0, v3
	s_cbranch_execz .LBB4_4352
; %bb.4345:                             ;   in Loop: Header=BB4_4032 Depth=2
	v_bfrev_b32_e32 v2, 1
	s_mov_b32 s40, exec_lo
	v_cmpx_ne_u16_e32 0x80, v3
	s_cbranch_execz .LBB4_4351
; %bb.4346:                             ;   in Loop: Header=BB4_4032 Depth=2
	v_and_b32_e32 v10, 0xffff, v3
	v_mov_b32_e32 v2, 0x7f800001
	s_mov_b32 s41, exec_lo
	s_delay_alu instid0(VALU_DEP_2) | instskip(NEXT) | instid1(VALU_DEP_1)
	v_and_b32_e32 v3, 0x7f, v10
	v_cmpx_ne_u32_e32 0x7f, v3
	s_cbranch_execz .LBB4_4350
; %bb.4347:                             ;   in Loop: Header=BB4_4032 Depth=2
	v_dual_mov_b32 v11, v37 :: v_dual_bitop2_b32 v10, 7, v10 bitop3:0x40
	v_lshrrev_b32_e32 v2, 3, v3
	s_mov_b32 s42, exec_lo
	v_cmpx_gt_u32_e32 8, v3
; %bb.4348:                             ;   in Loop: Header=BB4_4032 Depth=2
	s_delay_alu instid0(VALU_DEP_3) | instskip(NEXT) | instid1(VALU_DEP_1)
	v_clz_i32_u32_e32 v2, v10
	v_min_u32_e32 v2, 32, v2
	s_delay_alu instid0(VALU_DEP_1) | instskip(SKIP_1) | instid1(VALU_DEP_2)
	v_subrev_nc_u32_e32 v3, 28, v2
	v_sub_nc_u32_e32 v2, 29, v2
	v_lshlrev_b64_e32 v[10:11], v3, v[10:11]
	s_delay_alu instid0(VALU_DEP_1)
	v_and_b32_e32 v10, 7, v10
; %bb.4349:                             ;   in Loop: Header=BB4_4032 Depth=2
	s_or_b32 exec_lo, exec_lo, s42
	s_delay_alu instid0(VALU_DEP_1) | instskip(SKIP_1) | instid1(VALU_DEP_2)
	v_dual_lshlrev_b32 v3, 16, v36 :: v_dual_lshlrev_b32 v10, 20, v10
	v_lshl_add_u32 v2, v2, 23, 0x3c000000
	v_and_b32_e32 v3, 0x80000000, v3
	s_delay_alu instid0(VALU_DEP_1)
	v_or3_b32 v2, v10, v3, v2
.LBB4_4350:                             ;   in Loop: Header=BB4_4032 Depth=2
	s_or_b32 exec_lo, exec_lo, s41
.LBB4_4351:                             ;   in Loop: Header=BB4_4032 Depth=2
	s_delay_alu instid0(SALU_CYCLE_1)
	s_or_b32 exec_lo, exec_lo, s40
.LBB4_4352:                             ;   in Loop: Header=BB4_4032 Depth=2
	s_delay_alu instid0(SALU_CYCLE_1) | instskip(NEXT) | instid1(VALU_DEP_1)
	s_or_b32 exec_lo, exec_lo, s7
	v_mul_f32_e32 v3, s29, v2
                                        ; implicit-def: $vgpr63
	s_mov_b32 s7, exec_lo
	s_delay_alu instid0(VALU_DEP_1) | instskip(SKIP_1) | instid1(VALU_DEP_2)
	v_and_b32_e32 v36, 0x7f800000, v3
	v_lshrrev_b32_e32 v2, 24, v3
	v_cmpx_ne_u64_e32 0x7f800000, v[36:37]
	s_xor_b32 s40, exec_lo, s7
	s_cbranch_execz .LBB4_4366
; %bb.4353:                             ;   in Loop: Header=BB4_4032 Depth=2
	v_and_b32_e32 v36, 0x7fffffff, v3
	v_and_b32_e32 v2, 0x80, v2
                                        ; implicit-def: $vgpr63
	s_mov_b32 s7, exec_lo
	s_delay_alu instid0(VALU_DEP_2)
	v_cmpx_gt_u64_e32 0x43e00001, v[36:37]
	s_xor_b32 s41, exec_lo, s7
	s_cbranch_execz .LBB4_4363
; %bb.4354:                             ;   in Loop: Header=BB4_4032 Depth=2
	v_mov_b32_e32 v63, 0
	s_mov_b32 s42, exec_lo
	v_cmpx_ne_u32_e32 0, v3
	s_cbranch_execz .LBB4_4362
; %bb.4355:                             ;   in Loop: Header=BB4_4032 Depth=2
	v_bfe_u32 v16, v3, 23, 8
	v_and_b32_e32 v3, 0x7fffff, v3
	s_delay_alu instid0(VALU_DEP_2) | instskip(SKIP_1) | instid1(VALU_DEP_3)
	v_sub_nc_u32_e32 v10, 0x79, v16
	v_cmp_gt_u32_e32 vcc_lo, 0x7a, v16
	v_or_b32_e32 v14, 0x800000, v3
	s_delay_alu instid0(VALU_DEP_3) | instskip(SKIP_1) | instid1(VALU_DEP_2)
	v_cndmask_b32_e32 v10, 0, v10, vcc_lo
	v_cmp_eq_u32_e32 vcc_lo, 0, v16
	v_cndmask_b32_e64 v17, v10, 0x78, vcc_lo
	s_delay_alu instid0(VALU_DEP_1) | instskip(SKIP_1) | instid1(VALU_DEP_2)
	v_dual_cndmask_b32 v36, v14, v3, vcc_lo :: v_dual_add_nc_u32 v10, 20, v17
	v_add_nc_u32_e32 v15, 19, v17
	v_lshlrev_b64_e64 v[10:11], v10, -1
	s_delay_alu instid0(VALU_DEP_2) | instskip(NEXT) | instid1(VALU_DEP_2)
	v_lshlrev_b64_e64 v[14:15], v15, 1
	v_bfi_b32 v21, v11, 0, 0
	s_delay_alu instid0(VALU_DEP_3) | instskip(SKIP_1) | instid1(VALU_DEP_2)
	v_bfi_b32 v20, v10, 0, v36
	v_lshrrev_b64 v[10:11], v17, v[36:37]
	v_cmp_eq_u64_e64 s7, v[20:21], v[14:15]
	s_delay_alu instid0(VALU_DEP_2)
	v_mov_b64_e32 v[14:15], v[10:11]
	s_and_saveexec_b32 s43, s7
; %bb.4356:                             ;   in Loop: Header=BB4_4032 Depth=2
	v_bfe_u32 v36, v10, 20, 1
	s_delay_alu instid0(VALU_DEP_1) | instskip(NEXT) | instid1(VALU_DEP_1)
	v_add_nc_u64_e32 v[14:15], v[10:11], v[36:37]
	v_add_nc_u64_e32 v[14:15], -1, v[14:15]
; %bb.4357:                             ;   in Loop: Header=BB4_4032 Depth=2
	s_or_b32 exec_lo, exec_lo, s43
	v_add_nc_u32_e32 v3, 0xffffff81, v16
	v_lshrrev_b32_e32 v11, 23, v10
	s_mov_b32 s7, exec_lo
	s_delay_alu instid0(VALU_DEP_2) | instskip(NEXT) | instid1(VALU_DEP_1)
	v_cndmask_b32_e64 v3, v3, 0xffffff82, vcc_lo
	v_add3_u32 v15, v17, v3, v11
	v_and_b32_e32 v3, 0xfffff, v14
	s_delay_alu instid0(VALU_DEP_1) | instskip(NEXT) | instid1(VALU_DEP_1)
	v_dual_add_nc_u32 v14, 6, v15 :: v_dual_add_nc_u32 v36, v3, v10
                                        ; implicit-def: $vgpr10_vgpr11
                                        ; implicit-def: $vgpr3
	v_cmpx_ne_u32_e32 0, v14
	s_xor_b32 s7, exec_lo, s7
; %bb.4358:                             ;   in Loop: Header=BB4_4032 Depth=2
	s_delay_alu instid0(VALU_DEP_2) | instskip(SKIP_2) | instid1(VALU_DEP_2)
	v_cmp_lt_u64_e32 vcc_lo, 0xffffff, v[36:37]
	v_add_nc_u32_e32 v3, 7, v15
	v_cndmask_b32_e64 v10, 0, 1, vcc_lo
	v_cndmask_b32_e32 v3, v14, v3, vcc_lo
	s_delay_alu instid0(VALU_DEP_2)
	v_lshrrev_b64 v[10:11], v10, v[36:37]
; %bb.4359:                             ;   in Loop: Header=BB4_4032 Depth=2
	s_and_not1_saveexec_b32 s7, s7
; %bb.4360:                             ;   in Loop: Header=BB4_4032 Depth=2
	v_mov_b64_e32 v[10:11], v[36:37]
	v_bfe_u32 v3, v36, 23, 1
; %bb.4361:                             ;   in Loop: Header=BB4_4032 Depth=2
	s_or_b32 exec_lo, exec_lo, s7
	s_delay_alu instid0(VALU_DEP_2) | instskip(NEXT) | instid1(VALU_DEP_2)
	v_lshrrev_b64 v[10:11], 20, v[10:11]
	v_cmp_gt_i32_e32 vcc_lo, 16, v3
	v_min_i32_e32 v14, 15, v3
	v_cmp_eq_u32_e64 s7, 0, v3
	s_delay_alu instid0(VALU_DEP_4) | instskip(NEXT) | instid1(VALU_DEP_3)
	v_cndmask_b32_e32 v10, 7, v10, vcc_lo
	v_dual_cndmask_b32 v11, 0, v11 :: v_dual_lshlrev_b32 v14, 3, v14
	s_delay_alu instid0(VALU_DEP_1) | instskip(NEXT) | instid1(VALU_DEP_2)
	v_and_b32_e32 v14, 0xf8, v14
	v_cmp_eq_u64_e32 vcc_lo, 0, v[10:11]
	s_delay_alu instid0(VALU_DEP_2)
	v_and_or_b32 v3, v10, 7, v14
	s_and_b32 s7, s7, vcc_lo
	s_delay_alu instid0(VALU_DEP_1) | instid1(SALU_CYCLE_1)
	v_cndmask_b32_e64 v3, v3, 0, s7
	s_delay_alu instid0(VALU_DEP_1)
	v_or_b32_e32 v63, v3, v2
.LBB4_4362:                             ;   in Loop: Header=BB4_4032 Depth=2
	s_or_b32 exec_lo, exec_lo, s42
                                        ; implicit-def: $vgpr2
.LBB4_4363:                             ;   in Loop: Header=BB4_4032 Depth=2
	s_and_not1_saveexec_b32 s7, s41
; %bb.4364:                             ;   in Loop: Header=BB4_4032 Depth=2
	v_or_b32_e32 v63, 0x7e, v2
; %bb.4365:                             ;   in Loop: Header=BB4_4032 Depth=2
	s_or_b32 exec_lo, exec_lo, s7
                                        ; implicit-def: $vgpr2
.LBB4_4366:                             ;   in Loop: Header=BB4_4032 Depth=2
	s_and_not1_saveexec_b32 s7, s40
; %bb.4367:                             ;   in Loop: Header=BB4_4032 Depth=2
	v_or_b32_e32 v63, 0x7f, v2
; %bb.4368:                             ;   in Loop: Header=BB4_4032 Depth=2
	s_or_b32 exec_lo, exec_lo, s7
	v_dual_mov_b32 v3, 0 :: v_dual_lshrrev_b32 v2, 16, v13
	s_mov_b32 s7, exec_lo
	s_delay_alu instid0(VALU_DEP_1) | instskip(NEXT) | instid1(VALU_DEP_1)
	v_and_b32_e32 v10, 0xff, v2
	v_cmpx_ne_u16_e32 0, v10
	s_cbranch_execz .LBB4_4376
; %bb.4369:                             ;   in Loop: Header=BB4_4032 Depth=2
	v_bfrev_b32_e32 v3, 1
	s_mov_b32 s40, exec_lo
	v_cmpx_ne_u16_e32 0x80, v10
	s_cbranch_execz .LBB4_4375
; %bb.4370:                             ;   in Loop: Header=BB4_4032 Depth=2
	v_bfe_u32 v10, v13, 16, 7
	v_mov_b32_e32 v3, 0x7f800001
	s_mov_b32 s41, exec_lo
	s_delay_alu instid0(VALU_DEP_2)
	v_cmpx_ne_u32_e32 0x7f, v10
	s_cbranch_execz .LBB4_4374
; %bb.4371:                             ;   in Loop: Header=BB4_4032 Depth=2
	v_and_b32_e32 v36, 7, v2
	v_lshrrev_b32_e32 v3, 3, v10
	s_mov_b32 s42, exec_lo
	v_cmpx_gt_u32_e32 8, v10
; %bb.4372:                             ;   in Loop: Header=BB4_4032 Depth=2
	s_delay_alu instid0(VALU_DEP_3) | instskip(NEXT) | instid1(VALU_DEP_1)
	v_clz_i32_u32_e32 v3, v36
	v_min_u32_e32 v3, 32, v3
	s_delay_alu instid0(VALU_DEP_1) | instskip(NEXT) | instid1(VALU_DEP_1)
	v_subrev_nc_u32_e32 v10, 28, v3
	v_lshlrev_b64_e32 v[10:11], v10, v[36:37]
	s_delay_alu instid0(VALU_DEP_1)
	v_dual_sub_nc_u32 v3, 29, v3 :: v_dual_bitop2_b32 v36, 7, v10 bitop3:0x40
; %bb.4373:                             ;   in Loop: Header=BB4_4032 Depth=2
	s_or_b32 exec_lo, exec_lo, s42
	s_delay_alu instid0(VALU_DEP_1) | instskip(NEXT) | instid1(VALU_DEP_2)
	v_dual_lshlrev_b32 v2, 24, v2 :: v_dual_lshlrev_b32 v10, 20, v36
	v_lshl_add_u32 v3, v3, 23, 0x3c000000
	s_delay_alu instid0(VALU_DEP_2) | instskip(NEXT) | instid1(VALU_DEP_1)
	v_and_b32_e32 v2, 0x80000000, v2
	v_or3_b32 v3, v10, v2, v3
.LBB4_4374:                             ;   in Loop: Header=BB4_4032 Depth=2
	s_or_b32 exec_lo, exec_lo, s41
.LBB4_4375:                             ;   in Loop: Header=BB4_4032 Depth=2
	s_delay_alu instid0(SALU_CYCLE_1)
	s_or_b32 exec_lo, exec_lo, s40
.LBB4_4376:                             ;   in Loop: Header=BB4_4032 Depth=2
	s_delay_alu instid0(SALU_CYCLE_1) | instskip(NEXT) | instid1(VALU_DEP_1)
	s_or_b32 exec_lo, exec_lo, s7
	v_mul_f32_e32 v3, s29, v3
                                        ; implicit-def: $vgpr74
	s_mov_b32 s7, exec_lo
	s_delay_alu instid0(VALU_DEP_1) | instskip(SKIP_1) | instid1(VALU_DEP_2)
	v_and_b32_e32 v36, 0x7f800000, v3
	v_lshrrev_b32_e32 v2, 24, v3
	v_cmpx_ne_u64_e32 0x7f800000, v[36:37]
	s_xor_b32 s40, exec_lo, s7
	s_cbranch_execz .LBB4_4390
; %bb.4377:                             ;   in Loop: Header=BB4_4032 Depth=2
	v_and_b32_e32 v36, 0x7fffffff, v3
	v_and_b32_e32 v2, 0x80, v2
                                        ; implicit-def: $vgpr74
	s_mov_b32 s7, exec_lo
	s_delay_alu instid0(VALU_DEP_2)
	v_cmpx_gt_u64_e32 0x43e00001, v[36:37]
	s_xor_b32 s41, exec_lo, s7
	s_cbranch_execz .LBB4_4387
; %bb.4378:                             ;   in Loop: Header=BB4_4032 Depth=2
	v_mov_b32_e32 v74, 0
	s_mov_b32 s42, exec_lo
	v_cmpx_ne_u32_e32 0, v3
	s_cbranch_execz .LBB4_4386
; %bb.4379:                             ;   in Loop: Header=BB4_4032 Depth=2
	v_bfe_u32 v16, v3, 23, 8
	v_and_b32_e32 v3, 0x7fffff, v3
	s_delay_alu instid0(VALU_DEP_2) | instskip(SKIP_1) | instid1(VALU_DEP_3)
	v_sub_nc_u32_e32 v10, 0x79, v16
	v_cmp_gt_u32_e32 vcc_lo, 0x7a, v16
	v_or_b32_e32 v14, 0x800000, v3
	s_delay_alu instid0(VALU_DEP_3) | instskip(SKIP_1) | instid1(VALU_DEP_2)
	v_cndmask_b32_e32 v10, 0, v10, vcc_lo
	v_cmp_eq_u32_e32 vcc_lo, 0, v16
	v_cndmask_b32_e64 v17, v10, 0x78, vcc_lo
	s_delay_alu instid0(VALU_DEP_1) | instskip(SKIP_1) | instid1(VALU_DEP_2)
	v_dual_cndmask_b32 v36, v14, v3, vcc_lo :: v_dual_add_nc_u32 v10, 20, v17
	v_add_nc_u32_e32 v15, 19, v17
	v_lshlrev_b64_e64 v[10:11], v10, -1
	s_delay_alu instid0(VALU_DEP_2) | instskip(NEXT) | instid1(VALU_DEP_2)
	v_lshlrev_b64_e64 v[14:15], v15, 1
	v_bfi_b32 v21, v11, 0, 0
	s_delay_alu instid0(VALU_DEP_3) | instskip(SKIP_1) | instid1(VALU_DEP_2)
	v_bfi_b32 v20, v10, 0, v36
	v_lshrrev_b64 v[10:11], v17, v[36:37]
	v_cmp_eq_u64_e64 s7, v[20:21], v[14:15]
	s_delay_alu instid0(VALU_DEP_2)
	v_mov_b64_e32 v[14:15], v[10:11]
	s_and_saveexec_b32 s43, s7
; %bb.4380:                             ;   in Loop: Header=BB4_4032 Depth=2
	v_bfe_u32 v36, v10, 20, 1
	s_delay_alu instid0(VALU_DEP_1) | instskip(NEXT) | instid1(VALU_DEP_1)
	v_add_nc_u64_e32 v[14:15], v[10:11], v[36:37]
	v_add_nc_u64_e32 v[14:15], -1, v[14:15]
; %bb.4381:                             ;   in Loop: Header=BB4_4032 Depth=2
	s_or_b32 exec_lo, exec_lo, s43
	v_add_nc_u32_e32 v3, 0xffffff81, v16
	v_lshrrev_b32_e32 v11, 23, v10
	s_mov_b32 s7, exec_lo
	s_delay_alu instid0(VALU_DEP_2) | instskip(NEXT) | instid1(VALU_DEP_1)
	v_cndmask_b32_e64 v3, v3, 0xffffff82, vcc_lo
	v_add3_u32 v15, v17, v3, v11
	v_and_b32_e32 v3, 0xfffff, v14
	s_delay_alu instid0(VALU_DEP_1) | instskip(NEXT) | instid1(VALU_DEP_1)
	v_dual_add_nc_u32 v14, 6, v15 :: v_dual_add_nc_u32 v36, v3, v10
                                        ; implicit-def: $vgpr10_vgpr11
                                        ; implicit-def: $vgpr3
	v_cmpx_ne_u32_e32 0, v14
	s_xor_b32 s7, exec_lo, s7
; %bb.4382:                             ;   in Loop: Header=BB4_4032 Depth=2
	s_delay_alu instid0(VALU_DEP_2) | instskip(SKIP_2) | instid1(VALU_DEP_2)
	v_cmp_lt_u64_e32 vcc_lo, 0xffffff, v[36:37]
	v_add_nc_u32_e32 v3, 7, v15
	v_cndmask_b32_e64 v10, 0, 1, vcc_lo
	v_cndmask_b32_e32 v3, v14, v3, vcc_lo
	s_delay_alu instid0(VALU_DEP_2)
	v_lshrrev_b64 v[10:11], v10, v[36:37]
; %bb.4383:                             ;   in Loop: Header=BB4_4032 Depth=2
	s_and_not1_saveexec_b32 s7, s7
; %bb.4384:                             ;   in Loop: Header=BB4_4032 Depth=2
	v_mov_b64_e32 v[10:11], v[36:37]
	v_bfe_u32 v3, v36, 23, 1
; %bb.4385:                             ;   in Loop: Header=BB4_4032 Depth=2
	s_or_b32 exec_lo, exec_lo, s7
	s_delay_alu instid0(VALU_DEP_2) | instskip(NEXT) | instid1(VALU_DEP_2)
	v_lshrrev_b64 v[10:11], 20, v[10:11]
	v_cmp_gt_i32_e32 vcc_lo, 16, v3
	v_min_i32_e32 v14, 15, v3
	v_cmp_eq_u32_e64 s7, 0, v3
	s_delay_alu instid0(VALU_DEP_4) | instskip(NEXT) | instid1(VALU_DEP_3)
	v_cndmask_b32_e32 v10, 7, v10, vcc_lo
	v_dual_cndmask_b32 v11, 0, v11 :: v_dual_lshlrev_b32 v14, 3, v14
	s_delay_alu instid0(VALU_DEP_1) | instskip(NEXT) | instid1(VALU_DEP_2)
	v_and_b32_e32 v14, 0xf8, v14
	v_cmp_eq_u64_e32 vcc_lo, 0, v[10:11]
	s_delay_alu instid0(VALU_DEP_2)
	v_and_or_b32 v3, v10, 7, v14
	s_and_b32 s7, s7, vcc_lo
	s_delay_alu instid0(VALU_DEP_1) | instid1(SALU_CYCLE_1)
	v_cndmask_b32_e64 v3, v3, 0, s7
	s_delay_alu instid0(VALU_DEP_1)
	v_or_b32_e32 v74, v3, v2
.LBB4_4386:                             ;   in Loop: Header=BB4_4032 Depth=2
	s_or_b32 exec_lo, exec_lo, s42
                                        ; implicit-def: $vgpr2
.LBB4_4387:                             ;   in Loop: Header=BB4_4032 Depth=2
	s_and_not1_saveexec_b32 s7, s41
; %bb.4388:                             ;   in Loop: Header=BB4_4032 Depth=2
	v_or_b32_e32 v74, 0x7e, v2
; %bb.4389:                             ;   in Loop: Header=BB4_4032 Depth=2
	s_or_b32 exec_lo, exec_lo, s7
                                        ; implicit-def: $vgpr2
.LBB4_4390:                             ;   in Loop: Header=BB4_4032 Depth=2
	s_and_not1_saveexec_b32 s7, s40
; %bb.4391:                             ;   in Loop: Header=BB4_4032 Depth=2
	v_or_b32_e32 v74, 0x7f, v2
; %bb.4392:                             ;   in Loop: Header=BB4_4032 Depth=2
	s_or_b32 exec_lo, exec_lo, s7
	v_mov_b32_e32 v3, 0
	s_mov_b32 s7, exec_lo
	v_cmpx_lt_u64_e64 s[12:13], v[12:13]
	s_cbranch_execz .LBB4_4400
; %bb.4393:                             ;   in Loop: Header=BB4_4032 Depth=2
	v_lshrrev_b32_e32 v2, 24, v13
	v_bfrev_b32_e32 v3, 1
	s_mov_b32 s40, exec_lo
	s_delay_alu instid0(VALU_DEP_2)
	v_cmpx_ne_u32_e32 0x80, v2
	s_cbranch_execz .LBB4_4399
; %bb.4394:                             ;   in Loop: Header=BB4_4032 Depth=2
	v_bfe_u32 v10, v13, 24, 7
	v_mov_b32_e32 v3, 0x7f800001
	s_mov_b32 s41, exec_lo
	s_delay_alu instid0(VALU_DEP_2)
	v_cmpx_ne_u32_e32 0x7f, v10
	s_cbranch_execz .LBB4_4398
; %bb.4395:                             ;   in Loop: Header=BB4_4032 Depth=2
	v_and_b32_e32 v36, 7, v2
	v_lshrrev_b32_e32 v3, 3, v10
	s_mov_b32 s42, exec_lo
	v_cmpx_gt_u32_e32 8, v10
; %bb.4396:                             ;   in Loop: Header=BB4_4032 Depth=2
	s_delay_alu instid0(VALU_DEP_3) | instskip(NEXT) | instid1(VALU_DEP_1)
	v_clz_i32_u32_e32 v3, v36
	v_min_u32_e32 v3, 32, v3
	s_delay_alu instid0(VALU_DEP_1) | instskip(NEXT) | instid1(VALU_DEP_1)
	v_subrev_nc_u32_e32 v10, 28, v3
	v_lshlrev_b64_e32 v[10:11], v10, v[36:37]
	s_delay_alu instid0(VALU_DEP_1)
	v_dual_sub_nc_u32 v3, 29, v3 :: v_dual_bitop2_b32 v36, 7, v10 bitop3:0x40
; %bb.4397:                             ;   in Loop: Header=BB4_4032 Depth=2
	s_or_b32 exec_lo, exec_lo, s42
	s_delay_alu instid0(VALU_DEP_1) | instskip(NEXT) | instid1(VALU_DEP_2)
	v_dual_lshlrev_b32 v2, 24, v2 :: v_dual_lshlrev_b32 v10, 20, v36
	v_lshl_add_u32 v3, v3, 23, 0x3c000000
	s_delay_alu instid0(VALU_DEP_2) | instskip(NEXT) | instid1(VALU_DEP_1)
	v_and_b32_e32 v2, 0x80000000, v2
	v_or3_b32 v3, v10, v2, v3
.LBB4_4398:                             ;   in Loop: Header=BB4_4032 Depth=2
	s_or_b32 exec_lo, exec_lo, s41
.LBB4_4399:                             ;   in Loop: Header=BB4_4032 Depth=2
	s_delay_alu instid0(SALU_CYCLE_1)
	s_or_b32 exec_lo, exec_lo, s40
.LBB4_4400:                             ;   in Loop: Header=BB4_4032 Depth=2
	s_delay_alu instid0(SALU_CYCLE_1) | instskip(NEXT) | instid1(VALU_DEP_1)
	s_or_b32 exec_lo, exec_lo, s7
	v_mul_f32_e32 v3, s29, v3
                                        ; implicit-def: $vgpr76
	s_mov_b32 s7, exec_lo
	s_delay_alu instid0(VALU_DEP_1) | instskip(SKIP_1) | instid1(VALU_DEP_2)
	v_and_b32_e32 v36, 0x7f800000, v3
	v_lshrrev_b32_e32 v2, 24, v3
	v_cmpx_ne_u64_e32 0x7f800000, v[36:37]
	s_xor_b32 s40, exec_lo, s7
	s_cbranch_execz .LBB4_4414
; %bb.4401:                             ;   in Loop: Header=BB4_4032 Depth=2
	v_and_b32_e32 v36, 0x7fffffff, v3
	v_and_b32_e32 v2, 0x80, v2
                                        ; implicit-def: $vgpr76
	s_mov_b32 s7, exec_lo
	s_delay_alu instid0(VALU_DEP_2)
	v_cmpx_gt_u64_e32 0x43e00001, v[36:37]
	s_xor_b32 s41, exec_lo, s7
	s_cbranch_execz .LBB4_4411
; %bb.4402:                             ;   in Loop: Header=BB4_4032 Depth=2
	v_mov_b32_e32 v76, 0
	s_mov_b32 s42, exec_lo
	v_cmpx_ne_u32_e32 0, v3
	s_cbranch_execz .LBB4_4410
; %bb.4403:                             ;   in Loop: Header=BB4_4032 Depth=2
	v_bfe_u32 v14, v3, 23, 8
	v_and_b32_e32 v3, 0x7fffff, v3
	s_delay_alu instid0(VALU_DEP_2) | instskip(SKIP_1) | instid1(VALU_DEP_3)
	v_sub_nc_u32_e32 v10, 0x79, v14
	v_cmp_gt_u32_e32 vcc_lo, 0x7a, v14
	v_or_b32_e32 v12, 0x800000, v3
	s_delay_alu instid0(VALU_DEP_3) | instskip(SKIP_1) | instid1(VALU_DEP_2)
	v_cndmask_b32_e32 v10, 0, v10, vcc_lo
	v_cmp_eq_u32_e32 vcc_lo, 0, v14
	v_cndmask_b32_e64 v15, v10, 0x78, vcc_lo
	s_delay_alu instid0(VALU_DEP_4) | instskip(NEXT) | instid1(VALU_DEP_2)
	v_cndmask_b32_e32 v36, v12, v3, vcc_lo
	v_dual_add_nc_u32 v10, 20, v15 :: v_dual_add_nc_u32 v13, 19, v15
	s_delay_alu instid0(VALU_DEP_1) | instskip(NEXT) | instid1(VALU_DEP_2)
	v_lshlrev_b64_e64 v[10:11], v10, -1
	v_lshlrev_b64_e64 v[12:13], v13, 1
	s_delay_alu instid0(VALU_DEP_2) | instskip(NEXT) | instid1(VALU_DEP_3)
	v_bfi_b32 v17, v11, 0, 0
	v_bfi_b32 v16, v10, 0, v36
	v_lshrrev_b64 v[10:11], v15, v[36:37]
	s_delay_alu instid0(VALU_DEP_2) | instskip(NEXT) | instid1(VALU_DEP_2)
	v_cmp_eq_u64_e64 s7, v[16:17], v[12:13]
	v_mov_b64_e32 v[12:13], v[10:11]
	s_and_saveexec_b32 s43, s7
; %bb.4404:                             ;   in Loop: Header=BB4_4032 Depth=2
	v_bfe_u32 v36, v10, 20, 1
	s_delay_alu instid0(VALU_DEP_1) | instskip(NEXT) | instid1(VALU_DEP_1)
	v_add_nc_u64_e32 v[12:13], v[10:11], v[36:37]
	v_add_nc_u64_e32 v[12:13], -1, v[12:13]
; %bb.4405:                             ;   in Loop: Header=BB4_4032 Depth=2
	s_or_b32 exec_lo, exec_lo, s43
	v_add_nc_u32_e32 v3, 0xffffff81, v14
	v_lshrrev_b32_e32 v11, 23, v10
	s_mov_b32 s7, exec_lo
	s_delay_alu instid0(VALU_DEP_2) | instskip(NEXT) | instid1(VALU_DEP_1)
	v_cndmask_b32_e64 v3, v3, 0xffffff82, vcc_lo
	v_add3_u32 v13, v15, v3, v11
	v_and_b32_e32 v3, 0xfffff, v12
	s_delay_alu instid0(VALU_DEP_1) | instskip(NEXT) | instid1(VALU_DEP_1)
	v_dual_add_nc_u32 v12, 6, v13 :: v_dual_add_nc_u32 v36, v3, v10
                                        ; implicit-def: $vgpr10_vgpr11
                                        ; implicit-def: $vgpr3
	v_cmpx_ne_u32_e32 0, v12
	s_xor_b32 s7, exec_lo, s7
; %bb.4406:                             ;   in Loop: Header=BB4_4032 Depth=2
	s_delay_alu instid0(VALU_DEP_2) | instskip(SKIP_2) | instid1(VALU_DEP_2)
	v_cmp_lt_u64_e32 vcc_lo, 0xffffff, v[36:37]
	v_add_nc_u32_e32 v3, 7, v13
	v_cndmask_b32_e64 v10, 0, 1, vcc_lo
	v_cndmask_b32_e32 v3, v12, v3, vcc_lo
	s_delay_alu instid0(VALU_DEP_2)
	v_lshrrev_b64 v[10:11], v10, v[36:37]
; %bb.4407:                             ;   in Loop: Header=BB4_4032 Depth=2
	s_and_not1_saveexec_b32 s7, s7
; %bb.4408:                             ;   in Loop: Header=BB4_4032 Depth=2
	v_mov_b64_e32 v[10:11], v[36:37]
	v_bfe_u32 v3, v36, 23, 1
; %bb.4409:                             ;   in Loop: Header=BB4_4032 Depth=2
	s_or_b32 exec_lo, exec_lo, s7
	s_delay_alu instid0(VALU_DEP_2) | instskip(NEXT) | instid1(VALU_DEP_2)
	v_lshrrev_b64 v[10:11], 20, v[10:11]
	v_cmp_gt_i32_e32 vcc_lo, 16, v3
	v_min_i32_e32 v12, 15, v3
	v_cmp_eq_u32_e64 s7, 0, v3
	s_delay_alu instid0(VALU_DEP_2) | instskip(SKIP_1) | instid1(VALU_DEP_2)
	v_dual_cndmask_b32 v10, 7, v10, vcc_lo :: v_dual_lshlrev_b32 v12, 3, v12
	v_cndmask_b32_e32 v11, 0, v11, vcc_lo
	v_and_b32_e32 v12, 0xf8, v12
	s_delay_alu instid0(VALU_DEP_2) | instskip(NEXT) | instid1(VALU_DEP_2)
	v_cmp_eq_u64_e32 vcc_lo, 0, v[10:11]
	v_and_or_b32 v3, v10, 7, v12
	s_and_b32 s7, s7, vcc_lo
	s_delay_alu instid0(VALU_DEP_1) | instid1(SALU_CYCLE_1)
	v_cndmask_b32_e64 v3, v3, 0, s7
	s_delay_alu instid0(VALU_DEP_1)
	v_or_b32_e32 v76, v3, v2
.LBB4_4410:                             ;   in Loop: Header=BB4_4032 Depth=2
	s_or_b32 exec_lo, exec_lo, s42
                                        ; implicit-def: $vgpr2
.LBB4_4411:                             ;   in Loop: Header=BB4_4032 Depth=2
	s_and_not1_saveexec_b32 s7, s41
; %bb.4412:                             ;   in Loop: Header=BB4_4032 Depth=2
	v_or_b32_e32 v76, 0x7e, v2
; %bb.4413:                             ;   in Loop: Header=BB4_4032 Depth=2
	s_or_b32 exec_lo, exec_lo, s7
                                        ; implicit-def: $vgpr2
.LBB4_4414:                             ;   in Loop: Header=BB4_4032 Depth=2
	s_and_not1_saveexec_b32 s7, s40
; %bb.4415:                             ;   in Loop: Header=BB4_4032 Depth=2
	v_or_b32_e32 v76, 0x7f, v2
; %bb.4416:                             ;   in Loop: Header=BB4_4032 Depth=2
	s_or_b32 exec_lo, exec_lo, s7
	global_load_b128 v[10:13], v[80:81], off offset:512 th:TH_LOAD_NT
	v_mov_b32_e32 v2, 0
	s_mov_b32 s7, exec_lo
	s_wait_loadcnt 0x0
	v_and_b32_e32 v3, 0xff, v10
	s_wait_xcnt 0x0
	s_delay_alu instid0(VALU_DEP_1)
	v_cmpx_ne_u16_e32 0, v3
	s_cbranch_execz .LBB4_4422
; %bb.4417:                             ;   in Loop: Header=BB4_4032 Depth=2
	v_bfrev_b32_e32 v2, 1
	s_mov_b32 s40, exec_lo
	v_cmpx_ne_u16_e32 0x80, v3
	s_cbranch_execz .LBB4_4421
; %bb.4418:                             ;   in Loop: Header=BB4_4032 Depth=2
	v_and_b32_e32 v3, 0x7f, v10
	v_mov_b32_e32 v2, 0x7f800001
	s_mov_b32 s41, exec_lo
	s_delay_alu instid0(VALU_DEP_2)
	v_cmpx_ne_u32_e32 0x7f, v3
	s_cbranch_execz .LBB4_4420
; %bb.4419:                             ;   in Loop: Header=BB4_4032 Depth=2
	v_dual_lshrrev_b32 v14, 3, v3 :: v_dual_bitop2_b32 v2, 7, v10 bitop3:0x40
	v_cmp_gt_u32_e32 vcc_lo, 8, v3
	s_delay_alu instid0(VALU_DEP_2) | instskip(NEXT) | instid1(VALU_DEP_1)
	v_clz_i32_u32_e32 v2, v2
	v_min_u32_e32 v2, 32, v2
	s_delay_alu instid0(VALU_DEP_1) | instskip(SKIP_1) | instid1(VALU_DEP_1)
	v_subrev_nc_u32_e32 v15, 28, v2
	v_sub_nc_u32_e32 v2, 29, v2
	v_dual_cndmask_b32 v14, v14, v2, vcc_lo :: v_dual_cndmask_b32 v2, 0, v15, vcc_lo
	s_delay_alu instid0(VALU_DEP_1) | instskip(NEXT) | instid1(VALU_DEP_2)
	v_lshl_add_u32 v14, v14, 23, 0x3c000000
	v_lshlrev_b64_e32 v[2:3], v2, v[10:11]
	v_lshlrev_b32_e32 v3, 24, v10
	s_delay_alu instid0(VALU_DEP_1) | instskip(NEXT) | instid1(VALU_DEP_3)
	v_and_b32_e32 v3, 0x80000000, v3
	v_lshlrev_b32_e32 v2, 20, v2
	s_delay_alu instid0(VALU_DEP_1) | instskip(NEXT) | instid1(VALU_DEP_1)
	v_and_b32_e32 v2, 0x700000, v2
	v_or3_b32 v2, v2, v3, v14
.LBB4_4420:                             ;   in Loop: Header=BB4_4032 Depth=2
	s_or_b32 exec_lo, exec_lo, s41
.LBB4_4421:                             ;   in Loop: Header=BB4_4032 Depth=2
	s_delay_alu instid0(SALU_CYCLE_1)
	s_or_b32 exec_lo, exec_lo, s40
.LBB4_4422:                             ;   in Loop: Header=BB4_4032 Depth=2
	s_delay_alu instid0(SALU_CYCLE_1) | instskip(NEXT) | instid1(VALU_DEP_1)
	s_or_b32 exec_lo, exec_lo, s7
	v_mul_f32_e32 v3, s29, v2
                                        ; implicit-def: $vgpr45
	s_mov_b32 s7, exec_lo
	s_delay_alu instid0(VALU_DEP_1) | instskip(SKIP_1) | instid1(VALU_DEP_2)
	v_and_b32_e32 v36, 0x7f800000, v3
	v_lshrrev_b32_e32 v2, 24, v3
	v_cmpx_ne_u64_e32 0x7f800000, v[36:37]
	s_xor_b32 s40, exec_lo, s7
	s_cbranch_execz .LBB4_4436
; %bb.4423:                             ;   in Loop: Header=BB4_4032 Depth=2
	v_and_b32_e32 v36, 0x7fffffff, v3
	v_and_b32_e32 v2, 0x80, v2
                                        ; implicit-def: $vgpr45
	s_mov_b32 s7, exec_lo
	s_delay_alu instid0(VALU_DEP_2)
	v_cmpx_gt_u64_e32 0x43e00001, v[36:37]
	s_xor_b32 s41, exec_lo, s7
	s_cbranch_execz .LBB4_4433
; %bb.4424:                             ;   in Loop: Header=BB4_4032 Depth=2
	v_mov_b32_e32 v45, 0
	s_mov_b32 s42, exec_lo
	v_cmpx_ne_u32_e32 0, v3
	s_cbranch_execz .LBB4_4432
; %bb.4425:                             ;   in Loop: Header=BB4_4032 Depth=2
	v_bfe_u32 v103, v3, 23, 8
	v_and_b32_e32 v3, 0x7fffff, v3
	s_delay_alu instid0(VALU_DEP_2) | instskip(SKIP_1) | instid1(VALU_DEP_3)
	v_sub_nc_u32_e32 v14, 0x79, v103
	v_cmp_gt_u32_e32 vcc_lo, 0x7a, v103
	v_or_b32_e32 v16, 0x800000, v3
	s_delay_alu instid0(VALU_DEP_3) | instskip(SKIP_1) | instid1(VALU_DEP_2)
	v_cndmask_b32_e32 v14, 0, v14, vcc_lo
	v_cmp_eq_u32_e32 vcc_lo, 0, v103
	v_cndmask_b32_e64 v113, v14, 0x78, vcc_lo
	s_delay_alu instid0(VALU_DEP_1) | instskip(SKIP_1) | instid1(VALU_DEP_2)
	v_dual_cndmask_b32 v36, v16, v3, vcc_lo :: v_dual_add_nc_u32 v14, 20, v113
	v_add_nc_u32_e32 v17, 19, v113
	v_lshlrev_b64_e64 v[14:15], v14, -1
	s_delay_alu instid0(VALU_DEP_2) | instskip(NEXT) | instid1(VALU_DEP_2)
	v_lshlrev_b64_e64 v[16:17], v17, 1
	v_bfi_b32 v21, v15, 0, 0
	s_delay_alu instid0(VALU_DEP_3) | instskip(SKIP_1) | instid1(VALU_DEP_2)
	v_bfi_b32 v20, v14, 0, v36
	v_lshrrev_b64 v[14:15], v113, v[36:37]
	v_cmp_eq_u64_e64 s7, v[20:21], v[16:17]
	s_delay_alu instid0(VALU_DEP_2)
	v_mov_b64_e32 v[16:17], v[14:15]
	s_and_saveexec_b32 s43, s7
; %bb.4426:                             ;   in Loop: Header=BB4_4032 Depth=2
	v_bfe_u32 v36, v14, 20, 1
	s_delay_alu instid0(VALU_DEP_1) | instskip(NEXT) | instid1(VALU_DEP_1)
	v_add_nc_u64_e32 v[16:17], v[14:15], v[36:37]
	v_add_nc_u64_e32 v[16:17], -1, v[16:17]
; %bb.4427:                             ;   in Loop: Header=BB4_4032 Depth=2
	s_or_b32 exec_lo, exec_lo, s43
	v_add_nc_u32_e32 v3, 0xffffff81, v103
	v_lshrrev_b32_e32 v15, 23, v14
	s_mov_b32 s7, exec_lo
	s_delay_alu instid0(VALU_DEP_2) | instskip(NEXT) | instid1(VALU_DEP_1)
	v_cndmask_b32_e64 v3, v3, 0xffffff82, vcc_lo
	v_add3_u32 v17, v113, v3, v15
	v_and_b32_e32 v3, 0xfffff, v16
	s_delay_alu instid0(VALU_DEP_1) | instskip(NEXT) | instid1(VALU_DEP_1)
	v_dual_add_nc_u32 v16, 6, v17 :: v_dual_add_nc_u32 v36, v3, v14
                                        ; implicit-def: $vgpr14_vgpr15
                                        ; implicit-def: $vgpr3
	v_cmpx_ne_u32_e32 0, v16
	s_xor_b32 s7, exec_lo, s7
; %bb.4428:                             ;   in Loop: Header=BB4_4032 Depth=2
	s_delay_alu instid0(VALU_DEP_2) | instskip(SKIP_2) | instid1(VALU_DEP_2)
	v_cmp_lt_u64_e32 vcc_lo, 0xffffff, v[36:37]
	v_add_nc_u32_e32 v3, 7, v17
	v_cndmask_b32_e64 v14, 0, 1, vcc_lo
	v_cndmask_b32_e32 v3, v16, v3, vcc_lo
	s_delay_alu instid0(VALU_DEP_2)
	v_lshrrev_b64 v[14:15], v14, v[36:37]
; %bb.4429:                             ;   in Loop: Header=BB4_4032 Depth=2
	s_and_not1_saveexec_b32 s7, s7
; %bb.4430:                             ;   in Loop: Header=BB4_4032 Depth=2
	v_mov_b64_e32 v[14:15], v[36:37]
	v_bfe_u32 v3, v36, 23, 1
; %bb.4431:                             ;   in Loop: Header=BB4_4032 Depth=2
	s_or_b32 exec_lo, exec_lo, s7
	s_delay_alu instid0(VALU_DEP_2) | instskip(NEXT) | instid1(VALU_DEP_2)
	v_lshrrev_b64 v[14:15], 20, v[14:15]
	v_cmp_gt_i32_e32 vcc_lo, 16, v3
	v_min_i32_e32 v16, 15, v3
	v_cmp_eq_u32_e64 s7, 0, v3
	s_delay_alu instid0(VALU_DEP_2) | instskip(SKIP_1) | instid1(VALU_DEP_2)
	v_dual_cndmask_b32 v14, 7, v14, vcc_lo :: v_dual_lshlrev_b32 v16, 3, v16
	v_cndmask_b32_e32 v15, 0, v15, vcc_lo
	v_and_b32_e32 v16, 0xf8, v16
	s_delay_alu instid0(VALU_DEP_2) | instskip(NEXT) | instid1(VALU_DEP_2)
	v_cmp_eq_u64_e32 vcc_lo, 0, v[14:15]
	v_and_or_b32 v3, v14, 7, v16
	s_and_b32 s7, s7, vcc_lo
	s_delay_alu instid0(VALU_DEP_1) | instid1(SALU_CYCLE_1)
	v_cndmask_b32_e64 v3, v3, 0, s7
	s_delay_alu instid0(VALU_DEP_1)
	v_or_b32_e32 v45, v3, v2
.LBB4_4432:                             ;   in Loop: Header=BB4_4032 Depth=2
	s_or_b32 exec_lo, exec_lo, s42
                                        ; implicit-def: $vgpr2
.LBB4_4433:                             ;   in Loop: Header=BB4_4032 Depth=2
	s_and_not1_saveexec_b32 s7, s41
; %bb.4434:                             ;   in Loop: Header=BB4_4032 Depth=2
	v_or_b32_e32 v45, 0x7e, v2
; %bb.4435:                             ;   in Loop: Header=BB4_4032 Depth=2
	s_or_b32 exec_lo, exec_lo, s7
                                        ; implicit-def: $vgpr2
.LBB4_4436:                             ;   in Loop: Header=BB4_4032 Depth=2
	s_and_not1_saveexec_b32 s7, s40
; %bb.4437:                             ;   in Loop: Header=BB4_4032 Depth=2
	v_or_b32_e32 v45, 0x7f, v2
; %bb.4438:                             ;   in Loop: Header=BB4_4032 Depth=2
	s_or_b32 exec_lo, exec_lo, s7
	v_lshrrev_b16 v3, 8, v10
	v_mov_b32_e32 v2, 0
	s_mov_b32 s7, exec_lo
	s_delay_alu instid0(VALU_DEP_2)
	v_cmpx_ne_u16_e32 0, v3
	s_cbranch_execz .LBB4_4446
; %bb.4439:                             ;   in Loop: Header=BB4_4032 Depth=2
	v_bfrev_b32_e32 v2, 1
	s_mov_b32 s40, exec_lo
	v_cmpx_ne_u16_e32 0x80, v3
	s_cbranch_execz .LBB4_4445
; %bb.4440:                             ;   in Loop: Header=BB4_4032 Depth=2
	v_and_b32_e32 v14, 0xffff, v3
	v_mov_b32_e32 v2, 0x7f800001
	s_mov_b32 s41, exec_lo
	s_delay_alu instid0(VALU_DEP_2) | instskip(NEXT) | instid1(VALU_DEP_1)
	v_and_b32_e32 v3, 0x7f, v14
	v_cmpx_ne_u32_e32 0x7f, v3
	s_cbranch_execz .LBB4_4444
; %bb.4441:                             ;   in Loop: Header=BB4_4032 Depth=2
	v_dual_lshrrev_b32 v2, 3, v3 :: v_dual_bitop2_b32 v36, 7, v14 bitop3:0x40
	s_mov_b32 s42, exec_lo
	v_cmpx_gt_u32_e32 8, v3
; %bb.4442:                             ;   in Loop: Header=BB4_4032 Depth=2
	s_delay_alu instid0(VALU_DEP_2) | instskip(NEXT) | instid1(VALU_DEP_1)
	v_clz_i32_u32_e32 v2, v36
	v_min_u32_e32 v2, 32, v2
	s_delay_alu instid0(VALU_DEP_1) | instskip(SKIP_1) | instid1(VALU_DEP_2)
	v_subrev_nc_u32_e32 v3, 28, v2
	v_sub_nc_u32_e32 v2, 29, v2
	v_lshlrev_b64_e32 v[14:15], v3, v[36:37]
	s_delay_alu instid0(VALU_DEP_1)
	v_and_b32_e32 v36, 7, v14
; %bb.4443:                             ;   in Loop: Header=BB4_4032 Depth=2
	s_or_b32 exec_lo, exec_lo, s42
	s_delay_alu instid0(VALU_DEP_1) | instskip(SKIP_1) | instid1(VALU_DEP_2)
	v_dual_lshlrev_b32 v3, 16, v10 :: v_dual_lshlrev_b32 v14, 20, v36
	v_lshl_add_u32 v2, v2, 23, 0x3c000000
	v_and_b32_e32 v3, 0x80000000, v3
	s_delay_alu instid0(VALU_DEP_1)
	v_or3_b32 v2, v14, v3, v2
.LBB4_4444:                             ;   in Loop: Header=BB4_4032 Depth=2
	s_or_b32 exec_lo, exec_lo, s41
.LBB4_4445:                             ;   in Loop: Header=BB4_4032 Depth=2
	s_delay_alu instid0(SALU_CYCLE_1)
	s_or_b32 exec_lo, exec_lo, s40
.LBB4_4446:                             ;   in Loop: Header=BB4_4032 Depth=2
	s_delay_alu instid0(SALU_CYCLE_1) | instskip(NEXT) | instid1(VALU_DEP_1)
	s_or_b32 exec_lo, exec_lo, s7
	v_mul_f32_e32 v3, s29, v2
                                        ; implicit-def: $vgpr59
	s_mov_b32 s7, exec_lo
	s_delay_alu instid0(VALU_DEP_1) | instskip(SKIP_1) | instid1(VALU_DEP_2)
	v_and_b32_e32 v36, 0x7f800000, v3
	v_lshrrev_b32_e32 v2, 24, v3
	v_cmpx_ne_u64_e32 0x7f800000, v[36:37]
	s_xor_b32 s40, exec_lo, s7
	s_cbranch_execz .LBB4_4460
; %bb.4447:                             ;   in Loop: Header=BB4_4032 Depth=2
	v_and_b32_e32 v36, 0x7fffffff, v3
	v_and_b32_e32 v2, 0x80, v2
                                        ; implicit-def: $vgpr59
	s_mov_b32 s7, exec_lo
	s_delay_alu instid0(VALU_DEP_2)
	v_cmpx_gt_u64_e32 0x43e00001, v[36:37]
	s_xor_b32 s41, exec_lo, s7
	s_cbranch_execz .LBB4_4457
; %bb.4448:                             ;   in Loop: Header=BB4_4032 Depth=2
	v_mov_b32_e32 v59, 0
	s_mov_b32 s42, exec_lo
	v_cmpx_ne_u32_e32 0, v3
	s_cbranch_execz .LBB4_4456
; %bb.4449:                             ;   in Loop: Header=BB4_4032 Depth=2
	v_bfe_u32 v103, v3, 23, 8
	v_and_b32_e32 v3, 0x7fffff, v3
	s_delay_alu instid0(VALU_DEP_2) | instskip(SKIP_1) | instid1(VALU_DEP_3)
	v_sub_nc_u32_e32 v14, 0x79, v103
	v_cmp_gt_u32_e32 vcc_lo, 0x7a, v103
	v_or_b32_e32 v16, 0x800000, v3
	s_delay_alu instid0(VALU_DEP_3) | instskip(SKIP_1) | instid1(VALU_DEP_2)
	v_cndmask_b32_e32 v14, 0, v14, vcc_lo
	v_cmp_eq_u32_e32 vcc_lo, 0, v103
	v_cndmask_b32_e64 v113, v14, 0x78, vcc_lo
	s_delay_alu instid0(VALU_DEP_1) | instskip(SKIP_1) | instid1(VALU_DEP_2)
	v_dual_cndmask_b32 v36, v16, v3, vcc_lo :: v_dual_add_nc_u32 v14, 20, v113
	v_add_nc_u32_e32 v17, 19, v113
	v_lshlrev_b64_e64 v[14:15], v14, -1
	s_delay_alu instid0(VALU_DEP_2) | instskip(NEXT) | instid1(VALU_DEP_2)
	v_lshlrev_b64_e64 v[16:17], v17, 1
	v_bfi_b32 v21, v15, 0, 0
	s_delay_alu instid0(VALU_DEP_3) | instskip(SKIP_1) | instid1(VALU_DEP_2)
	v_bfi_b32 v20, v14, 0, v36
	v_lshrrev_b64 v[14:15], v113, v[36:37]
	v_cmp_eq_u64_e64 s7, v[20:21], v[16:17]
	s_delay_alu instid0(VALU_DEP_2)
	v_mov_b64_e32 v[16:17], v[14:15]
	s_and_saveexec_b32 s43, s7
; %bb.4450:                             ;   in Loop: Header=BB4_4032 Depth=2
	v_bfe_u32 v36, v14, 20, 1
	s_delay_alu instid0(VALU_DEP_1) | instskip(NEXT) | instid1(VALU_DEP_1)
	v_add_nc_u64_e32 v[16:17], v[14:15], v[36:37]
	v_add_nc_u64_e32 v[16:17], -1, v[16:17]
; %bb.4451:                             ;   in Loop: Header=BB4_4032 Depth=2
	s_or_b32 exec_lo, exec_lo, s43
	v_add_nc_u32_e32 v3, 0xffffff81, v103
	v_lshrrev_b32_e32 v15, 23, v14
	s_mov_b32 s7, exec_lo
	s_delay_alu instid0(VALU_DEP_2) | instskip(NEXT) | instid1(VALU_DEP_1)
	v_cndmask_b32_e64 v3, v3, 0xffffff82, vcc_lo
	v_add3_u32 v17, v113, v3, v15
	v_and_b32_e32 v3, 0xfffff, v16
	s_delay_alu instid0(VALU_DEP_1) | instskip(NEXT) | instid1(VALU_DEP_1)
	v_dual_add_nc_u32 v16, 6, v17 :: v_dual_add_nc_u32 v36, v3, v14
                                        ; implicit-def: $vgpr14_vgpr15
                                        ; implicit-def: $vgpr3
	v_cmpx_ne_u32_e32 0, v16
	s_xor_b32 s7, exec_lo, s7
; %bb.4452:                             ;   in Loop: Header=BB4_4032 Depth=2
	s_delay_alu instid0(VALU_DEP_2) | instskip(SKIP_2) | instid1(VALU_DEP_2)
	v_cmp_lt_u64_e32 vcc_lo, 0xffffff, v[36:37]
	v_add_nc_u32_e32 v3, 7, v17
	v_cndmask_b32_e64 v14, 0, 1, vcc_lo
	v_cndmask_b32_e32 v3, v16, v3, vcc_lo
	s_delay_alu instid0(VALU_DEP_2)
	v_lshrrev_b64 v[14:15], v14, v[36:37]
; %bb.4453:                             ;   in Loop: Header=BB4_4032 Depth=2
	s_and_not1_saveexec_b32 s7, s7
; %bb.4454:                             ;   in Loop: Header=BB4_4032 Depth=2
	v_mov_b64_e32 v[14:15], v[36:37]
	v_bfe_u32 v3, v36, 23, 1
; %bb.4455:                             ;   in Loop: Header=BB4_4032 Depth=2
	s_or_b32 exec_lo, exec_lo, s7
	s_delay_alu instid0(VALU_DEP_2) | instskip(NEXT) | instid1(VALU_DEP_2)
	v_lshrrev_b64 v[14:15], 20, v[14:15]
	v_cmp_gt_i32_e32 vcc_lo, 16, v3
	v_min_i32_e32 v16, 15, v3
	v_cmp_eq_u32_e64 s7, 0, v3
	s_delay_alu instid0(VALU_DEP_2) | instskip(SKIP_1) | instid1(VALU_DEP_2)
	v_dual_cndmask_b32 v14, 7, v14, vcc_lo :: v_dual_lshlrev_b32 v16, 3, v16
	v_cndmask_b32_e32 v15, 0, v15, vcc_lo
	v_and_b32_e32 v16, 0xf8, v16
	s_delay_alu instid0(VALU_DEP_2) | instskip(NEXT) | instid1(VALU_DEP_2)
	v_cmp_eq_u64_e32 vcc_lo, 0, v[14:15]
	v_and_or_b32 v3, v14, 7, v16
	s_and_b32 s7, s7, vcc_lo
	s_delay_alu instid0(VALU_DEP_1) | instid1(SALU_CYCLE_1)
	v_cndmask_b32_e64 v3, v3, 0, s7
	s_delay_alu instid0(VALU_DEP_1)
	v_or_b32_e32 v59, v3, v2
.LBB4_4456:                             ;   in Loop: Header=BB4_4032 Depth=2
	s_or_b32 exec_lo, exec_lo, s42
                                        ; implicit-def: $vgpr2
.LBB4_4457:                             ;   in Loop: Header=BB4_4032 Depth=2
	s_and_not1_saveexec_b32 s7, s41
; %bb.4458:                             ;   in Loop: Header=BB4_4032 Depth=2
	v_or_b32_e32 v59, 0x7e, v2
; %bb.4459:                             ;   in Loop: Header=BB4_4032 Depth=2
	s_or_b32 exec_lo, exec_lo, s7
                                        ; implicit-def: $vgpr2
.LBB4_4460:                             ;   in Loop: Header=BB4_4032 Depth=2
	s_and_not1_saveexec_b32 s7, s40
; %bb.4461:                             ;   in Loop: Header=BB4_4032 Depth=2
	v_or_b32_e32 v59, 0x7f, v2
; %bb.4462:                             ;   in Loop: Header=BB4_4032 Depth=2
	s_or_b32 exec_lo, exec_lo, s7
	v_dual_mov_b32 v3, 0 :: v_dual_lshrrev_b32 v2, 16, v10
	s_mov_b32 s7, exec_lo
	s_delay_alu instid0(VALU_DEP_1) | instskip(NEXT) | instid1(VALU_DEP_1)
	v_and_b32_e32 v14, 0xff, v2
	v_cmpx_ne_u16_e32 0, v14
	s_cbranch_execz .LBB4_4470
; %bb.4463:                             ;   in Loop: Header=BB4_4032 Depth=2
	v_bfrev_b32_e32 v3, 1
	s_mov_b32 s40, exec_lo
	v_cmpx_ne_u16_e32 0x80, v14
	s_cbranch_execz .LBB4_4469
; %bb.4464:                             ;   in Loop: Header=BB4_4032 Depth=2
	v_bfe_u32 v14, v10, 16, 7
	v_mov_b32_e32 v3, 0x7f800001
	s_mov_b32 s41, exec_lo
	s_delay_alu instid0(VALU_DEP_2)
	v_cmpx_ne_u32_e32 0x7f, v14
	s_cbranch_execz .LBB4_4468
; %bb.4465:                             ;   in Loop: Header=BB4_4032 Depth=2
	v_and_b32_e32 v36, 7, v2
	v_lshrrev_b32_e32 v3, 3, v14
	s_mov_b32 s42, exec_lo
	v_cmpx_gt_u32_e32 8, v14
; %bb.4466:                             ;   in Loop: Header=BB4_4032 Depth=2
	s_delay_alu instid0(VALU_DEP_3) | instskip(NEXT) | instid1(VALU_DEP_1)
	v_clz_i32_u32_e32 v3, v36
	v_min_u32_e32 v3, 32, v3
	s_delay_alu instid0(VALU_DEP_1) | instskip(NEXT) | instid1(VALU_DEP_1)
	v_subrev_nc_u32_e32 v14, 28, v3
	v_lshlrev_b64_e32 v[14:15], v14, v[36:37]
	s_delay_alu instid0(VALU_DEP_1)
	v_dual_sub_nc_u32 v3, 29, v3 :: v_dual_bitop2_b32 v36, 7, v14 bitop3:0x40
; %bb.4467:                             ;   in Loop: Header=BB4_4032 Depth=2
	s_or_b32 exec_lo, exec_lo, s42
	s_delay_alu instid0(VALU_DEP_1) | instskip(NEXT) | instid1(VALU_DEP_2)
	v_dual_lshlrev_b32 v2, 24, v2 :: v_dual_lshlrev_b32 v14, 20, v36
	v_lshl_add_u32 v3, v3, 23, 0x3c000000
	s_delay_alu instid0(VALU_DEP_2) | instskip(NEXT) | instid1(VALU_DEP_1)
	v_and_b32_e32 v2, 0x80000000, v2
	v_or3_b32 v3, v14, v2, v3
.LBB4_4468:                             ;   in Loop: Header=BB4_4032 Depth=2
	s_or_b32 exec_lo, exec_lo, s41
.LBB4_4469:                             ;   in Loop: Header=BB4_4032 Depth=2
	s_delay_alu instid0(SALU_CYCLE_1)
	s_or_b32 exec_lo, exec_lo, s40
.LBB4_4470:                             ;   in Loop: Header=BB4_4032 Depth=2
	s_delay_alu instid0(SALU_CYCLE_1) | instskip(NEXT) | instid1(VALU_DEP_1)
	s_or_b32 exec_lo, exec_lo, s7
	v_mul_f32_e32 v3, s29, v3
                                        ; implicit-def: $vgpr61
	s_mov_b32 s7, exec_lo
	s_delay_alu instid0(VALU_DEP_1) | instskip(SKIP_1) | instid1(VALU_DEP_2)
	v_and_b32_e32 v36, 0x7f800000, v3
	v_lshrrev_b32_e32 v2, 24, v3
	v_cmpx_ne_u64_e32 0x7f800000, v[36:37]
	s_xor_b32 s40, exec_lo, s7
	s_cbranch_execz .LBB4_4484
; %bb.4471:                             ;   in Loop: Header=BB4_4032 Depth=2
	v_and_b32_e32 v36, 0x7fffffff, v3
	v_and_b32_e32 v2, 0x80, v2
                                        ; implicit-def: $vgpr61
	s_mov_b32 s7, exec_lo
	s_delay_alu instid0(VALU_DEP_2)
	v_cmpx_gt_u64_e32 0x43e00001, v[36:37]
	s_xor_b32 s41, exec_lo, s7
	s_cbranch_execz .LBB4_4481
; %bb.4472:                             ;   in Loop: Header=BB4_4032 Depth=2
	v_mov_b32_e32 v61, 0
	s_mov_b32 s42, exec_lo
	v_cmpx_ne_u32_e32 0, v3
	s_cbranch_execz .LBB4_4480
; %bb.4473:                             ;   in Loop: Header=BB4_4032 Depth=2
	v_bfe_u32 v103, v3, 23, 8
	v_and_b32_e32 v3, 0x7fffff, v3
	s_delay_alu instid0(VALU_DEP_2) | instskip(SKIP_1) | instid1(VALU_DEP_3)
	v_sub_nc_u32_e32 v14, 0x79, v103
	v_cmp_gt_u32_e32 vcc_lo, 0x7a, v103
	v_or_b32_e32 v16, 0x800000, v3
	s_delay_alu instid0(VALU_DEP_3) | instskip(SKIP_1) | instid1(VALU_DEP_2)
	v_cndmask_b32_e32 v14, 0, v14, vcc_lo
	v_cmp_eq_u32_e32 vcc_lo, 0, v103
	v_cndmask_b32_e64 v113, v14, 0x78, vcc_lo
	s_delay_alu instid0(VALU_DEP_1) | instskip(SKIP_1) | instid1(VALU_DEP_2)
	v_dual_cndmask_b32 v36, v16, v3, vcc_lo :: v_dual_add_nc_u32 v14, 20, v113
	v_add_nc_u32_e32 v17, 19, v113
	v_lshlrev_b64_e64 v[14:15], v14, -1
	s_delay_alu instid0(VALU_DEP_2) | instskip(NEXT) | instid1(VALU_DEP_2)
	v_lshlrev_b64_e64 v[16:17], v17, 1
	v_bfi_b32 v21, v15, 0, 0
	s_delay_alu instid0(VALU_DEP_3) | instskip(SKIP_1) | instid1(VALU_DEP_2)
	v_bfi_b32 v20, v14, 0, v36
	v_lshrrev_b64 v[14:15], v113, v[36:37]
	v_cmp_eq_u64_e64 s7, v[20:21], v[16:17]
	s_delay_alu instid0(VALU_DEP_2)
	v_mov_b64_e32 v[16:17], v[14:15]
	s_and_saveexec_b32 s43, s7
; %bb.4474:                             ;   in Loop: Header=BB4_4032 Depth=2
	v_bfe_u32 v36, v14, 20, 1
	s_delay_alu instid0(VALU_DEP_1) | instskip(NEXT) | instid1(VALU_DEP_1)
	v_add_nc_u64_e32 v[16:17], v[14:15], v[36:37]
	v_add_nc_u64_e32 v[16:17], -1, v[16:17]
; %bb.4475:                             ;   in Loop: Header=BB4_4032 Depth=2
	s_or_b32 exec_lo, exec_lo, s43
	v_add_nc_u32_e32 v3, 0xffffff81, v103
	v_lshrrev_b32_e32 v15, 23, v14
	s_mov_b32 s7, exec_lo
	s_delay_alu instid0(VALU_DEP_2) | instskip(NEXT) | instid1(VALU_DEP_1)
	v_cndmask_b32_e64 v3, v3, 0xffffff82, vcc_lo
	v_add3_u32 v17, v113, v3, v15
	v_and_b32_e32 v3, 0xfffff, v16
	s_delay_alu instid0(VALU_DEP_1) | instskip(NEXT) | instid1(VALU_DEP_1)
	v_dual_add_nc_u32 v16, 6, v17 :: v_dual_add_nc_u32 v36, v3, v14
                                        ; implicit-def: $vgpr14_vgpr15
                                        ; implicit-def: $vgpr3
	v_cmpx_ne_u32_e32 0, v16
	s_xor_b32 s7, exec_lo, s7
; %bb.4476:                             ;   in Loop: Header=BB4_4032 Depth=2
	s_delay_alu instid0(VALU_DEP_2) | instskip(SKIP_2) | instid1(VALU_DEP_2)
	v_cmp_lt_u64_e32 vcc_lo, 0xffffff, v[36:37]
	v_add_nc_u32_e32 v3, 7, v17
	v_cndmask_b32_e64 v14, 0, 1, vcc_lo
	v_cndmask_b32_e32 v3, v16, v3, vcc_lo
	s_delay_alu instid0(VALU_DEP_2)
	v_lshrrev_b64 v[14:15], v14, v[36:37]
; %bb.4477:                             ;   in Loop: Header=BB4_4032 Depth=2
	s_and_not1_saveexec_b32 s7, s7
; %bb.4478:                             ;   in Loop: Header=BB4_4032 Depth=2
	v_mov_b64_e32 v[14:15], v[36:37]
	v_bfe_u32 v3, v36, 23, 1
; %bb.4479:                             ;   in Loop: Header=BB4_4032 Depth=2
	s_or_b32 exec_lo, exec_lo, s7
	s_delay_alu instid0(VALU_DEP_2) | instskip(NEXT) | instid1(VALU_DEP_2)
	v_lshrrev_b64 v[14:15], 20, v[14:15]
	v_cmp_gt_i32_e32 vcc_lo, 16, v3
	v_min_i32_e32 v16, 15, v3
	v_cmp_eq_u32_e64 s7, 0, v3
	s_delay_alu instid0(VALU_DEP_2) | instskip(SKIP_1) | instid1(VALU_DEP_2)
	v_dual_cndmask_b32 v14, 7, v14, vcc_lo :: v_dual_lshlrev_b32 v16, 3, v16
	v_cndmask_b32_e32 v15, 0, v15, vcc_lo
	v_and_b32_e32 v16, 0xf8, v16
	s_delay_alu instid0(VALU_DEP_2) | instskip(NEXT) | instid1(VALU_DEP_2)
	v_cmp_eq_u64_e32 vcc_lo, 0, v[14:15]
	v_and_or_b32 v3, v14, 7, v16
	s_and_b32 s7, s7, vcc_lo
	s_delay_alu instid0(VALU_DEP_1) | instid1(SALU_CYCLE_1)
	v_cndmask_b32_e64 v3, v3, 0, s7
	s_delay_alu instid0(VALU_DEP_1)
	v_or_b32_e32 v61, v3, v2
.LBB4_4480:                             ;   in Loop: Header=BB4_4032 Depth=2
	s_or_b32 exec_lo, exec_lo, s42
                                        ; implicit-def: $vgpr2
.LBB4_4481:                             ;   in Loop: Header=BB4_4032 Depth=2
	s_and_not1_saveexec_b32 s7, s41
; %bb.4482:                             ;   in Loop: Header=BB4_4032 Depth=2
	v_or_b32_e32 v61, 0x7e, v2
; %bb.4483:                             ;   in Loop: Header=BB4_4032 Depth=2
	s_or_b32 exec_lo, exec_lo, s7
                                        ; implicit-def: $vgpr2
.LBB4_4484:                             ;   in Loop: Header=BB4_4032 Depth=2
	s_and_not1_saveexec_b32 s7, s40
; %bb.4485:                             ;   in Loop: Header=BB4_4032 Depth=2
	v_or_b32_e32 v61, 0x7f, v2
; %bb.4486:                             ;   in Loop: Header=BB4_4032 Depth=2
	s_or_b32 exec_lo, exec_lo, s7
	v_mov_b32_e32 v3, 0
	s_mov_b32 s7, exec_lo
	v_cmpx_lt_u32_e32 0xffffff, v10
	s_cbranch_execz .LBB4_4494
; %bb.4487:                             ;   in Loop: Header=BB4_4032 Depth=2
	v_lshrrev_b32_e32 v2, 24, v10
	v_bfrev_b32_e32 v3, 1
	s_mov_b32 s40, exec_lo
	s_delay_alu instid0(VALU_DEP_2)
	v_cmpx_ne_u32_e32 0x80, v2
	s_cbranch_execz .LBB4_4493
; %bb.4488:                             ;   in Loop: Header=BB4_4032 Depth=2
	v_bfe_u32 v14, v10, 24, 7
	v_mov_b32_e32 v3, 0x7f800001
	s_mov_b32 s41, exec_lo
	s_delay_alu instid0(VALU_DEP_2)
	v_cmpx_ne_u32_e32 0x7f, v14
	s_cbranch_execz .LBB4_4492
; %bb.4489:                             ;   in Loop: Header=BB4_4032 Depth=2
	v_and_b32_e32 v36, 7, v2
	v_lshrrev_b32_e32 v3, 3, v14
	s_mov_b32 s42, exec_lo
	v_cmpx_gt_u32_e32 8, v14
; %bb.4490:                             ;   in Loop: Header=BB4_4032 Depth=2
	s_delay_alu instid0(VALU_DEP_3) | instskip(NEXT) | instid1(VALU_DEP_1)
	v_clz_i32_u32_e32 v3, v36
	v_min_u32_e32 v3, 32, v3
	s_delay_alu instid0(VALU_DEP_1) | instskip(NEXT) | instid1(VALU_DEP_1)
	v_subrev_nc_u32_e32 v14, 28, v3
	v_lshlrev_b64_e32 v[14:15], v14, v[36:37]
	s_delay_alu instid0(VALU_DEP_1)
	v_dual_sub_nc_u32 v3, 29, v3 :: v_dual_bitop2_b32 v36, 7, v14 bitop3:0x40
; %bb.4491:                             ;   in Loop: Header=BB4_4032 Depth=2
	s_or_b32 exec_lo, exec_lo, s42
	s_delay_alu instid0(VALU_DEP_1) | instskip(NEXT) | instid1(VALU_DEP_2)
	v_dual_lshlrev_b32 v2, 24, v2 :: v_dual_lshlrev_b32 v14, 20, v36
	v_lshl_add_u32 v3, v3, 23, 0x3c000000
	s_delay_alu instid0(VALU_DEP_2) | instskip(NEXT) | instid1(VALU_DEP_1)
	v_and_b32_e32 v2, 0x80000000, v2
	v_or3_b32 v3, v14, v2, v3
.LBB4_4492:                             ;   in Loop: Header=BB4_4032 Depth=2
	s_or_b32 exec_lo, exec_lo, s41
.LBB4_4493:                             ;   in Loop: Header=BB4_4032 Depth=2
	s_delay_alu instid0(SALU_CYCLE_1)
	s_or_b32 exec_lo, exec_lo, s40
.LBB4_4494:                             ;   in Loop: Header=BB4_4032 Depth=2
	s_delay_alu instid0(SALU_CYCLE_1) | instskip(NEXT) | instid1(VALU_DEP_1)
	s_or_b32 exec_lo, exec_lo, s7
	v_mul_f32_e32 v3, s29, v3
                                        ; implicit-def: $vgpr73
	s_mov_b32 s7, exec_lo
	s_delay_alu instid0(VALU_DEP_1) | instskip(SKIP_1) | instid1(VALU_DEP_2)
	v_and_b32_e32 v36, 0x7f800000, v3
	v_lshrrev_b32_e32 v2, 24, v3
	v_cmpx_ne_u64_e32 0x7f800000, v[36:37]
	s_xor_b32 s40, exec_lo, s7
	s_cbranch_execz .LBB4_4508
; %bb.4495:                             ;   in Loop: Header=BB4_4032 Depth=2
	v_and_b32_e32 v36, 0x7fffffff, v3
	v_and_b32_e32 v2, 0x80, v2
                                        ; implicit-def: $vgpr73
	s_mov_b32 s7, exec_lo
	s_delay_alu instid0(VALU_DEP_2)
	v_cmpx_gt_u64_e32 0x43e00001, v[36:37]
	s_xor_b32 s41, exec_lo, s7
	s_cbranch_execz .LBB4_4505
; %bb.4496:                             ;   in Loop: Header=BB4_4032 Depth=2
	v_mov_b32_e32 v73, 0
	s_mov_b32 s42, exec_lo
	v_cmpx_ne_u32_e32 0, v3
	s_cbranch_execz .LBB4_4504
; %bb.4497:                             ;   in Loop: Header=BB4_4032 Depth=2
	v_bfe_u32 v103, v3, 23, 8
	v_and_b32_e32 v3, 0x7fffff, v3
	s_delay_alu instid0(VALU_DEP_2) | instskip(SKIP_1) | instid1(VALU_DEP_3)
	v_sub_nc_u32_e32 v14, 0x79, v103
	v_cmp_gt_u32_e32 vcc_lo, 0x7a, v103
	v_or_b32_e32 v16, 0x800000, v3
	s_delay_alu instid0(VALU_DEP_3) | instskip(SKIP_1) | instid1(VALU_DEP_2)
	v_cndmask_b32_e32 v14, 0, v14, vcc_lo
	v_cmp_eq_u32_e32 vcc_lo, 0, v103
	v_cndmask_b32_e64 v113, v14, 0x78, vcc_lo
	s_delay_alu instid0(VALU_DEP_1) | instskip(SKIP_1) | instid1(VALU_DEP_2)
	v_dual_cndmask_b32 v36, v16, v3, vcc_lo :: v_dual_add_nc_u32 v14, 20, v113
	v_add_nc_u32_e32 v17, 19, v113
	v_lshlrev_b64_e64 v[14:15], v14, -1
	s_delay_alu instid0(VALU_DEP_2) | instskip(NEXT) | instid1(VALU_DEP_2)
	v_lshlrev_b64_e64 v[16:17], v17, 1
	v_bfi_b32 v21, v15, 0, 0
	s_delay_alu instid0(VALU_DEP_3) | instskip(SKIP_1) | instid1(VALU_DEP_2)
	v_bfi_b32 v20, v14, 0, v36
	v_lshrrev_b64 v[14:15], v113, v[36:37]
	v_cmp_eq_u64_e64 s7, v[20:21], v[16:17]
	s_delay_alu instid0(VALU_DEP_2)
	v_mov_b64_e32 v[16:17], v[14:15]
	s_and_saveexec_b32 s43, s7
; %bb.4498:                             ;   in Loop: Header=BB4_4032 Depth=2
	v_bfe_u32 v36, v14, 20, 1
	s_delay_alu instid0(VALU_DEP_1) | instskip(NEXT) | instid1(VALU_DEP_1)
	v_add_nc_u64_e32 v[16:17], v[14:15], v[36:37]
	v_add_nc_u64_e32 v[16:17], -1, v[16:17]
; %bb.4499:                             ;   in Loop: Header=BB4_4032 Depth=2
	s_or_b32 exec_lo, exec_lo, s43
	v_add_nc_u32_e32 v3, 0xffffff81, v103
	v_lshrrev_b32_e32 v15, 23, v14
	s_mov_b32 s7, exec_lo
	s_delay_alu instid0(VALU_DEP_2) | instskip(NEXT) | instid1(VALU_DEP_1)
	v_cndmask_b32_e64 v3, v3, 0xffffff82, vcc_lo
	v_add3_u32 v17, v113, v3, v15
	v_and_b32_e32 v3, 0xfffff, v16
	s_delay_alu instid0(VALU_DEP_1) | instskip(NEXT) | instid1(VALU_DEP_1)
	v_dual_add_nc_u32 v16, 6, v17 :: v_dual_add_nc_u32 v36, v3, v14
                                        ; implicit-def: $vgpr14_vgpr15
                                        ; implicit-def: $vgpr3
	v_cmpx_ne_u32_e32 0, v16
	s_xor_b32 s7, exec_lo, s7
; %bb.4500:                             ;   in Loop: Header=BB4_4032 Depth=2
	s_delay_alu instid0(VALU_DEP_2) | instskip(SKIP_2) | instid1(VALU_DEP_2)
	v_cmp_lt_u64_e32 vcc_lo, 0xffffff, v[36:37]
	v_add_nc_u32_e32 v3, 7, v17
	v_cndmask_b32_e64 v14, 0, 1, vcc_lo
	v_cndmask_b32_e32 v3, v16, v3, vcc_lo
	s_delay_alu instid0(VALU_DEP_2)
	v_lshrrev_b64 v[14:15], v14, v[36:37]
; %bb.4501:                             ;   in Loop: Header=BB4_4032 Depth=2
	s_and_not1_saveexec_b32 s7, s7
; %bb.4502:                             ;   in Loop: Header=BB4_4032 Depth=2
	v_mov_b64_e32 v[14:15], v[36:37]
	v_bfe_u32 v3, v36, 23, 1
; %bb.4503:                             ;   in Loop: Header=BB4_4032 Depth=2
	s_or_b32 exec_lo, exec_lo, s7
	s_delay_alu instid0(VALU_DEP_2) | instskip(NEXT) | instid1(VALU_DEP_2)
	v_lshrrev_b64 v[14:15], 20, v[14:15]
	v_cmp_gt_i32_e32 vcc_lo, 16, v3
	v_min_i32_e32 v16, 15, v3
	v_cmp_eq_u32_e64 s7, 0, v3
	s_delay_alu instid0(VALU_DEP_2) | instskip(SKIP_1) | instid1(VALU_DEP_2)
	v_dual_cndmask_b32 v14, 7, v14, vcc_lo :: v_dual_lshlrev_b32 v16, 3, v16
	v_cndmask_b32_e32 v15, 0, v15, vcc_lo
	v_and_b32_e32 v16, 0xf8, v16
	s_delay_alu instid0(VALU_DEP_2) | instskip(NEXT) | instid1(VALU_DEP_2)
	v_cmp_eq_u64_e32 vcc_lo, 0, v[14:15]
	v_and_or_b32 v3, v14, 7, v16
	s_and_b32 s7, s7, vcc_lo
	s_delay_alu instid0(VALU_DEP_1) | instid1(SALU_CYCLE_1)
	v_cndmask_b32_e64 v3, v3, 0, s7
	s_delay_alu instid0(VALU_DEP_1)
	v_or_b32_e32 v73, v3, v2
.LBB4_4504:                             ;   in Loop: Header=BB4_4032 Depth=2
	s_or_b32 exec_lo, exec_lo, s42
                                        ; implicit-def: $vgpr2
.LBB4_4505:                             ;   in Loop: Header=BB4_4032 Depth=2
	s_and_not1_saveexec_b32 s7, s41
; %bb.4506:                             ;   in Loop: Header=BB4_4032 Depth=2
	v_or_b32_e32 v73, 0x7e, v2
; %bb.4507:                             ;   in Loop: Header=BB4_4032 Depth=2
	s_or_b32 exec_lo, exec_lo, s7
                                        ; implicit-def: $vgpr2
.LBB4_4508:                             ;   in Loop: Header=BB4_4032 Depth=2
	s_and_not1_saveexec_b32 s7, s40
; %bb.4509:                             ;   in Loop: Header=BB4_4032 Depth=2
	v_or_b32_e32 v73, 0x7f, v2
; %bb.4510:                             ;   in Loop: Header=BB4_4032 Depth=2
	s_or_b32 exec_lo, exec_lo, s7
	v_and_b32_e32 v3, 0xff, v11
	v_dual_mov_b32 v36, v11 :: v_dual_mov_b32 v2, 0
	s_mov_b32 s7, exec_lo
	s_delay_alu instid0(VALU_DEP_2)
	v_cmpx_ne_u16_e32 0, v3
	s_cbranch_execz .LBB4_4516
; %bb.4511:                             ;   in Loop: Header=BB4_4032 Depth=2
	v_bfrev_b32_e32 v2, 1
	s_mov_b32 s40, exec_lo
	v_cmpx_ne_u16_e32 0x80, v3
	s_cbranch_execz .LBB4_4515
; %bb.4512:                             ;   in Loop: Header=BB4_4032 Depth=2
	v_and_b32_e32 v3, 0x7f, v11
	v_mov_b32_e32 v2, 0x7f800001
	s_mov_b32 s41, exec_lo
	s_delay_alu instid0(VALU_DEP_2)
	v_cmpx_ne_u32_e32 0x7f, v3
	s_cbranch_execz .LBB4_4514
; %bb.4513:                             ;   in Loop: Header=BB4_4032 Depth=2
	v_and_b32_e32 v2, 7, v11
	v_cmp_gt_u32_e32 vcc_lo, 8, v3
	s_delay_alu instid0(VALU_DEP_2) | instskip(NEXT) | instid1(VALU_DEP_1)
	v_clz_i32_u32_e32 v2, v2
	v_min_u32_e32 v2, 32, v2
	v_lshrrev_b32_e32 v14, 3, v3
	s_delay_alu instid0(VALU_DEP_2) | instskip(SKIP_1) | instid1(VALU_DEP_1)
	v_subrev_nc_u32_e32 v15, 28, v2
	v_sub_nc_u32_e32 v2, 29, v2
	v_dual_cndmask_b32 v14, v14, v2, vcc_lo :: v_dual_cndmask_b32 v2, 0, v15, vcc_lo
	s_delay_alu instid0(VALU_DEP_1) | instskip(NEXT) | instid1(VALU_DEP_2)
	v_lshl_add_u32 v14, v14, 23, 0x3c000000
	v_lshlrev_b64_e32 v[2:3], v2, v[36:37]
	v_lshlrev_b32_e32 v3, 24, v36
	s_delay_alu instid0(VALU_DEP_1) | instskip(NEXT) | instid1(VALU_DEP_3)
	v_and_b32_e32 v3, 0x80000000, v3
	v_lshlrev_b32_e32 v2, 20, v2
	s_delay_alu instid0(VALU_DEP_1) | instskip(NEXT) | instid1(VALU_DEP_1)
	v_and_b32_e32 v2, 0x700000, v2
	v_or3_b32 v2, v2, v3, v14
.LBB4_4514:                             ;   in Loop: Header=BB4_4032 Depth=2
	s_or_b32 exec_lo, exec_lo, s41
.LBB4_4515:                             ;   in Loop: Header=BB4_4032 Depth=2
	s_delay_alu instid0(SALU_CYCLE_1)
	s_or_b32 exec_lo, exec_lo, s40
.LBB4_4516:                             ;   in Loop: Header=BB4_4032 Depth=2
	s_delay_alu instid0(SALU_CYCLE_1) | instskip(NEXT) | instid1(VALU_DEP_1)
	s_or_b32 exec_lo, exec_lo, s7
	v_dual_mul_f32 v3, s29, v2 :: v_dual_mov_b32 v15, v37
                                        ; implicit-def: $vgpr40
	s_mov_b32 s7, exec_lo
	s_delay_alu instid0(VALU_DEP_1) | instskip(SKIP_1) | instid1(VALU_DEP_2)
	v_and_b32_e32 v14, 0x7f800000, v3
	v_lshrrev_b32_e32 v2, 24, v3
	v_cmpx_ne_u64_e32 0x7f800000, v[14:15]
	s_xor_b32 s40, exec_lo, s7
	s_cbranch_execz .LBB4_4530
; %bb.4517:                             ;   in Loop: Header=BB4_4032 Depth=2
	v_and_b32_e32 v14, 0x7fffffff, v3
	v_mov_b32_e32 v15, v37
	v_and_b32_e32 v2, 0x80, v2
                                        ; implicit-def: $vgpr40
	s_mov_b32 s7, exec_lo
	s_delay_alu instid0(VALU_DEP_2)
	v_cmpx_gt_u64_e32 0x43e00001, v[14:15]
	s_xor_b32 s41, exec_lo, s7
	s_cbranch_execz .LBB4_4527
; %bb.4518:                             ;   in Loop: Header=BB4_4032 Depth=2
	v_mov_b32_e32 v40, 0
	s_mov_b32 s42, exec_lo
	v_cmpx_ne_u32_e32 0, v3
	s_cbranch_execz .LBB4_4526
; %bb.4519:                             ;   in Loop: Header=BB4_4032 Depth=2
	v_bfe_u32 v103, v3, 23, 8
	v_and_b32_e32 v3, 0x7fffff, v3
	s_mov_b32 s43, exec_lo
	s_delay_alu instid0(VALU_DEP_2) | instskip(SKIP_1) | instid1(VALU_DEP_3)
	v_dual_mov_b32 v17, v37 :: v_dual_sub_nc_u32 v14, 0x79, v103
	v_cmp_gt_u32_e32 vcc_lo, 0x7a, v103
	v_or_b32_e32 v16, 0x800000, v3
	s_delay_alu instid0(VALU_DEP_3) | instskip(SKIP_1) | instid1(VALU_DEP_2)
	v_cndmask_b32_e32 v14, 0, v14, vcc_lo
	v_cmp_eq_u32_e32 vcc_lo, 0, v103
	v_cndmask_b32_e64 v113, v14, 0x78, vcc_lo
	s_delay_alu instid0(VALU_DEP_1) | instskip(SKIP_1) | instid1(VALU_DEP_2)
	v_dual_cndmask_b32 v16, v16, v3, vcc_lo :: v_dual_add_nc_u32 v14, 20, v113
	v_add_nc_u32_e32 v20, 19, v113
	v_lshlrev_b64_e64 v[14:15], v14, -1
	s_delay_alu instid0(VALU_DEP_2) | instskip(NEXT) | instid1(VALU_DEP_2)
	v_lshlrev_b64_e64 v[20:21], v20, 1
	v_bfi_b32 v115, v15, 0, 0
	s_delay_alu instid0(VALU_DEP_3) | instskip(SKIP_1) | instid1(VALU_DEP_1)
	v_bfi_b32 v114, v14, 0, v16
	v_lshrrev_b64 v[14:15], v113, v[16:17]
	v_mov_b64_e32 v[16:17], v[14:15]
	s_delay_alu instid0(VALU_DEP_3)
	v_cmpx_eq_u64_e64 v[114:115], v[20:21]
; %bb.4520:                             ;   in Loop: Header=BB4_4032 Depth=2
	v_bfe_u32 v16, v14, 20, 1
	v_mov_b32_e32 v17, v37
	s_delay_alu instid0(VALU_DEP_1) | instskip(NEXT) | instid1(VALU_DEP_1)
	v_add_nc_u64_e32 v[16:17], v[14:15], v[16:17]
	v_add_nc_u64_e32 v[16:17], -1, v[16:17]
; %bb.4521:                             ;   in Loop: Header=BB4_4032 Depth=2
	s_or_b32 exec_lo, exec_lo, s43
	v_add_nc_u32_e32 v3, 0xffffff81, v103
	v_lshrrev_b32_e32 v15, 23, v14
	s_mov_b32 s7, exec_lo
	s_delay_alu instid0(VALU_DEP_2) | instskip(NEXT) | instid1(VALU_DEP_1)
	v_cndmask_b32_e64 v3, v3, 0xffffff82, vcc_lo
	v_add3_u32 v17, v113, v3, v15
	v_and_b32_e32 v3, 0xfffff, v16
	s_delay_alu instid0(VALU_DEP_2) | instskip(NEXT) | instid1(VALU_DEP_2)
	v_dual_mov_b32 v15, v37 :: v_dual_add_nc_u32 v16, 6, v17
	v_add_nc_u32_e32 v14, v3, v14
                                        ; implicit-def: $vgpr3
	s_delay_alu instid0(VALU_DEP_2)
	v_cmpx_ne_u32_e32 0, v16
	s_xor_b32 s7, exec_lo, s7
; %bb.4522:                             ;   in Loop: Header=BB4_4032 Depth=2
	s_delay_alu instid0(VALU_DEP_2) | instskip(SKIP_1) | instid1(VALU_DEP_1)
	v_cmp_lt_u64_e32 vcc_lo, 0xffffff, v[14:15]
	v_add_nc_u32_e32 v3, 7, v17
	v_cndmask_b32_e32 v3, v16, v3, vcc_lo
	v_cndmask_b32_e64 v16, 0, 1, vcc_lo
	s_delay_alu instid0(VALU_DEP_1)
	v_lshrrev_b64 v[14:15], v16, v[14:15]
; %bb.4523:                             ;   in Loop: Header=BB4_4032 Depth=2
	s_and_not1_saveexec_b32 s7, s7
; %bb.4524:                             ;   in Loop: Header=BB4_4032 Depth=2
	s_delay_alu instid0(VALU_DEP_1)
	v_bfe_u32 v3, v14, 23, 1
; %bb.4525:                             ;   in Loop: Header=BB4_4032 Depth=2
	s_or_b32 exec_lo, exec_lo, s7
	s_delay_alu instid0(VALU_DEP_2) | instskip(NEXT) | instid1(VALU_DEP_2)
	v_lshrrev_b64 v[14:15], 20, v[14:15]
	v_cmp_gt_i32_e32 vcc_lo, 16, v3
	v_min_i32_e32 v16, 15, v3
	v_cmp_eq_u32_e64 s7, 0, v3
	s_delay_alu instid0(VALU_DEP_2) | instskip(SKIP_1) | instid1(VALU_DEP_2)
	v_dual_cndmask_b32 v14, 7, v14, vcc_lo :: v_dual_lshlrev_b32 v16, 3, v16
	v_cndmask_b32_e32 v15, 0, v15, vcc_lo
	v_and_b32_e32 v16, 0xf8, v16
	s_delay_alu instid0(VALU_DEP_2) | instskip(NEXT) | instid1(VALU_DEP_2)
	v_cmp_eq_u64_e32 vcc_lo, 0, v[14:15]
	v_and_or_b32 v3, v14, 7, v16
	s_and_b32 s7, s7, vcc_lo
	s_delay_alu instid0(VALU_DEP_1) | instid1(SALU_CYCLE_1)
	v_cndmask_b32_e64 v3, v3, 0, s7
	s_delay_alu instid0(VALU_DEP_1)
	v_or_b32_e32 v40, v3, v2
.LBB4_4526:                             ;   in Loop: Header=BB4_4032 Depth=2
	s_or_b32 exec_lo, exec_lo, s42
                                        ; implicit-def: $vgpr2
.LBB4_4527:                             ;   in Loop: Header=BB4_4032 Depth=2
	s_and_not1_saveexec_b32 s7, s41
; %bb.4528:                             ;   in Loop: Header=BB4_4032 Depth=2
	v_or_b32_e32 v40, 0x7e, v2
; %bb.4529:                             ;   in Loop: Header=BB4_4032 Depth=2
	s_or_b32 exec_lo, exec_lo, s7
                                        ; implicit-def: $vgpr2
.LBB4_4530:                             ;   in Loop: Header=BB4_4032 Depth=2
	s_and_not1_saveexec_b32 s7, s40
; %bb.4531:                             ;   in Loop: Header=BB4_4032 Depth=2
	v_or_b32_e32 v40, 0x7f, v2
; %bb.4532:                             ;   in Loop: Header=BB4_4032 Depth=2
	s_or_b32 exec_lo, exec_lo, s7
	v_lshrrev_b16 v3, 8, v36
	v_mov_b32_e32 v2, 0
	s_mov_b32 s7, exec_lo
	s_delay_alu instid0(VALU_DEP_2)
	v_cmpx_ne_u16_e32 0, v3
	s_cbranch_execz .LBB4_4540
; %bb.4533:                             ;   in Loop: Header=BB4_4032 Depth=2
	v_bfrev_b32_e32 v2, 1
	s_mov_b32 s40, exec_lo
	v_cmpx_ne_u16_e32 0x80, v3
	s_cbranch_execz .LBB4_4539
; %bb.4534:                             ;   in Loop: Header=BB4_4032 Depth=2
	v_and_b32_e32 v14, 0xffff, v3
	v_mov_b32_e32 v2, 0x7f800001
	s_mov_b32 s41, exec_lo
	s_delay_alu instid0(VALU_DEP_2) | instskip(NEXT) | instid1(VALU_DEP_1)
	v_and_b32_e32 v3, 0x7f, v14
	v_cmpx_ne_u32_e32 0x7f, v3
	s_cbranch_execz .LBB4_4538
; %bb.4535:                             ;   in Loop: Header=BB4_4032 Depth=2
	v_dual_mov_b32 v15, v37 :: v_dual_bitop2_b32 v14, 7, v14 bitop3:0x40
	v_lshrrev_b32_e32 v2, 3, v3
	s_mov_b32 s42, exec_lo
	v_cmpx_gt_u32_e32 8, v3
; %bb.4536:                             ;   in Loop: Header=BB4_4032 Depth=2
	s_delay_alu instid0(VALU_DEP_3) | instskip(NEXT) | instid1(VALU_DEP_1)
	v_clz_i32_u32_e32 v2, v14
	v_min_u32_e32 v2, 32, v2
	s_delay_alu instid0(VALU_DEP_1) | instskip(SKIP_1) | instid1(VALU_DEP_2)
	v_subrev_nc_u32_e32 v3, 28, v2
	v_sub_nc_u32_e32 v2, 29, v2
	v_lshlrev_b64_e32 v[14:15], v3, v[14:15]
	s_delay_alu instid0(VALU_DEP_1)
	v_and_b32_e32 v14, 7, v14
; %bb.4537:                             ;   in Loop: Header=BB4_4032 Depth=2
	s_or_b32 exec_lo, exec_lo, s42
	s_delay_alu instid0(VALU_DEP_1) | instskip(SKIP_1) | instid1(VALU_DEP_2)
	v_dual_lshlrev_b32 v3, 16, v36 :: v_dual_lshlrev_b32 v14, 20, v14
	v_lshl_add_u32 v2, v2, 23, 0x3c000000
	v_and_b32_e32 v3, 0x80000000, v3
	s_delay_alu instid0(VALU_DEP_1)
	v_or3_b32 v2, v14, v3, v2
.LBB4_4538:                             ;   in Loop: Header=BB4_4032 Depth=2
	s_or_b32 exec_lo, exec_lo, s41
.LBB4_4539:                             ;   in Loop: Header=BB4_4032 Depth=2
	s_delay_alu instid0(SALU_CYCLE_1)
	s_or_b32 exec_lo, exec_lo, s40
.LBB4_4540:                             ;   in Loop: Header=BB4_4032 Depth=2
	s_delay_alu instid0(SALU_CYCLE_1) | instskip(NEXT) | instid1(VALU_DEP_1)
	s_or_b32 exec_lo, exec_lo, s7
	v_mul_f32_e32 v3, s29, v2
                                        ; implicit-def: $vgpr46
	s_mov_b32 s7, exec_lo
	s_delay_alu instid0(VALU_DEP_1) | instskip(SKIP_1) | instid1(VALU_DEP_2)
	v_and_b32_e32 v36, 0x7f800000, v3
	v_lshrrev_b32_e32 v2, 24, v3
	v_cmpx_ne_u64_e32 0x7f800000, v[36:37]
	s_xor_b32 s40, exec_lo, s7
	s_cbranch_execz .LBB4_4554
; %bb.4541:                             ;   in Loop: Header=BB4_4032 Depth=2
	v_and_b32_e32 v36, 0x7fffffff, v3
	v_and_b32_e32 v2, 0x80, v2
                                        ; implicit-def: $vgpr46
	s_mov_b32 s7, exec_lo
	s_delay_alu instid0(VALU_DEP_2)
	v_cmpx_gt_u64_e32 0x43e00001, v[36:37]
	s_xor_b32 s41, exec_lo, s7
	s_cbranch_execz .LBB4_4551
; %bb.4542:                             ;   in Loop: Header=BB4_4032 Depth=2
	v_mov_b32_e32 v46, 0
	s_mov_b32 s42, exec_lo
	v_cmpx_ne_u32_e32 0, v3
	s_cbranch_execz .LBB4_4550
; %bb.4543:                             ;   in Loop: Header=BB4_4032 Depth=2
	v_bfe_u32 v103, v3, 23, 8
	v_and_b32_e32 v3, 0x7fffff, v3
	s_delay_alu instid0(VALU_DEP_2) | instskip(SKIP_1) | instid1(VALU_DEP_3)
	v_sub_nc_u32_e32 v14, 0x79, v103
	v_cmp_gt_u32_e32 vcc_lo, 0x7a, v103
	v_or_b32_e32 v16, 0x800000, v3
	s_delay_alu instid0(VALU_DEP_3) | instskip(SKIP_1) | instid1(VALU_DEP_2)
	v_cndmask_b32_e32 v14, 0, v14, vcc_lo
	v_cmp_eq_u32_e32 vcc_lo, 0, v103
	v_cndmask_b32_e64 v113, v14, 0x78, vcc_lo
	s_delay_alu instid0(VALU_DEP_1) | instskip(SKIP_1) | instid1(VALU_DEP_2)
	v_dual_cndmask_b32 v36, v16, v3, vcc_lo :: v_dual_add_nc_u32 v14, 20, v113
	v_add_nc_u32_e32 v17, 19, v113
	v_lshlrev_b64_e64 v[14:15], v14, -1
	s_delay_alu instid0(VALU_DEP_2) | instskip(NEXT) | instid1(VALU_DEP_2)
	v_lshlrev_b64_e64 v[16:17], v17, 1
	v_bfi_b32 v21, v15, 0, 0
	s_delay_alu instid0(VALU_DEP_3) | instskip(SKIP_1) | instid1(VALU_DEP_2)
	v_bfi_b32 v20, v14, 0, v36
	v_lshrrev_b64 v[14:15], v113, v[36:37]
	v_cmp_eq_u64_e64 s7, v[20:21], v[16:17]
	s_delay_alu instid0(VALU_DEP_2)
	v_mov_b64_e32 v[16:17], v[14:15]
	s_and_saveexec_b32 s43, s7
; %bb.4544:                             ;   in Loop: Header=BB4_4032 Depth=2
	v_bfe_u32 v36, v14, 20, 1
	s_delay_alu instid0(VALU_DEP_1) | instskip(NEXT) | instid1(VALU_DEP_1)
	v_add_nc_u64_e32 v[16:17], v[14:15], v[36:37]
	v_add_nc_u64_e32 v[16:17], -1, v[16:17]
; %bb.4545:                             ;   in Loop: Header=BB4_4032 Depth=2
	s_or_b32 exec_lo, exec_lo, s43
	v_add_nc_u32_e32 v3, 0xffffff81, v103
	v_lshrrev_b32_e32 v15, 23, v14
	s_mov_b32 s7, exec_lo
	s_delay_alu instid0(VALU_DEP_2) | instskip(NEXT) | instid1(VALU_DEP_1)
	v_cndmask_b32_e64 v3, v3, 0xffffff82, vcc_lo
	v_add3_u32 v17, v113, v3, v15
	v_and_b32_e32 v3, 0xfffff, v16
	s_delay_alu instid0(VALU_DEP_1) | instskip(NEXT) | instid1(VALU_DEP_1)
	v_dual_add_nc_u32 v16, 6, v17 :: v_dual_add_nc_u32 v36, v3, v14
                                        ; implicit-def: $vgpr14_vgpr15
                                        ; implicit-def: $vgpr3
	v_cmpx_ne_u32_e32 0, v16
	s_xor_b32 s7, exec_lo, s7
; %bb.4546:                             ;   in Loop: Header=BB4_4032 Depth=2
	s_delay_alu instid0(VALU_DEP_2) | instskip(SKIP_2) | instid1(VALU_DEP_2)
	v_cmp_lt_u64_e32 vcc_lo, 0xffffff, v[36:37]
	v_add_nc_u32_e32 v3, 7, v17
	v_cndmask_b32_e64 v14, 0, 1, vcc_lo
	v_cndmask_b32_e32 v3, v16, v3, vcc_lo
	s_delay_alu instid0(VALU_DEP_2)
	v_lshrrev_b64 v[14:15], v14, v[36:37]
; %bb.4547:                             ;   in Loop: Header=BB4_4032 Depth=2
	s_and_not1_saveexec_b32 s7, s7
; %bb.4548:                             ;   in Loop: Header=BB4_4032 Depth=2
	v_mov_b64_e32 v[14:15], v[36:37]
	v_bfe_u32 v3, v36, 23, 1
; %bb.4549:                             ;   in Loop: Header=BB4_4032 Depth=2
	s_or_b32 exec_lo, exec_lo, s7
	s_delay_alu instid0(VALU_DEP_2) | instskip(NEXT) | instid1(VALU_DEP_2)
	v_lshrrev_b64 v[14:15], 20, v[14:15]
	v_cmp_gt_i32_e32 vcc_lo, 16, v3
	v_min_i32_e32 v16, 15, v3
	v_cmp_eq_u32_e64 s7, 0, v3
	s_delay_alu instid0(VALU_DEP_2) | instskip(SKIP_1) | instid1(VALU_DEP_2)
	v_dual_cndmask_b32 v14, 7, v14, vcc_lo :: v_dual_lshlrev_b32 v16, 3, v16
	v_cndmask_b32_e32 v15, 0, v15, vcc_lo
	v_and_b32_e32 v16, 0xf8, v16
	s_delay_alu instid0(VALU_DEP_2) | instskip(NEXT) | instid1(VALU_DEP_2)
	v_cmp_eq_u64_e32 vcc_lo, 0, v[14:15]
	v_and_or_b32 v3, v14, 7, v16
	s_and_b32 s7, s7, vcc_lo
	s_delay_alu instid0(VALU_DEP_1) | instid1(SALU_CYCLE_1)
	v_cndmask_b32_e64 v3, v3, 0, s7
	s_delay_alu instid0(VALU_DEP_1)
	v_or_b32_e32 v46, v3, v2
.LBB4_4550:                             ;   in Loop: Header=BB4_4032 Depth=2
	s_or_b32 exec_lo, exec_lo, s42
                                        ; implicit-def: $vgpr2
.LBB4_4551:                             ;   in Loop: Header=BB4_4032 Depth=2
	s_and_not1_saveexec_b32 s7, s41
; %bb.4552:                             ;   in Loop: Header=BB4_4032 Depth=2
	v_or_b32_e32 v46, 0x7e, v2
; %bb.4553:                             ;   in Loop: Header=BB4_4032 Depth=2
	s_or_b32 exec_lo, exec_lo, s7
                                        ; implicit-def: $vgpr2
.LBB4_4554:                             ;   in Loop: Header=BB4_4032 Depth=2
	s_and_not1_saveexec_b32 s7, s40
; %bb.4555:                             ;   in Loop: Header=BB4_4032 Depth=2
	v_or_b32_e32 v46, 0x7f, v2
; %bb.4556:                             ;   in Loop: Header=BB4_4032 Depth=2
	s_or_b32 exec_lo, exec_lo, s7
	v_dual_mov_b32 v3, 0 :: v_dual_lshrrev_b32 v2, 16, v11
	s_mov_b32 s7, exec_lo
	s_delay_alu instid0(VALU_DEP_1) | instskip(NEXT) | instid1(VALU_DEP_1)
	v_and_b32_e32 v14, 0xff, v2
	v_cmpx_ne_u16_e32 0, v14
	s_cbranch_execz .LBB4_4564
; %bb.4557:                             ;   in Loop: Header=BB4_4032 Depth=2
	v_bfrev_b32_e32 v3, 1
	s_mov_b32 s40, exec_lo
	v_cmpx_ne_u16_e32 0x80, v14
	s_cbranch_execz .LBB4_4563
; %bb.4558:                             ;   in Loop: Header=BB4_4032 Depth=2
	v_bfe_u32 v14, v11, 16, 7
	v_mov_b32_e32 v3, 0x7f800001
	s_mov_b32 s41, exec_lo
	s_delay_alu instid0(VALU_DEP_2)
	v_cmpx_ne_u32_e32 0x7f, v14
	s_cbranch_execz .LBB4_4562
; %bb.4559:                             ;   in Loop: Header=BB4_4032 Depth=2
	v_and_b32_e32 v36, 7, v2
	v_lshrrev_b32_e32 v3, 3, v14
	s_mov_b32 s42, exec_lo
	v_cmpx_gt_u32_e32 8, v14
; %bb.4560:                             ;   in Loop: Header=BB4_4032 Depth=2
	s_delay_alu instid0(VALU_DEP_3) | instskip(NEXT) | instid1(VALU_DEP_1)
	v_clz_i32_u32_e32 v3, v36
	v_min_u32_e32 v3, 32, v3
	s_delay_alu instid0(VALU_DEP_1) | instskip(NEXT) | instid1(VALU_DEP_1)
	v_subrev_nc_u32_e32 v14, 28, v3
	v_lshlrev_b64_e32 v[14:15], v14, v[36:37]
	s_delay_alu instid0(VALU_DEP_1)
	v_dual_sub_nc_u32 v3, 29, v3 :: v_dual_bitop2_b32 v36, 7, v14 bitop3:0x40
; %bb.4561:                             ;   in Loop: Header=BB4_4032 Depth=2
	s_or_b32 exec_lo, exec_lo, s42
	s_delay_alu instid0(VALU_DEP_1) | instskip(NEXT) | instid1(VALU_DEP_2)
	v_dual_lshlrev_b32 v2, 24, v2 :: v_dual_lshlrev_b32 v14, 20, v36
	v_lshl_add_u32 v3, v3, 23, 0x3c000000
	s_delay_alu instid0(VALU_DEP_2) | instskip(NEXT) | instid1(VALU_DEP_1)
	v_and_b32_e32 v2, 0x80000000, v2
	v_or3_b32 v3, v14, v2, v3
.LBB4_4562:                             ;   in Loop: Header=BB4_4032 Depth=2
	s_or_b32 exec_lo, exec_lo, s41
.LBB4_4563:                             ;   in Loop: Header=BB4_4032 Depth=2
	s_delay_alu instid0(SALU_CYCLE_1)
	s_or_b32 exec_lo, exec_lo, s40
.LBB4_4564:                             ;   in Loop: Header=BB4_4032 Depth=2
	s_delay_alu instid0(SALU_CYCLE_1) | instskip(NEXT) | instid1(VALU_DEP_1)
	s_or_b32 exec_lo, exec_lo, s7
	v_mul_f32_e32 v3, s29, v3
                                        ; implicit-def: $vgpr56
	s_mov_b32 s7, exec_lo
	s_delay_alu instid0(VALU_DEP_1) | instskip(SKIP_1) | instid1(VALU_DEP_2)
	v_and_b32_e32 v36, 0x7f800000, v3
	v_lshrrev_b32_e32 v2, 24, v3
	v_cmpx_ne_u64_e32 0x7f800000, v[36:37]
	s_xor_b32 s40, exec_lo, s7
	s_cbranch_execz .LBB4_4578
; %bb.4565:                             ;   in Loop: Header=BB4_4032 Depth=2
	v_and_b32_e32 v36, 0x7fffffff, v3
	v_and_b32_e32 v2, 0x80, v2
                                        ; implicit-def: $vgpr56
	s_mov_b32 s7, exec_lo
	s_delay_alu instid0(VALU_DEP_2)
	v_cmpx_gt_u64_e32 0x43e00001, v[36:37]
	s_xor_b32 s41, exec_lo, s7
	s_cbranch_execz .LBB4_4575
; %bb.4566:                             ;   in Loop: Header=BB4_4032 Depth=2
	v_mov_b32_e32 v56, 0
	s_mov_b32 s42, exec_lo
	v_cmpx_ne_u32_e32 0, v3
	s_cbranch_execz .LBB4_4574
; %bb.4567:                             ;   in Loop: Header=BB4_4032 Depth=2
	v_bfe_u32 v103, v3, 23, 8
	v_and_b32_e32 v3, 0x7fffff, v3
	s_delay_alu instid0(VALU_DEP_2) | instskip(SKIP_1) | instid1(VALU_DEP_3)
	v_sub_nc_u32_e32 v14, 0x79, v103
	v_cmp_gt_u32_e32 vcc_lo, 0x7a, v103
	v_or_b32_e32 v16, 0x800000, v3
	s_delay_alu instid0(VALU_DEP_3) | instskip(SKIP_1) | instid1(VALU_DEP_2)
	v_cndmask_b32_e32 v14, 0, v14, vcc_lo
	v_cmp_eq_u32_e32 vcc_lo, 0, v103
	v_cndmask_b32_e64 v113, v14, 0x78, vcc_lo
	s_delay_alu instid0(VALU_DEP_1) | instskip(SKIP_1) | instid1(VALU_DEP_2)
	v_dual_cndmask_b32 v36, v16, v3, vcc_lo :: v_dual_add_nc_u32 v14, 20, v113
	v_add_nc_u32_e32 v17, 19, v113
	v_lshlrev_b64_e64 v[14:15], v14, -1
	s_delay_alu instid0(VALU_DEP_2) | instskip(NEXT) | instid1(VALU_DEP_2)
	v_lshlrev_b64_e64 v[16:17], v17, 1
	v_bfi_b32 v21, v15, 0, 0
	s_delay_alu instid0(VALU_DEP_3) | instskip(SKIP_1) | instid1(VALU_DEP_2)
	v_bfi_b32 v20, v14, 0, v36
	v_lshrrev_b64 v[14:15], v113, v[36:37]
	v_cmp_eq_u64_e64 s7, v[20:21], v[16:17]
	s_delay_alu instid0(VALU_DEP_2)
	v_mov_b64_e32 v[16:17], v[14:15]
	s_and_saveexec_b32 s43, s7
; %bb.4568:                             ;   in Loop: Header=BB4_4032 Depth=2
	v_bfe_u32 v36, v14, 20, 1
	s_delay_alu instid0(VALU_DEP_1) | instskip(NEXT) | instid1(VALU_DEP_1)
	v_add_nc_u64_e32 v[16:17], v[14:15], v[36:37]
	v_add_nc_u64_e32 v[16:17], -1, v[16:17]
; %bb.4569:                             ;   in Loop: Header=BB4_4032 Depth=2
	s_or_b32 exec_lo, exec_lo, s43
	v_add_nc_u32_e32 v3, 0xffffff81, v103
	v_lshrrev_b32_e32 v15, 23, v14
	s_mov_b32 s7, exec_lo
	s_delay_alu instid0(VALU_DEP_2) | instskip(NEXT) | instid1(VALU_DEP_1)
	v_cndmask_b32_e64 v3, v3, 0xffffff82, vcc_lo
	v_add3_u32 v17, v113, v3, v15
	v_and_b32_e32 v3, 0xfffff, v16
	s_delay_alu instid0(VALU_DEP_1) | instskip(NEXT) | instid1(VALU_DEP_1)
	v_dual_add_nc_u32 v16, 6, v17 :: v_dual_add_nc_u32 v36, v3, v14
                                        ; implicit-def: $vgpr14_vgpr15
                                        ; implicit-def: $vgpr3
	v_cmpx_ne_u32_e32 0, v16
	s_xor_b32 s7, exec_lo, s7
; %bb.4570:                             ;   in Loop: Header=BB4_4032 Depth=2
	s_delay_alu instid0(VALU_DEP_2) | instskip(SKIP_2) | instid1(VALU_DEP_2)
	v_cmp_lt_u64_e32 vcc_lo, 0xffffff, v[36:37]
	v_add_nc_u32_e32 v3, 7, v17
	v_cndmask_b32_e64 v14, 0, 1, vcc_lo
	v_cndmask_b32_e32 v3, v16, v3, vcc_lo
	s_delay_alu instid0(VALU_DEP_2)
	v_lshrrev_b64 v[14:15], v14, v[36:37]
; %bb.4571:                             ;   in Loop: Header=BB4_4032 Depth=2
	s_and_not1_saveexec_b32 s7, s7
; %bb.4572:                             ;   in Loop: Header=BB4_4032 Depth=2
	v_mov_b64_e32 v[14:15], v[36:37]
	v_bfe_u32 v3, v36, 23, 1
; %bb.4573:                             ;   in Loop: Header=BB4_4032 Depth=2
	s_or_b32 exec_lo, exec_lo, s7
	s_delay_alu instid0(VALU_DEP_2) | instskip(NEXT) | instid1(VALU_DEP_2)
	v_lshrrev_b64 v[14:15], 20, v[14:15]
	v_cmp_gt_i32_e32 vcc_lo, 16, v3
	v_min_i32_e32 v16, 15, v3
	v_cmp_eq_u32_e64 s7, 0, v3
	s_delay_alu instid0(VALU_DEP_2) | instskip(SKIP_1) | instid1(VALU_DEP_2)
	v_dual_cndmask_b32 v14, 7, v14, vcc_lo :: v_dual_lshlrev_b32 v16, 3, v16
	v_cndmask_b32_e32 v15, 0, v15, vcc_lo
	v_and_b32_e32 v16, 0xf8, v16
	s_delay_alu instid0(VALU_DEP_2) | instskip(NEXT) | instid1(VALU_DEP_2)
	v_cmp_eq_u64_e32 vcc_lo, 0, v[14:15]
	v_and_or_b32 v3, v14, 7, v16
	s_and_b32 s7, s7, vcc_lo
	s_delay_alu instid0(VALU_DEP_1) | instid1(SALU_CYCLE_1)
	v_cndmask_b32_e64 v3, v3, 0, s7
	s_delay_alu instid0(VALU_DEP_1)
	v_or_b32_e32 v56, v3, v2
.LBB4_4574:                             ;   in Loop: Header=BB4_4032 Depth=2
	s_or_b32 exec_lo, exec_lo, s42
                                        ; implicit-def: $vgpr2
.LBB4_4575:                             ;   in Loop: Header=BB4_4032 Depth=2
	s_and_not1_saveexec_b32 s7, s41
; %bb.4576:                             ;   in Loop: Header=BB4_4032 Depth=2
	v_or_b32_e32 v56, 0x7e, v2
; %bb.4577:                             ;   in Loop: Header=BB4_4032 Depth=2
	s_or_b32 exec_lo, exec_lo, s7
                                        ; implicit-def: $vgpr2
.LBB4_4578:                             ;   in Loop: Header=BB4_4032 Depth=2
	s_and_not1_saveexec_b32 s7, s40
; %bb.4579:                             ;   in Loop: Header=BB4_4032 Depth=2
	v_or_b32_e32 v56, 0x7f, v2
; %bb.4580:                             ;   in Loop: Header=BB4_4032 Depth=2
	s_or_b32 exec_lo, exec_lo, s7
	v_mov_b32_e32 v3, 0
	s_mov_b32 s7, exec_lo
	v_cmpx_lt_u64_e64 s[12:13], v[10:11]
	s_cbranch_execz .LBB4_4588
; %bb.4581:                             ;   in Loop: Header=BB4_4032 Depth=2
	v_lshrrev_b32_e32 v2, 24, v11
	v_bfrev_b32_e32 v3, 1
	s_mov_b32 s40, exec_lo
	s_delay_alu instid0(VALU_DEP_2)
	v_cmpx_ne_u32_e32 0x80, v2
	s_cbranch_execz .LBB4_4587
; %bb.4582:                             ;   in Loop: Header=BB4_4032 Depth=2
	v_bfe_u32 v10, v11, 24, 7
	v_mov_b32_e32 v3, 0x7f800001
	s_mov_b32 s41, exec_lo
	s_delay_alu instid0(VALU_DEP_2)
	v_cmpx_ne_u32_e32 0x7f, v10
	s_cbranch_execz .LBB4_4586
; %bb.4583:                             ;   in Loop: Header=BB4_4032 Depth=2
	v_and_b32_e32 v36, 7, v2
	v_lshrrev_b32_e32 v3, 3, v10
	s_mov_b32 s42, exec_lo
	v_cmpx_gt_u32_e32 8, v10
; %bb.4584:                             ;   in Loop: Header=BB4_4032 Depth=2
	s_delay_alu instid0(VALU_DEP_3) | instskip(NEXT) | instid1(VALU_DEP_1)
	v_clz_i32_u32_e32 v3, v36
	v_min_u32_e32 v3, 32, v3
	s_delay_alu instid0(VALU_DEP_1) | instskip(NEXT) | instid1(VALU_DEP_1)
	v_subrev_nc_u32_e32 v10, 28, v3
	v_lshlrev_b64_e32 v[10:11], v10, v[36:37]
	s_delay_alu instid0(VALU_DEP_1)
	v_dual_sub_nc_u32 v3, 29, v3 :: v_dual_bitop2_b32 v36, 7, v10 bitop3:0x40
; %bb.4585:                             ;   in Loop: Header=BB4_4032 Depth=2
	s_or_b32 exec_lo, exec_lo, s42
	s_delay_alu instid0(VALU_DEP_1) | instskip(NEXT) | instid1(VALU_DEP_2)
	v_dual_lshlrev_b32 v2, 24, v2 :: v_dual_lshlrev_b32 v10, 20, v36
	v_lshl_add_u32 v3, v3, 23, 0x3c000000
	s_delay_alu instid0(VALU_DEP_2) | instskip(NEXT) | instid1(VALU_DEP_1)
	v_and_b32_e32 v2, 0x80000000, v2
	v_or3_b32 v3, v10, v2, v3
.LBB4_4586:                             ;   in Loop: Header=BB4_4032 Depth=2
	s_or_b32 exec_lo, exec_lo, s41
.LBB4_4587:                             ;   in Loop: Header=BB4_4032 Depth=2
	s_delay_alu instid0(SALU_CYCLE_1)
	s_or_b32 exec_lo, exec_lo, s40
.LBB4_4588:                             ;   in Loop: Header=BB4_4032 Depth=2
	s_delay_alu instid0(SALU_CYCLE_1) | instskip(NEXT) | instid1(VALU_DEP_1)
	s_or_b32 exec_lo, exec_lo, s7
	v_mul_f32_e32 v3, s29, v3
                                        ; implicit-def: $vgpr60
	s_mov_b32 s7, exec_lo
	s_delay_alu instid0(VALU_DEP_1) | instskip(SKIP_1) | instid1(VALU_DEP_2)
	v_and_b32_e32 v36, 0x7f800000, v3
	v_lshrrev_b32_e32 v2, 24, v3
	v_cmpx_ne_u64_e32 0x7f800000, v[36:37]
	s_xor_b32 s40, exec_lo, s7
	s_cbranch_execz .LBB4_4602
; %bb.4589:                             ;   in Loop: Header=BB4_4032 Depth=2
	v_and_b32_e32 v36, 0x7fffffff, v3
	v_and_b32_e32 v2, 0x80, v2
                                        ; implicit-def: $vgpr60
	s_mov_b32 s7, exec_lo
	s_delay_alu instid0(VALU_DEP_2)
	v_cmpx_gt_u64_e32 0x43e00001, v[36:37]
	s_xor_b32 s41, exec_lo, s7
	s_cbranch_execz .LBB4_4599
; %bb.4590:                             ;   in Loop: Header=BB4_4032 Depth=2
	v_mov_b32_e32 v60, 0
	s_mov_b32 s42, exec_lo
	v_cmpx_ne_u32_e32 0, v3
	s_cbranch_execz .LBB4_4598
; %bb.4591:                             ;   in Loop: Header=BB4_4032 Depth=2
	v_bfe_u32 v16, v3, 23, 8
	v_and_b32_e32 v3, 0x7fffff, v3
	s_delay_alu instid0(VALU_DEP_2) | instskip(SKIP_1) | instid1(VALU_DEP_3)
	v_sub_nc_u32_e32 v10, 0x79, v16
	v_cmp_gt_u32_e32 vcc_lo, 0x7a, v16
	v_or_b32_e32 v14, 0x800000, v3
	s_delay_alu instid0(VALU_DEP_3) | instskip(SKIP_1) | instid1(VALU_DEP_2)
	v_cndmask_b32_e32 v10, 0, v10, vcc_lo
	v_cmp_eq_u32_e32 vcc_lo, 0, v16
	v_cndmask_b32_e64 v17, v10, 0x78, vcc_lo
	s_delay_alu instid0(VALU_DEP_1) | instskip(SKIP_1) | instid1(VALU_DEP_2)
	v_dual_cndmask_b32 v36, v14, v3, vcc_lo :: v_dual_add_nc_u32 v10, 20, v17
	v_add_nc_u32_e32 v15, 19, v17
	v_lshlrev_b64_e64 v[10:11], v10, -1
	s_delay_alu instid0(VALU_DEP_2) | instskip(NEXT) | instid1(VALU_DEP_2)
	v_lshlrev_b64_e64 v[14:15], v15, 1
	v_bfi_b32 v21, v11, 0, 0
	s_delay_alu instid0(VALU_DEP_3) | instskip(SKIP_1) | instid1(VALU_DEP_2)
	v_bfi_b32 v20, v10, 0, v36
	v_lshrrev_b64 v[10:11], v17, v[36:37]
	v_cmp_eq_u64_e64 s7, v[20:21], v[14:15]
	s_delay_alu instid0(VALU_DEP_2)
	v_mov_b64_e32 v[14:15], v[10:11]
	s_and_saveexec_b32 s43, s7
; %bb.4592:                             ;   in Loop: Header=BB4_4032 Depth=2
	v_bfe_u32 v36, v10, 20, 1
	s_delay_alu instid0(VALU_DEP_1) | instskip(NEXT) | instid1(VALU_DEP_1)
	v_add_nc_u64_e32 v[14:15], v[10:11], v[36:37]
	v_add_nc_u64_e32 v[14:15], -1, v[14:15]
; %bb.4593:                             ;   in Loop: Header=BB4_4032 Depth=2
	s_or_b32 exec_lo, exec_lo, s43
	v_add_nc_u32_e32 v3, 0xffffff81, v16
	v_lshrrev_b32_e32 v11, 23, v10
	s_mov_b32 s7, exec_lo
	s_delay_alu instid0(VALU_DEP_2) | instskip(NEXT) | instid1(VALU_DEP_1)
	v_cndmask_b32_e64 v3, v3, 0xffffff82, vcc_lo
	v_add3_u32 v15, v17, v3, v11
	v_and_b32_e32 v3, 0xfffff, v14
	s_delay_alu instid0(VALU_DEP_1) | instskip(NEXT) | instid1(VALU_DEP_1)
	v_dual_add_nc_u32 v14, 6, v15 :: v_dual_add_nc_u32 v36, v3, v10
                                        ; implicit-def: $vgpr10_vgpr11
                                        ; implicit-def: $vgpr3
	v_cmpx_ne_u32_e32 0, v14
	s_xor_b32 s7, exec_lo, s7
; %bb.4594:                             ;   in Loop: Header=BB4_4032 Depth=2
	s_delay_alu instid0(VALU_DEP_2) | instskip(SKIP_2) | instid1(VALU_DEP_2)
	v_cmp_lt_u64_e32 vcc_lo, 0xffffff, v[36:37]
	v_add_nc_u32_e32 v3, 7, v15
	v_cndmask_b32_e64 v10, 0, 1, vcc_lo
	v_cndmask_b32_e32 v3, v14, v3, vcc_lo
	s_delay_alu instid0(VALU_DEP_2)
	v_lshrrev_b64 v[10:11], v10, v[36:37]
; %bb.4595:                             ;   in Loop: Header=BB4_4032 Depth=2
	s_and_not1_saveexec_b32 s7, s7
; %bb.4596:                             ;   in Loop: Header=BB4_4032 Depth=2
	v_mov_b64_e32 v[10:11], v[36:37]
	v_bfe_u32 v3, v36, 23, 1
; %bb.4597:                             ;   in Loop: Header=BB4_4032 Depth=2
	s_or_b32 exec_lo, exec_lo, s7
	s_delay_alu instid0(VALU_DEP_2) | instskip(NEXT) | instid1(VALU_DEP_2)
	v_lshrrev_b64 v[10:11], 20, v[10:11]
	v_cmp_gt_i32_e32 vcc_lo, 16, v3
	v_min_i32_e32 v14, 15, v3
	v_cmp_eq_u32_e64 s7, 0, v3
	s_delay_alu instid0(VALU_DEP_4) | instskip(NEXT) | instid1(VALU_DEP_3)
	v_cndmask_b32_e32 v10, 7, v10, vcc_lo
	v_dual_cndmask_b32 v11, 0, v11 :: v_dual_lshlrev_b32 v14, 3, v14
	s_delay_alu instid0(VALU_DEP_1) | instskip(NEXT) | instid1(VALU_DEP_2)
	v_and_b32_e32 v14, 0xf8, v14
	v_cmp_eq_u64_e32 vcc_lo, 0, v[10:11]
	s_delay_alu instid0(VALU_DEP_2)
	v_and_or_b32 v3, v10, 7, v14
	s_and_b32 s7, s7, vcc_lo
	s_delay_alu instid0(VALU_DEP_1) | instid1(SALU_CYCLE_1)
	v_cndmask_b32_e64 v3, v3, 0, s7
	s_delay_alu instid0(VALU_DEP_1)
	v_or_b32_e32 v60, v3, v2
.LBB4_4598:                             ;   in Loop: Header=BB4_4032 Depth=2
	s_or_b32 exec_lo, exec_lo, s42
                                        ; implicit-def: $vgpr2
.LBB4_4599:                             ;   in Loop: Header=BB4_4032 Depth=2
	s_and_not1_saveexec_b32 s7, s41
; %bb.4600:                             ;   in Loop: Header=BB4_4032 Depth=2
	v_or_b32_e32 v60, 0x7e, v2
; %bb.4601:                             ;   in Loop: Header=BB4_4032 Depth=2
	s_or_b32 exec_lo, exec_lo, s7
                                        ; implicit-def: $vgpr2
.LBB4_4602:                             ;   in Loop: Header=BB4_4032 Depth=2
	s_and_not1_saveexec_b32 s7, s40
; %bb.4603:                             ;   in Loop: Header=BB4_4032 Depth=2
	v_or_b32_e32 v60, 0x7f, v2
; %bb.4604:                             ;   in Loop: Header=BB4_4032 Depth=2
	s_or_b32 exec_lo, exec_lo, s7
	v_and_b32_e32 v3, 0xff, v12
	v_mov_b32_e32 v2, 0
	s_mov_b32 s7, exec_lo
	s_delay_alu instid0(VALU_DEP_2)
	v_cmpx_ne_u16_e32 0, v3
	s_cbranch_execz .LBB4_4610
; %bb.4605:                             ;   in Loop: Header=BB4_4032 Depth=2
	v_bfrev_b32_e32 v2, 1
	s_mov_b32 s40, exec_lo
	v_cmpx_ne_u16_e32 0x80, v3
	s_cbranch_execz .LBB4_4609
; %bb.4606:                             ;   in Loop: Header=BB4_4032 Depth=2
	v_and_b32_e32 v3, 0x7f, v12
	v_mov_b32_e32 v2, 0x7f800001
	s_mov_b32 s41, exec_lo
	s_delay_alu instid0(VALU_DEP_2)
	v_cmpx_ne_u32_e32 0x7f, v3
	s_cbranch_execz .LBB4_4608
; %bb.4607:                             ;   in Loop: Header=BB4_4032 Depth=2
	v_dual_lshrrev_b32 v10, 3, v3 :: v_dual_bitop2_b32 v2, 7, v12 bitop3:0x40
	v_cmp_gt_u32_e32 vcc_lo, 8, v3
	s_delay_alu instid0(VALU_DEP_2) | instskip(NEXT) | instid1(VALU_DEP_1)
	v_clz_i32_u32_e32 v2, v2
	v_min_u32_e32 v2, 32, v2
	s_delay_alu instid0(VALU_DEP_1) | instskip(SKIP_1) | instid1(VALU_DEP_1)
	v_subrev_nc_u32_e32 v11, 28, v2
	v_sub_nc_u32_e32 v2, 29, v2
	v_dual_cndmask_b32 v10, v10, v2, vcc_lo :: v_dual_cndmask_b32 v2, 0, v11, vcc_lo
	s_delay_alu instid0(VALU_DEP_1) | instskip(NEXT) | instid1(VALU_DEP_2)
	v_lshl_add_u32 v10, v10, 23, 0x3c000000
	v_lshlrev_b64_e32 v[2:3], v2, v[12:13]
	v_lshlrev_b32_e32 v3, 24, v12
	s_delay_alu instid0(VALU_DEP_1) | instskip(NEXT) | instid1(VALU_DEP_3)
	v_and_b32_e32 v3, 0x80000000, v3
	v_lshlrev_b32_e32 v2, 20, v2
	s_delay_alu instid0(VALU_DEP_1) | instskip(NEXT) | instid1(VALU_DEP_1)
	v_and_b32_e32 v2, 0x700000, v2
	v_or3_b32 v2, v2, v3, v10
.LBB4_4608:                             ;   in Loop: Header=BB4_4032 Depth=2
	s_or_b32 exec_lo, exec_lo, s41
.LBB4_4609:                             ;   in Loop: Header=BB4_4032 Depth=2
	s_delay_alu instid0(SALU_CYCLE_1)
	s_or_b32 exec_lo, exec_lo, s40
.LBB4_4610:                             ;   in Loop: Header=BB4_4032 Depth=2
	s_delay_alu instid0(SALU_CYCLE_1) | instskip(NEXT) | instid1(VALU_DEP_1)
	s_or_b32 exec_lo, exec_lo, s7
	v_mul_f32_e32 v3, s29, v2
                                        ; implicit-def: $vgpr116
	s_mov_b32 s7, exec_lo
	s_delay_alu instid0(VALU_DEP_1) | instskip(SKIP_1) | instid1(VALU_DEP_2)
	v_and_b32_e32 v36, 0x7f800000, v3
	v_lshrrev_b32_e32 v2, 24, v3
	v_cmpx_ne_u64_e32 0x7f800000, v[36:37]
	s_xor_b32 s40, exec_lo, s7
	s_cbranch_execz .LBB4_4624
; %bb.4611:                             ;   in Loop: Header=BB4_4032 Depth=2
	v_and_b32_e32 v36, 0x7fffffff, v3
	v_and_b32_e32 v2, 0x80, v2
                                        ; implicit-def: $vgpr116
	s_mov_b32 s7, exec_lo
	s_delay_alu instid0(VALU_DEP_2)
	v_cmpx_gt_u64_e32 0x43e00001, v[36:37]
	s_xor_b32 s41, exec_lo, s7
	s_cbranch_execz .LBB4_4621
; %bb.4612:                             ;   in Loop: Header=BB4_4032 Depth=2
	v_mov_b32_e32 v116, 0
	s_mov_b32 s42, exec_lo
	v_cmpx_ne_u32_e32 0, v3
	s_cbranch_execz .LBB4_4620
; %bb.4613:                             ;   in Loop: Header=BB4_4032 Depth=2
	v_bfe_u32 v16, v3, 23, 8
	v_and_b32_e32 v3, 0x7fffff, v3
	s_delay_alu instid0(VALU_DEP_2) | instskip(SKIP_1) | instid1(VALU_DEP_3)
	v_sub_nc_u32_e32 v10, 0x79, v16
	v_cmp_gt_u32_e32 vcc_lo, 0x7a, v16
	v_or_b32_e32 v14, 0x800000, v3
	s_delay_alu instid0(VALU_DEP_3) | instskip(SKIP_1) | instid1(VALU_DEP_2)
	v_cndmask_b32_e32 v10, 0, v10, vcc_lo
	v_cmp_eq_u32_e32 vcc_lo, 0, v16
	v_cndmask_b32_e64 v17, v10, 0x78, vcc_lo
	s_delay_alu instid0(VALU_DEP_1) | instskip(SKIP_1) | instid1(VALU_DEP_2)
	v_dual_cndmask_b32 v36, v14, v3, vcc_lo :: v_dual_add_nc_u32 v10, 20, v17
	v_add_nc_u32_e32 v15, 19, v17
	v_lshlrev_b64_e64 v[10:11], v10, -1
	s_delay_alu instid0(VALU_DEP_2) | instskip(NEXT) | instid1(VALU_DEP_2)
	v_lshlrev_b64_e64 v[14:15], v15, 1
	v_bfi_b32 v21, v11, 0, 0
	s_delay_alu instid0(VALU_DEP_3) | instskip(SKIP_1) | instid1(VALU_DEP_2)
	v_bfi_b32 v20, v10, 0, v36
	v_lshrrev_b64 v[10:11], v17, v[36:37]
	v_cmp_eq_u64_e64 s7, v[20:21], v[14:15]
	s_delay_alu instid0(VALU_DEP_2)
	v_mov_b64_e32 v[14:15], v[10:11]
	s_and_saveexec_b32 s43, s7
; %bb.4614:                             ;   in Loop: Header=BB4_4032 Depth=2
	v_bfe_u32 v36, v10, 20, 1
	s_delay_alu instid0(VALU_DEP_1) | instskip(NEXT) | instid1(VALU_DEP_1)
	v_add_nc_u64_e32 v[14:15], v[10:11], v[36:37]
	v_add_nc_u64_e32 v[14:15], -1, v[14:15]
; %bb.4615:                             ;   in Loop: Header=BB4_4032 Depth=2
	s_or_b32 exec_lo, exec_lo, s43
	v_add_nc_u32_e32 v3, 0xffffff81, v16
	v_lshrrev_b32_e32 v11, 23, v10
	s_mov_b32 s7, exec_lo
	s_delay_alu instid0(VALU_DEP_2) | instskip(NEXT) | instid1(VALU_DEP_1)
	v_cndmask_b32_e64 v3, v3, 0xffffff82, vcc_lo
	v_add3_u32 v15, v17, v3, v11
	v_and_b32_e32 v3, 0xfffff, v14
	s_delay_alu instid0(VALU_DEP_1) | instskip(NEXT) | instid1(VALU_DEP_1)
	v_dual_add_nc_u32 v14, 6, v15 :: v_dual_add_nc_u32 v36, v3, v10
                                        ; implicit-def: $vgpr10_vgpr11
                                        ; implicit-def: $vgpr3
	v_cmpx_ne_u32_e32 0, v14
	s_xor_b32 s7, exec_lo, s7
; %bb.4616:                             ;   in Loop: Header=BB4_4032 Depth=2
	s_delay_alu instid0(VALU_DEP_2) | instskip(SKIP_2) | instid1(VALU_DEP_2)
	v_cmp_lt_u64_e32 vcc_lo, 0xffffff, v[36:37]
	v_add_nc_u32_e32 v3, 7, v15
	v_cndmask_b32_e64 v10, 0, 1, vcc_lo
	v_cndmask_b32_e32 v3, v14, v3, vcc_lo
	s_delay_alu instid0(VALU_DEP_2)
	v_lshrrev_b64 v[10:11], v10, v[36:37]
; %bb.4617:                             ;   in Loop: Header=BB4_4032 Depth=2
	s_and_not1_saveexec_b32 s7, s7
; %bb.4618:                             ;   in Loop: Header=BB4_4032 Depth=2
	v_mov_b64_e32 v[10:11], v[36:37]
	v_bfe_u32 v3, v36, 23, 1
; %bb.4619:                             ;   in Loop: Header=BB4_4032 Depth=2
	s_or_b32 exec_lo, exec_lo, s7
	s_delay_alu instid0(VALU_DEP_2) | instskip(NEXT) | instid1(VALU_DEP_2)
	v_lshrrev_b64 v[10:11], 20, v[10:11]
	v_cmp_gt_i32_e32 vcc_lo, 16, v3
	v_min_i32_e32 v14, 15, v3
	v_cmp_eq_u32_e64 s7, 0, v3
	s_delay_alu instid0(VALU_DEP_4) | instskip(NEXT) | instid1(VALU_DEP_3)
	v_cndmask_b32_e32 v10, 7, v10, vcc_lo
	v_dual_cndmask_b32 v11, 0, v11 :: v_dual_lshlrev_b32 v14, 3, v14
	s_delay_alu instid0(VALU_DEP_1) | instskip(NEXT) | instid1(VALU_DEP_2)
	v_and_b32_e32 v14, 0xf8, v14
	v_cmp_eq_u64_e32 vcc_lo, 0, v[10:11]
	s_delay_alu instid0(VALU_DEP_2)
	v_and_or_b32 v3, v10, 7, v14
	s_and_b32 s7, s7, vcc_lo
	s_delay_alu instid0(VALU_DEP_1) | instid1(SALU_CYCLE_1)
	v_cndmask_b32_e64 v3, v3, 0, s7
	s_delay_alu instid0(VALU_DEP_1)
	v_or_b32_e32 v116, v3, v2
.LBB4_4620:                             ;   in Loop: Header=BB4_4032 Depth=2
	s_or_b32 exec_lo, exec_lo, s42
                                        ; implicit-def: $vgpr2
.LBB4_4621:                             ;   in Loop: Header=BB4_4032 Depth=2
	s_and_not1_saveexec_b32 s7, s41
; %bb.4622:                             ;   in Loop: Header=BB4_4032 Depth=2
	v_or_b32_e32 v116, 0x7e, v2
; %bb.4623:                             ;   in Loop: Header=BB4_4032 Depth=2
	s_or_b32 exec_lo, exec_lo, s7
                                        ; implicit-def: $vgpr2
.LBB4_4624:                             ;   in Loop: Header=BB4_4032 Depth=2
	s_and_not1_saveexec_b32 s7, s40
; %bb.4625:                             ;   in Loop: Header=BB4_4032 Depth=2
	v_or_b32_e32 v116, 0x7f, v2
; %bb.4626:                             ;   in Loop: Header=BB4_4032 Depth=2
	s_or_b32 exec_lo, exec_lo, s7
	v_lshrrev_b16 v3, 8, v12
	v_mov_b32_e32 v2, 0
	s_mov_b32 s7, exec_lo
	s_delay_alu instid0(VALU_DEP_2)
	v_cmpx_ne_u16_e32 0, v3
	s_cbranch_execz .LBB4_4634
; %bb.4627:                             ;   in Loop: Header=BB4_4032 Depth=2
	v_bfrev_b32_e32 v2, 1
	s_mov_b32 s40, exec_lo
	v_cmpx_ne_u16_e32 0x80, v3
	s_cbranch_execz .LBB4_4633
; %bb.4628:                             ;   in Loop: Header=BB4_4032 Depth=2
	v_and_b32_e32 v10, 0xffff, v3
	v_mov_b32_e32 v2, 0x7f800001
	s_mov_b32 s41, exec_lo
	s_delay_alu instid0(VALU_DEP_2) | instskip(NEXT) | instid1(VALU_DEP_1)
	v_and_b32_e32 v3, 0x7f, v10
	v_cmpx_ne_u32_e32 0x7f, v3
	s_cbranch_execz .LBB4_4632
; %bb.4629:                             ;   in Loop: Header=BB4_4032 Depth=2
	v_dual_lshrrev_b32 v2, 3, v3 :: v_dual_bitop2_b32 v36, 7, v10 bitop3:0x40
	s_mov_b32 s42, exec_lo
	v_cmpx_gt_u32_e32 8, v3
; %bb.4630:                             ;   in Loop: Header=BB4_4032 Depth=2
	s_delay_alu instid0(VALU_DEP_2) | instskip(NEXT) | instid1(VALU_DEP_1)
	v_clz_i32_u32_e32 v2, v36
	v_min_u32_e32 v2, 32, v2
	s_delay_alu instid0(VALU_DEP_1) | instskip(SKIP_1) | instid1(VALU_DEP_2)
	v_subrev_nc_u32_e32 v3, 28, v2
	v_sub_nc_u32_e32 v2, 29, v2
	v_lshlrev_b64_e32 v[10:11], v3, v[36:37]
	s_delay_alu instid0(VALU_DEP_1)
	v_and_b32_e32 v36, 7, v10
; %bb.4631:                             ;   in Loop: Header=BB4_4032 Depth=2
	s_or_b32 exec_lo, exec_lo, s42
	v_lshlrev_b32_e32 v3, 16, v12
	s_delay_alu instid0(VALU_DEP_2) | instskip(SKIP_1) | instid1(VALU_DEP_3)
	v_lshlrev_b32_e32 v10, 20, v36
	v_lshl_add_u32 v2, v2, 23, 0x3c000000
	v_and_b32_e32 v3, 0x80000000, v3
	s_delay_alu instid0(VALU_DEP_1)
	v_or3_b32 v2, v10, v3, v2
.LBB4_4632:                             ;   in Loop: Header=BB4_4032 Depth=2
	s_or_b32 exec_lo, exec_lo, s41
.LBB4_4633:                             ;   in Loop: Header=BB4_4032 Depth=2
	s_delay_alu instid0(SALU_CYCLE_1)
	s_or_b32 exec_lo, exec_lo, s40
.LBB4_4634:                             ;   in Loop: Header=BB4_4032 Depth=2
	s_delay_alu instid0(SALU_CYCLE_1) | instskip(NEXT) | instid1(VALU_DEP_1)
	s_or_b32 exec_lo, exec_lo, s7
	v_mul_f32_e32 v3, s29, v2
                                        ; implicit-def: $vgpr41
	s_mov_b32 s7, exec_lo
	s_delay_alu instid0(VALU_DEP_1) | instskip(SKIP_1) | instid1(VALU_DEP_2)
	v_and_b32_e32 v36, 0x7f800000, v3
	v_lshrrev_b32_e32 v2, 24, v3
	v_cmpx_ne_u64_e32 0x7f800000, v[36:37]
	s_xor_b32 s40, exec_lo, s7
	s_cbranch_execz .LBB4_4648
; %bb.4635:                             ;   in Loop: Header=BB4_4032 Depth=2
	v_and_b32_e32 v36, 0x7fffffff, v3
	v_and_b32_e32 v2, 0x80, v2
                                        ; implicit-def: $vgpr41
	s_mov_b32 s7, exec_lo
	s_delay_alu instid0(VALU_DEP_2)
	v_cmpx_gt_u64_e32 0x43e00001, v[36:37]
	s_xor_b32 s41, exec_lo, s7
	s_cbranch_execz .LBB4_4645
; %bb.4636:                             ;   in Loop: Header=BB4_4032 Depth=2
	v_mov_b32_e32 v41, 0
	s_mov_b32 s42, exec_lo
	v_cmpx_ne_u32_e32 0, v3
	s_cbranch_execz .LBB4_4644
; %bb.4637:                             ;   in Loop: Header=BB4_4032 Depth=2
	v_bfe_u32 v16, v3, 23, 8
	v_and_b32_e32 v3, 0x7fffff, v3
	s_delay_alu instid0(VALU_DEP_2) | instskip(SKIP_1) | instid1(VALU_DEP_3)
	v_sub_nc_u32_e32 v10, 0x79, v16
	v_cmp_gt_u32_e32 vcc_lo, 0x7a, v16
	v_or_b32_e32 v14, 0x800000, v3
	s_delay_alu instid0(VALU_DEP_3) | instskip(SKIP_1) | instid1(VALU_DEP_2)
	v_cndmask_b32_e32 v10, 0, v10, vcc_lo
	v_cmp_eq_u32_e32 vcc_lo, 0, v16
	v_cndmask_b32_e64 v17, v10, 0x78, vcc_lo
	s_delay_alu instid0(VALU_DEP_1) | instskip(SKIP_1) | instid1(VALU_DEP_2)
	v_dual_cndmask_b32 v36, v14, v3, vcc_lo :: v_dual_add_nc_u32 v10, 20, v17
	v_add_nc_u32_e32 v15, 19, v17
	v_lshlrev_b64_e64 v[10:11], v10, -1
	s_delay_alu instid0(VALU_DEP_2) | instskip(NEXT) | instid1(VALU_DEP_2)
	v_lshlrev_b64_e64 v[14:15], v15, 1
	v_bfi_b32 v21, v11, 0, 0
	s_delay_alu instid0(VALU_DEP_3) | instskip(SKIP_1) | instid1(VALU_DEP_2)
	v_bfi_b32 v20, v10, 0, v36
	v_lshrrev_b64 v[10:11], v17, v[36:37]
	v_cmp_eq_u64_e64 s7, v[20:21], v[14:15]
	s_delay_alu instid0(VALU_DEP_2)
	v_mov_b64_e32 v[14:15], v[10:11]
	s_and_saveexec_b32 s43, s7
; %bb.4638:                             ;   in Loop: Header=BB4_4032 Depth=2
	v_bfe_u32 v36, v10, 20, 1
	s_delay_alu instid0(VALU_DEP_1) | instskip(NEXT) | instid1(VALU_DEP_1)
	v_add_nc_u64_e32 v[14:15], v[10:11], v[36:37]
	v_add_nc_u64_e32 v[14:15], -1, v[14:15]
; %bb.4639:                             ;   in Loop: Header=BB4_4032 Depth=2
	s_or_b32 exec_lo, exec_lo, s43
	v_add_nc_u32_e32 v3, 0xffffff81, v16
	v_lshrrev_b32_e32 v11, 23, v10
	s_mov_b32 s7, exec_lo
	s_delay_alu instid0(VALU_DEP_2) | instskip(NEXT) | instid1(VALU_DEP_1)
	v_cndmask_b32_e64 v3, v3, 0xffffff82, vcc_lo
	v_add3_u32 v15, v17, v3, v11
	v_and_b32_e32 v3, 0xfffff, v14
	s_delay_alu instid0(VALU_DEP_1) | instskip(NEXT) | instid1(VALU_DEP_1)
	v_dual_add_nc_u32 v14, 6, v15 :: v_dual_add_nc_u32 v36, v3, v10
                                        ; implicit-def: $vgpr10_vgpr11
                                        ; implicit-def: $vgpr3
	v_cmpx_ne_u32_e32 0, v14
	s_xor_b32 s7, exec_lo, s7
; %bb.4640:                             ;   in Loop: Header=BB4_4032 Depth=2
	s_delay_alu instid0(VALU_DEP_2) | instskip(SKIP_2) | instid1(VALU_DEP_2)
	v_cmp_lt_u64_e32 vcc_lo, 0xffffff, v[36:37]
	v_add_nc_u32_e32 v3, 7, v15
	v_cndmask_b32_e64 v10, 0, 1, vcc_lo
	v_cndmask_b32_e32 v3, v14, v3, vcc_lo
	s_delay_alu instid0(VALU_DEP_2)
	v_lshrrev_b64 v[10:11], v10, v[36:37]
; %bb.4641:                             ;   in Loop: Header=BB4_4032 Depth=2
	s_and_not1_saveexec_b32 s7, s7
; %bb.4642:                             ;   in Loop: Header=BB4_4032 Depth=2
	v_mov_b64_e32 v[10:11], v[36:37]
	v_bfe_u32 v3, v36, 23, 1
; %bb.4643:                             ;   in Loop: Header=BB4_4032 Depth=2
	s_or_b32 exec_lo, exec_lo, s7
	s_delay_alu instid0(VALU_DEP_2) | instskip(NEXT) | instid1(VALU_DEP_2)
	v_lshrrev_b64 v[10:11], 20, v[10:11]
	v_cmp_gt_i32_e32 vcc_lo, 16, v3
	v_min_i32_e32 v14, 15, v3
	v_cmp_eq_u32_e64 s7, 0, v3
	s_delay_alu instid0(VALU_DEP_4) | instskip(NEXT) | instid1(VALU_DEP_3)
	v_cndmask_b32_e32 v10, 7, v10, vcc_lo
	v_dual_cndmask_b32 v11, 0, v11 :: v_dual_lshlrev_b32 v14, 3, v14
	s_delay_alu instid0(VALU_DEP_1) | instskip(NEXT) | instid1(VALU_DEP_2)
	v_and_b32_e32 v14, 0xf8, v14
	v_cmp_eq_u64_e32 vcc_lo, 0, v[10:11]
	s_delay_alu instid0(VALU_DEP_2)
	v_and_or_b32 v3, v10, 7, v14
	s_and_b32 s7, s7, vcc_lo
	s_delay_alu instid0(VALU_DEP_1) | instid1(SALU_CYCLE_1)
	v_cndmask_b32_e64 v3, v3, 0, s7
	s_delay_alu instid0(VALU_DEP_1)
	v_or_b32_e32 v41, v3, v2
.LBB4_4644:                             ;   in Loop: Header=BB4_4032 Depth=2
	s_or_b32 exec_lo, exec_lo, s42
                                        ; implicit-def: $vgpr2
.LBB4_4645:                             ;   in Loop: Header=BB4_4032 Depth=2
	s_and_not1_saveexec_b32 s7, s41
; %bb.4646:                             ;   in Loop: Header=BB4_4032 Depth=2
	v_or_b32_e32 v41, 0x7e, v2
; %bb.4647:                             ;   in Loop: Header=BB4_4032 Depth=2
	s_or_b32 exec_lo, exec_lo, s7
                                        ; implicit-def: $vgpr2
.LBB4_4648:                             ;   in Loop: Header=BB4_4032 Depth=2
	s_and_not1_saveexec_b32 s7, s40
; %bb.4649:                             ;   in Loop: Header=BB4_4032 Depth=2
	v_or_b32_e32 v41, 0x7f, v2
; %bb.4650:                             ;   in Loop: Header=BB4_4032 Depth=2
	s_or_b32 exec_lo, exec_lo, s7
	v_dual_mov_b32 v3, 0 :: v_dual_lshrrev_b32 v2, 16, v12
	s_mov_b32 s7, exec_lo
	s_delay_alu instid0(VALU_DEP_1) | instskip(NEXT) | instid1(VALU_DEP_1)
	v_and_b32_e32 v10, 0xff, v2
	v_cmpx_ne_u16_e32 0, v10
	s_cbranch_execz .LBB4_4658
; %bb.4651:                             ;   in Loop: Header=BB4_4032 Depth=2
	v_bfrev_b32_e32 v3, 1
	s_mov_b32 s40, exec_lo
	v_cmpx_ne_u16_e32 0x80, v10
	s_cbranch_execz .LBB4_4657
; %bb.4652:                             ;   in Loop: Header=BB4_4032 Depth=2
	v_bfe_u32 v10, v12, 16, 7
	v_mov_b32_e32 v3, 0x7f800001
	s_mov_b32 s41, exec_lo
	s_delay_alu instid0(VALU_DEP_2)
	v_cmpx_ne_u32_e32 0x7f, v10
	s_cbranch_execz .LBB4_4656
; %bb.4653:                             ;   in Loop: Header=BB4_4032 Depth=2
	v_and_b32_e32 v36, 7, v2
	v_lshrrev_b32_e32 v3, 3, v10
	s_mov_b32 s42, exec_lo
	v_cmpx_gt_u32_e32 8, v10
; %bb.4654:                             ;   in Loop: Header=BB4_4032 Depth=2
	s_delay_alu instid0(VALU_DEP_3) | instskip(NEXT) | instid1(VALU_DEP_1)
	v_clz_i32_u32_e32 v3, v36
	v_min_u32_e32 v3, 32, v3
	s_delay_alu instid0(VALU_DEP_1) | instskip(NEXT) | instid1(VALU_DEP_1)
	v_subrev_nc_u32_e32 v10, 28, v3
	v_lshlrev_b64_e32 v[10:11], v10, v[36:37]
	s_delay_alu instid0(VALU_DEP_1)
	v_dual_sub_nc_u32 v3, 29, v3 :: v_dual_bitop2_b32 v36, 7, v10 bitop3:0x40
; %bb.4655:                             ;   in Loop: Header=BB4_4032 Depth=2
	s_or_b32 exec_lo, exec_lo, s42
	s_delay_alu instid0(VALU_DEP_1) | instskip(NEXT) | instid1(VALU_DEP_2)
	v_dual_lshlrev_b32 v2, 24, v2 :: v_dual_lshlrev_b32 v10, 20, v36
	v_lshl_add_u32 v3, v3, 23, 0x3c000000
	s_delay_alu instid0(VALU_DEP_2) | instskip(NEXT) | instid1(VALU_DEP_1)
	v_and_b32_e32 v2, 0x80000000, v2
	v_or3_b32 v3, v10, v2, v3
.LBB4_4656:                             ;   in Loop: Header=BB4_4032 Depth=2
	s_or_b32 exec_lo, exec_lo, s41
.LBB4_4657:                             ;   in Loop: Header=BB4_4032 Depth=2
	s_delay_alu instid0(SALU_CYCLE_1)
	s_or_b32 exec_lo, exec_lo, s40
.LBB4_4658:                             ;   in Loop: Header=BB4_4032 Depth=2
	s_delay_alu instid0(SALU_CYCLE_1) | instskip(NEXT) | instid1(VALU_DEP_1)
	s_or_b32 exec_lo, exec_lo, s7
	v_mul_f32_e32 v3, s29, v3
                                        ; implicit-def: $vgpr44
	s_mov_b32 s7, exec_lo
	s_delay_alu instid0(VALU_DEP_1) | instskip(SKIP_1) | instid1(VALU_DEP_2)
	v_and_b32_e32 v36, 0x7f800000, v3
	v_lshrrev_b32_e32 v2, 24, v3
	v_cmpx_ne_u64_e32 0x7f800000, v[36:37]
	s_xor_b32 s40, exec_lo, s7
	s_cbranch_execz .LBB4_4672
; %bb.4659:                             ;   in Loop: Header=BB4_4032 Depth=2
	v_and_b32_e32 v36, 0x7fffffff, v3
	v_and_b32_e32 v2, 0x80, v2
                                        ; implicit-def: $vgpr44
	s_mov_b32 s7, exec_lo
	s_delay_alu instid0(VALU_DEP_2)
	v_cmpx_gt_u64_e32 0x43e00001, v[36:37]
	s_xor_b32 s41, exec_lo, s7
	s_cbranch_execz .LBB4_4669
; %bb.4660:                             ;   in Loop: Header=BB4_4032 Depth=2
	v_mov_b32_e32 v44, 0
	s_mov_b32 s42, exec_lo
	v_cmpx_ne_u32_e32 0, v3
	s_cbranch_execz .LBB4_4668
; %bb.4661:                             ;   in Loop: Header=BB4_4032 Depth=2
	v_bfe_u32 v16, v3, 23, 8
	v_and_b32_e32 v3, 0x7fffff, v3
	s_delay_alu instid0(VALU_DEP_2) | instskip(SKIP_1) | instid1(VALU_DEP_3)
	v_sub_nc_u32_e32 v10, 0x79, v16
	v_cmp_gt_u32_e32 vcc_lo, 0x7a, v16
	v_or_b32_e32 v14, 0x800000, v3
	s_delay_alu instid0(VALU_DEP_3) | instskip(SKIP_1) | instid1(VALU_DEP_2)
	v_cndmask_b32_e32 v10, 0, v10, vcc_lo
	v_cmp_eq_u32_e32 vcc_lo, 0, v16
	v_cndmask_b32_e64 v17, v10, 0x78, vcc_lo
	s_delay_alu instid0(VALU_DEP_1) | instskip(SKIP_1) | instid1(VALU_DEP_2)
	v_dual_cndmask_b32 v36, v14, v3, vcc_lo :: v_dual_add_nc_u32 v10, 20, v17
	v_add_nc_u32_e32 v15, 19, v17
	v_lshlrev_b64_e64 v[10:11], v10, -1
	s_delay_alu instid0(VALU_DEP_2) | instskip(NEXT) | instid1(VALU_DEP_2)
	v_lshlrev_b64_e64 v[14:15], v15, 1
	v_bfi_b32 v21, v11, 0, 0
	s_delay_alu instid0(VALU_DEP_3) | instskip(SKIP_1) | instid1(VALU_DEP_2)
	v_bfi_b32 v20, v10, 0, v36
	v_lshrrev_b64 v[10:11], v17, v[36:37]
	v_cmp_eq_u64_e64 s7, v[20:21], v[14:15]
	s_delay_alu instid0(VALU_DEP_2)
	v_mov_b64_e32 v[14:15], v[10:11]
	s_and_saveexec_b32 s43, s7
; %bb.4662:                             ;   in Loop: Header=BB4_4032 Depth=2
	v_bfe_u32 v36, v10, 20, 1
	s_delay_alu instid0(VALU_DEP_1) | instskip(NEXT) | instid1(VALU_DEP_1)
	v_add_nc_u64_e32 v[14:15], v[10:11], v[36:37]
	v_add_nc_u64_e32 v[14:15], -1, v[14:15]
; %bb.4663:                             ;   in Loop: Header=BB4_4032 Depth=2
	s_or_b32 exec_lo, exec_lo, s43
	v_add_nc_u32_e32 v3, 0xffffff81, v16
	v_lshrrev_b32_e32 v11, 23, v10
	s_mov_b32 s7, exec_lo
	s_delay_alu instid0(VALU_DEP_2) | instskip(NEXT) | instid1(VALU_DEP_1)
	v_cndmask_b32_e64 v3, v3, 0xffffff82, vcc_lo
	v_add3_u32 v15, v17, v3, v11
	v_and_b32_e32 v3, 0xfffff, v14
	s_delay_alu instid0(VALU_DEP_1) | instskip(NEXT) | instid1(VALU_DEP_1)
	v_dual_add_nc_u32 v14, 6, v15 :: v_dual_add_nc_u32 v36, v3, v10
                                        ; implicit-def: $vgpr10_vgpr11
                                        ; implicit-def: $vgpr3
	v_cmpx_ne_u32_e32 0, v14
	s_xor_b32 s7, exec_lo, s7
; %bb.4664:                             ;   in Loop: Header=BB4_4032 Depth=2
	s_delay_alu instid0(VALU_DEP_2) | instskip(SKIP_2) | instid1(VALU_DEP_2)
	v_cmp_lt_u64_e32 vcc_lo, 0xffffff, v[36:37]
	v_add_nc_u32_e32 v3, 7, v15
	v_cndmask_b32_e64 v10, 0, 1, vcc_lo
	v_cndmask_b32_e32 v3, v14, v3, vcc_lo
	s_delay_alu instid0(VALU_DEP_2)
	v_lshrrev_b64 v[10:11], v10, v[36:37]
; %bb.4665:                             ;   in Loop: Header=BB4_4032 Depth=2
	s_and_not1_saveexec_b32 s7, s7
; %bb.4666:                             ;   in Loop: Header=BB4_4032 Depth=2
	v_mov_b64_e32 v[10:11], v[36:37]
	v_bfe_u32 v3, v36, 23, 1
; %bb.4667:                             ;   in Loop: Header=BB4_4032 Depth=2
	s_or_b32 exec_lo, exec_lo, s7
	s_delay_alu instid0(VALU_DEP_2) | instskip(NEXT) | instid1(VALU_DEP_2)
	v_lshrrev_b64 v[10:11], 20, v[10:11]
	v_cmp_gt_i32_e32 vcc_lo, 16, v3
	v_min_i32_e32 v14, 15, v3
	v_cmp_eq_u32_e64 s7, 0, v3
	s_delay_alu instid0(VALU_DEP_4) | instskip(NEXT) | instid1(VALU_DEP_3)
	v_cndmask_b32_e32 v10, 7, v10, vcc_lo
	v_dual_cndmask_b32 v11, 0, v11 :: v_dual_lshlrev_b32 v14, 3, v14
	s_delay_alu instid0(VALU_DEP_1) | instskip(NEXT) | instid1(VALU_DEP_2)
	v_and_b32_e32 v14, 0xf8, v14
	v_cmp_eq_u64_e32 vcc_lo, 0, v[10:11]
	s_delay_alu instid0(VALU_DEP_2)
	v_and_or_b32 v3, v10, 7, v14
	s_and_b32 s7, s7, vcc_lo
	s_delay_alu instid0(VALU_DEP_1) | instid1(SALU_CYCLE_1)
	v_cndmask_b32_e64 v3, v3, 0, s7
	s_delay_alu instid0(VALU_DEP_1)
	v_or_b32_e32 v44, v3, v2
.LBB4_4668:                             ;   in Loop: Header=BB4_4032 Depth=2
	s_or_b32 exec_lo, exec_lo, s42
                                        ; implicit-def: $vgpr2
.LBB4_4669:                             ;   in Loop: Header=BB4_4032 Depth=2
	s_and_not1_saveexec_b32 s7, s41
; %bb.4670:                             ;   in Loop: Header=BB4_4032 Depth=2
	v_or_b32_e32 v44, 0x7e, v2
; %bb.4671:                             ;   in Loop: Header=BB4_4032 Depth=2
	s_or_b32 exec_lo, exec_lo, s7
                                        ; implicit-def: $vgpr2
.LBB4_4672:                             ;   in Loop: Header=BB4_4032 Depth=2
	s_and_not1_saveexec_b32 s7, s40
; %bb.4673:                             ;   in Loop: Header=BB4_4032 Depth=2
	v_or_b32_e32 v44, 0x7f, v2
; %bb.4674:                             ;   in Loop: Header=BB4_4032 Depth=2
	s_or_b32 exec_lo, exec_lo, s7
	v_mov_b32_e32 v3, 0
	s_mov_b32 s7, exec_lo
	v_cmpx_lt_u32_e32 0xffffff, v12
	s_cbranch_execz .LBB4_4682
; %bb.4675:                             ;   in Loop: Header=BB4_4032 Depth=2
	v_lshrrev_b32_e32 v2, 24, v12
	v_bfrev_b32_e32 v3, 1
	s_mov_b32 s40, exec_lo
	s_delay_alu instid0(VALU_DEP_2)
	v_cmpx_ne_u32_e32 0x80, v2
	s_cbranch_execz .LBB4_4681
; %bb.4676:                             ;   in Loop: Header=BB4_4032 Depth=2
	v_bfe_u32 v10, v12, 24, 7
	v_mov_b32_e32 v3, 0x7f800001
	s_mov_b32 s41, exec_lo
	s_delay_alu instid0(VALU_DEP_2)
	v_cmpx_ne_u32_e32 0x7f, v10
	s_cbranch_execz .LBB4_4680
; %bb.4677:                             ;   in Loop: Header=BB4_4032 Depth=2
	v_and_b32_e32 v36, 7, v2
	v_lshrrev_b32_e32 v3, 3, v10
	s_mov_b32 s42, exec_lo
	v_cmpx_gt_u32_e32 8, v10
; %bb.4678:                             ;   in Loop: Header=BB4_4032 Depth=2
	s_delay_alu instid0(VALU_DEP_3) | instskip(NEXT) | instid1(VALU_DEP_1)
	v_clz_i32_u32_e32 v3, v36
	v_min_u32_e32 v3, 32, v3
	s_delay_alu instid0(VALU_DEP_1) | instskip(NEXT) | instid1(VALU_DEP_1)
	v_subrev_nc_u32_e32 v10, 28, v3
	v_lshlrev_b64_e32 v[10:11], v10, v[36:37]
	s_delay_alu instid0(VALU_DEP_1)
	v_dual_sub_nc_u32 v3, 29, v3 :: v_dual_bitop2_b32 v36, 7, v10 bitop3:0x40
; %bb.4679:                             ;   in Loop: Header=BB4_4032 Depth=2
	s_or_b32 exec_lo, exec_lo, s42
	s_delay_alu instid0(VALU_DEP_1) | instskip(NEXT) | instid1(VALU_DEP_2)
	v_dual_lshlrev_b32 v2, 24, v2 :: v_dual_lshlrev_b32 v10, 20, v36
	v_lshl_add_u32 v3, v3, 23, 0x3c000000
	s_delay_alu instid0(VALU_DEP_2) | instskip(NEXT) | instid1(VALU_DEP_1)
	v_and_b32_e32 v2, 0x80000000, v2
	v_or3_b32 v3, v10, v2, v3
.LBB4_4680:                             ;   in Loop: Header=BB4_4032 Depth=2
	s_or_b32 exec_lo, exec_lo, s41
.LBB4_4681:                             ;   in Loop: Header=BB4_4032 Depth=2
	s_delay_alu instid0(SALU_CYCLE_1)
	s_or_b32 exec_lo, exec_lo, s40
.LBB4_4682:                             ;   in Loop: Header=BB4_4032 Depth=2
	s_delay_alu instid0(SALU_CYCLE_1) | instskip(NEXT) | instid1(VALU_DEP_1)
	s_or_b32 exec_lo, exec_lo, s7
	v_mul_f32_e32 v3, s29, v3
                                        ; implicit-def: $vgpr47
	s_mov_b32 s7, exec_lo
	s_delay_alu instid0(VALU_DEP_1) | instskip(SKIP_1) | instid1(VALU_DEP_2)
	v_and_b32_e32 v36, 0x7f800000, v3
	v_lshrrev_b32_e32 v2, 24, v3
	v_cmpx_ne_u64_e32 0x7f800000, v[36:37]
	s_xor_b32 s40, exec_lo, s7
	s_cbranch_execz .LBB4_4696
; %bb.4683:                             ;   in Loop: Header=BB4_4032 Depth=2
	v_and_b32_e32 v36, 0x7fffffff, v3
	v_and_b32_e32 v2, 0x80, v2
                                        ; implicit-def: $vgpr47
	s_mov_b32 s7, exec_lo
	s_delay_alu instid0(VALU_DEP_2)
	v_cmpx_gt_u64_e32 0x43e00001, v[36:37]
	s_xor_b32 s41, exec_lo, s7
	s_cbranch_execz .LBB4_4693
; %bb.4684:                             ;   in Loop: Header=BB4_4032 Depth=2
	v_mov_b32_e32 v47, 0
	s_mov_b32 s42, exec_lo
	v_cmpx_ne_u32_e32 0, v3
	s_cbranch_execz .LBB4_4692
; %bb.4685:                             ;   in Loop: Header=BB4_4032 Depth=2
	v_bfe_u32 v16, v3, 23, 8
	v_and_b32_e32 v3, 0x7fffff, v3
	s_delay_alu instid0(VALU_DEP_2) | instskip(SKIP_1) | instid1(VALU_DEP_3)
	v_sub_nc_u32_e32 v10, 0x79, v16
	v_cmp_gt_u32_e32 vcc_lo, 0x7a, v16
	v_or_b32_e32 v14, 0x800000, v3
	s_delay_alu instid0(VALU_DEP_3) | instskip(SKIP_1) | instid1(VALU_DEP_2)
	v_cndmask_b32_e32 v10, 0, v10, vcc_lo
	v_cmp_eq_u32_e32 vcc_lo, 0, v16
	v_cndmask_b32_e64 v17, v10, 0x78, vcc_lo
	s_delay_alu instid0(VALU_DEP_1) | instskip(SKIP_1) | instid1(VALU_DEP_2)
	v_dual_cndmask_b32 v36, v14, v3, vcc_lo :: v_dual_add_nc_u32 v10, 20, v17
	v_add_nc_u32_e32 v15, 19, v17
	v_lshlrev_b64_e64 v[10:11], v10, -1
	s_delay_alu instid0(VALU_DEP_2) | instskip(NEXT) | instid1(VALU_DEP_2)
	v_lshlrev_b64_e64 v[14:15], v15, 1
	v_bfi_b32 v21, v11, 0, 0
	s_delay_alu instid0(VALU_DEP_3) | instskip(SKIP_1) | instid1(VALU_DEP_2)
	v_bfi_b32 v20, v10, 0, v36
	v_lshrrev_b64 v[10:11], v17, v[36:37]
	v_cmp_eq_u64_e64 s7, v[20:21], v[14:15]
	s_delay_alu instid0(VALU_DEP_2)
	v_mov_b64_e32 v[14:15], v[10:11]
	s_and_saveexec_b32 s43, s7
; %bb.4686:                             ;   in Loop: Header=BB4_4032 Depth=2
	v_bfe_u32 v36, v10, 20, 1
	s_delay_alu instid0(VALU_DEP_1) | instskip(NEXT) | instid1(VALU_DEP_1)
	v_add_nc_u64_e32 v[14:15], v[10:11], v[36:37]
	v_add_nc_u64_e32 v[14:15], -1, v[14:15]
; %bb.4687:                             ;   in Loop: Header=BB4_4032 Depth=2
	s_or_b32 exec_lo, exec_lo, s43
	v_add_nc_u32_e32 v3, 0xffffff81, v16
	v_lshrrev_b32_e32 v11, 23, v10
	s_mov_b32 s7, exec_lo
	s_delay_alu instid0(VALU_DEP_2) | instskip(NEXT) | instid1(VALU_DEP_1)
	v_cndmask_b32_e64 v3, v3, 0xffffff82, vcc_lo
	v_add3_u32 v15, v17, v3, v11
	v_and_b32_e32 v3, 0xfffff, v14
	s_delay_alu instid0(VALU_DEP_1) | instskip(NEXT) | instid1(VALU_DEP_1)
	v_dual_add_nc_u32 v14, 6, v15 :: v_dual_add_nc_u32 v36, v3, v10
                                        ; implicit-def: $vgpr10_vgpr11
                                        ; implicit-def: $vgpr3
	v_cmpx_ne_u32_e32 0, v14
	s_xor_b32 s7, exec_lo, s7
; %bb.4688:                             ;   in Loop: Header=BB4_4032 Depth=2
	s_delay_alu instid0(VALU_DEP_2) | instskip(SKIP_2) | instid1(VALU_DEP_2)
	v_cmp_lt_u64_e32 vcc_lo, 0xffffff, v[36:37]
	v_add_nc_u32_e32 v3, 7, v15
	v_cndmask_b32_e64 v10, 0, 1, vcc_lo
	v_cndmask_b32_e32 v3, v14, v3, vcc_lo
	s_delay_alu instid0(VALU_DEP_2)
	v_lshrrev_b64 v[10:11], v10, v[36:37]
; %bb.4689:                             ;   in Loop: Header=BB4_4032 Depth=2
	s_and_not1_saveexec_b32 s7, s7
; %bb.4690:                             ;   in Loop: Header=BB4_4032 Depth=2
	v_mov_b64_e32 v[10:11], v[36:37]
	v_bfe_u32 v3, v36, 23, 1
; %bb.4691:                             ;   in Loop: Header=BB4_4032 Depth=2
	s_or_b32 exec_lo, exec_lo, s7
	s_delay_alu instid0(VALU_DEP_2) | instskip(NEXT) | instid1(VALU_DEP_2)
	v_lshrrev_b64 v[10:11], 20, v[10:11]
	v_cmp_gt_i32_e32 vcc_lo, 16, v3
	v_min_i32_e32 v14, 15, v3
	v_cmp_eq_u32_e64 s7, 0, v3
	s_delay_alu instid0(VALU_DEP_4) | instskip(NEXT) | instid1(VALU_DEP_3)
	v_cndmask_b32_e32 v10, 7, v10, vcc_lo
	v_dual_cndmask_b32 v11, 0, v11 :: v_dual_lshlrev_b32 v14, 3, v14
	s_delay_alu instid0(VALU_DEP_1) | instskip(NEXT) | instid1(VALU_DEP_2)
	v_and_b32_e32 v14, 0xf8, v14
	v_cmp_eq_u64_e32 vcc_lo, 0, v[10:11]
	s_delay_alu instid0(VALU_DEP_2)
	v_and_or_b32 v3, v10, 7, v14
	s_and_b32 s7, s7, vcc_lo
	s_delay_alu instid0(VALU_DEP_1) | instid1(SALU_CYCLE_1)
	v_cndmask_b32_e64 v3, v3, 0, s7
	s_delay_alu instid0(VALU_DEP_1)
	v_or_b32_e32 v47, v3, v2
.LBB4_4692:                             ;   in Loop: Header=BB4_4032 Depth=2
	s_or_b32 exec_lo, exec_lo, s42
                                        ; implicit-def: $vgpr2
.LBB4_4693:                             ;   in Loop: Header=BB4_4032 Depth=2
	s_and_not1_saveexec_b32 s7, s41
; %bb.4694:                             ;   in Loop: Header=BB4_4032 Depth=2
	v_or_b32_e32 v47, 0x7e, v2
; %bb.4695:                             ;   in Loop: Header=BB4_4032 Depth=2
	s_or_b32 exec_lo, exec_lo, s7
                                        ; implicit-def: $vgpr2
.LBB4_4696:                             ;   in Loop: Header=BB4_4032 Depth=2
	s_and_not1_saveexec_b32 s7, s40
; %bb.4697:                             ;   in Loop: Header=BB4_4032 Depth=2
	v_or_b32_e32 v47, 0x7f, v2
; %bb.4698:                             ;   in Loop: Header=BB4_4032 Depth=2
	s_or_b32 exec_lo, exec_lo, s7
	v_and_b32_e32 v3, 0xff, v13
	v_dual_mov_b32 v36, v13 :: v_dual_mov_b32 v2, 0
	s_mov_b32 s7, exec_lo
	s_delay_alu instid0(VALU_DEP_2)
	v_cmpx_ne_u16_e32 0, v3
	s_cbranch_execz .LBB4_4704
; %bb.4699:                             ;   in Loop: Header=BB4_4032 Depth=2
	v_bfrev_b32_e32 v2, 1
	s_mov_b32 s40, exec_lo
	v_cmpx_ne_u16_e32 0x80, v3
	s_cbranch_execz .LBB4_4703
; %bb.4700:                             ;   in Loop: Header=BB4_4032 Depth=2
	v_and_b32_e32 v3, 0x7f, v13
	v_mov_b32_e32 v2, 0x7f800001
	s_mov_b32 s41, exec_lo
	s_delay_alu instid0(VALU_DEP_2)
	v_cmpx_ne_u32_e32 0x7f, v3
	s_cbranch_execz .LBB4_4702
; %bb.4701:                             ;   in Loop: Header=BB4_4032 Depth=2
	v_dual_lshrrev_b32 v10, 3, v3 :: v_dual_bitop2_b32 v2, 7, v13 bitop3:0x40
	v_cmp_gt_u32_e32 vcc_lo, 8, v3
	s_delay_alu instid0(VALU_DEP_2) | instskip(NEXT) | instid1(VALU_DEP_1)
	v_clz_i32_u32_e32 v2, v2
	v_min_u32_e32 v2, 32, v2
	s_delay_alu instid0(VALU_DEP_1) | instskip(SKIP_1) | instid1(VALU_DEP_1)
	v_subrev_nc_u32_e32 v11, 28, v2
	v_sub_nc_u32_e32 v2, 29, v2
	v_dual_cndmask_b32 v10, v10, v2, vcc_lo :: v_dual_cndmask_b32 v2, 0, v11, vcc_lo
	s_delay_alu instid0(VALU_DEP_1) | instskip(NEXT) | instid1(VALU_DEP_2)
	v_lshl_add_u32 v10, v10, 23, 0x3c000000
	v_lshlrev_b64_e32 v[2:3], v2, v[36:37]
	v_lshlrev_b32_e32 v3, 24, v36
	s_delay_alu instid0(VALU_DEP_1) | instskip(NEXT) | instid1(VALU_DEP_3)
	v_and_b32_e32 v3, 0x80000000, v3
	v_lshlrev_b32_e32 v2, 20, v2
	s_delay_alu instid0(VALU_DEP_1) | instskip(NEXT) | instid1(VALU_DEP_1)
	v_and_b32_e32 v2, 0x700000, v2
	v_or3_b32 v2, v2, v3, v10
.LBB4_4702:                             ;   in Loop: Header=BB4_4032 Depth=2
	s_or_b32 exec_lo, exec_lo, s41
.LBB4_4703:                             ;   in Loop: Header=BB4_4032 Depth=2
	s_delay_alu instid0(SALU_CYCLE_1)
	s_or_b32 exec_lo, exec_lo, s40
.LBB4_4704:                             ;   in Loop: Header=BB4_4032 Depth=2
	s_delay_alu instid0(SALU_CYCLE_1) | instskip(NEXT) | instid1(VALU_DEP_1)
	s_or_b32 exec_lo, exec_lo, s7
	v_dual_mul_f32 v3, s29, v2 :: v_dual_mov_b32 v11, v37
                                        ; implicit-def: $vgpr114
	s_mov_b32 s7, exec_lo
	s_delay_alu instid0(VALU_DEP_1) | instskip(SKIP_1) | instid1(VALU_DEP_2)
	v_and_b32_e32 v10, 0x7f800000, v3
	v_lshrrev_b32_e32 v2, 24, v3
	v_cmpx_ne_u64_e32 0x7f800000, v[10:11]
	s_xor_b32 s40, exec_lo, s7
	s_cbranch_execz .LBB4_4718
; %bb.4705:                             ;   in Loop: Header=BB4_4032 Depth=2
	v_and_b32_e32 v10, 0x7fffffff, v3
	v_mov_b32_e32 v11, v37
	v_and_b32_e32 v2, 0x80, v2
                                        ; implicit-def: $vgpr114
	s_mov_b32 s7, exec_lo
	s_delay_alu instid0(VALU_DEP_2)
	v_cmpx_gt_u64_e32 0x43e00001, v[10:11]
	s_xor_b32 s41, exec_lo, s7
	s_cbranch_execz .LBB4_4715
; %bb.4706:                             ;   in Loop: Header=BB4_4032 Depth=2
	v_mov_b32_e32 v114, 0
	s_mov_b32 s42, exec_lo
	v_cmpx_ne_u32_e32 0, v3
	s_cbranch_execz .LBB4_4714
; %bb.4707:                             ;   in Loop: Header=BB4_4032 Depth=2
	v_bfe_u32 v16, v3, 23, 8
	v_and_b32_e32 v3, 0x7fffff, v3
	s_mov_b32 s43, exec_lo
	s_delay_alu instid0(VALU_DEP_2) | instskip(SKIP_1) | instid1(VALU_DEP_3)
	v_dual_mov_b32 v15, v37 :: v_dual_sub_nc_u32 v10, 0x79, v16
	v_cmp_gt_u32_e32 vcc_lo, 0x7a, v16
	v_or_b32_e32 v14, 0x800000, v3
	s_delay_alu instid0(VALU_DEP_3) | instskip(SKIP_1) | instid1(VALU_DEP_2)
	v_cndmask_b32_e32 v10, 0, v10, vcc_lo
	v_cmp_eq_u32_e32 vcc_lo, 0, v16
	v_cndmask_b32_e64 v17, v10, 0x78, vcc_lo
	s_delay_alu instid0(VALU_DEP_1) | instskip(SKIP_1) | instid1(VALU_DEP_2)
	v_dual_cndmask_b32 v14, v14, v3, vcc_lo :: v_dual_add_nc_u32 v10, 20, v17
	v_add_nc_u32_e32 v20, 19, v17
	v_lshlrev_b64_e64 v[10:11], v10, -1
	s_delay_alu instid0(VALU_DEP_2) | instskip(NEXT) | instid1(VALU_DEP_2)
	v_lshlrev_b64_e64 v[20:21], v20, 1
	v_bfi_b32 v115, v11, 0, 0
	s_delay_alu instid0(VALU_DEP_3) | instskip(SKIP_1) | instid1(VALU_DEP_1)
	v_bfi_b32 v114, v10, 0, v14
	v_lshrrev_b64 v[10:11], v17, v[14:15]
	v_mov_b64_e32 v[14:15], v[10:11]
	s_delay_alu instid0(VALU_DEP_3)
	v_cmpx_eq_u64_e64 v[114:115], v[20:21]
; %bb.4708:                             ;   in Loop: Header=BB4_4032 Depth=2
	v_bfe_u32 v14, v10, 20, 1
	v_mov_b32_e32 v15, v37
	s_delay_alu instid0(VALU_DEP_1) | instskip(NEXT) | instid1(VALU_DEP_1)
	v_add_nc_u64_e32 v[14:15], v[10:11], v[14:15]
	v_add_nc_u64_e32 v[14:15], -1, v[14:15]
; %bb.4709:                             ;   in Loop: Header=BB4_4032 Depth=2
	s_or_b32 exec_lo, exec_lo, s43
	v_add_nc_u32_e32 v3, 0xffffff81, v16
	v_lshrrev_b32_e32 v11, 23, v10
	s_mov_b32 s7, exec_lo
	s_delay_alu instid0(VALU_DEP_2) | instskip(NEXT) | instid1(VALU_DEP_1)
	v_cndmask_b32_e64 v3, v3, 0xffffff82, vcc_lo
	v_add3_u32 v15, v17, v3, v11
	v_and_b32_e32 v3, 0xfffff, v14
	s_delay_alu instid0(VALU_DEP_2) | instskip(NEXT) | instid1(VALU_DEP_2)
	v_dual_mov_b32 v11, v37 :: v_dual_add_nc_u32 v14, 6, v15
	v_add_nc_u32_e32 v10, v3, v10
                                        ; implicit-def: $vgpr3
	s_delay_alu instid0(VALU_DEP_2)
	v_cmpx_ne_u32_e32 0, v14
	s_xor_b32 s7, exec_lo, s7
; %bb.4710:                             ;   in Loop: Header=BB4_4032 Depth=2
	s_delay_alu instid0(VALU_DEP_2) | instskip(SKIP_1) | instid1(VALU_DEP_1)
	v_cmp_lt_u64_e32 vcc_lo, 0xffffff, v[10:11]
	v_add_nc_u32_e32 v3, 7, v15
	v_cndmask_b32_e32 v3, v14, v3, vcc_lo
	v_cndmask_b32_e64 v14, 0, 1, vcc_lo
	s_delay_alu instid0(VALU_DEP_1)
	v_lshrrev_b64 v[10:11], v14, v[10:11]
; %bb.4711:                             ;   in Loop: Header=BB4_4032 Depth=2
	s_and_not1_saveexec_b32 s7, s7
; %bb.4712:                             ;   in Loop: Header=BB4_4032 Depth=2
	s_delay_alu instid0(VALU_DEP_1)
	v_bfe_u32 v3, v10, 23, 1
; %bb.4713:                             ;   in Loop: Header=BB4_4032 Depth=2
	s_or_b32 exec_lo, exec_lo, s7
	s_delay_alu instid0(VALU_DEP_2) | instskip(NEXT) | instid1(VALU_DEP_2)
	v_lshrrev_b64 v[10:11], 20, v[10:11]
	v_cmp_gt_i32_e32 vcc_lo, 16, v3
	v_min_i32_e32 v14, 15, v3
	v_cmp_eq_u32_e64 s7, 0, v3
	s_delay_alu instid0(VALU_DEP_4) | instskip(NEXT) | instid1(VALU_DEP_3)
	v_cndmask_b32_e32 v10, 7, v10, vcc_lo
	v_dual_cndmask_b32 v11, 0, v11 :: v_dual_lshlrev_b32 v14, 3, v14
	s_delay_alu instid0(VALU_DEP_1) | instskip(NEXT) | instid1(VALU_DEP_2)
	v_and_b32_e32 v14, 0xf8, v14
	v_cmp_eq_u64_e32 vcc_lo, 0, v[10:11]
	s_delay_alu instid0(VALU_DEP_2)
	v_and_or_b32 v3, v10, 7, v14
	s_and_b32 s7, s7, vcc_lo
	s_delay_alu instid0(VALU_DEP_1) | instid1(SALU_CYCLE_1)
	v_cndmask_b32_e64 v3, v3, 0, s7
	s_delay_alu instid0(VALU_DEP_1)
	v_or_b32_e32 v114, v3, v2
.LBB4_4714:                             ;   in Loop: Header=BB4_4032 Depth=2
	s_or_b32 exec_lo, exec_lo, s42
                                        ; implicit-def: $vgpr2
.LBB4_4715:                             ;   in Loop: Header=BB4_4032 Depth=2
	s_and_not1_saveexec_b32 s7, s41
; %bb.4716:                             ;   in Loop: Header=BB4_4032 Depth=2
	v_or_b32_e32 v114, 0x7e, v2
; %bb.4717:                             ;   in Loop: Header=BB4_4032 Depth=2
	s_or_b32 exec_lo, exec_lo, s7
                                        ; implicit-def: $vgpr2
.LBB4_4718:                             ;   in Loop: Header=BB4_4032 Depth=2
	s_and_not1_saveexec_b32 s7, s40
; %bb.4719:                             ;   in Loop: Header=BB4_4032 Depth=2
	v_or_b32_e32 v114, 0x7f, v2
; %bb.4720:                             ;   in Loop: Header=BB4_4032 Depth=2
	s_or_b32 exec_lo, exec_lo, s7
	v_lshrrev_b16 v3, 8, v36
	v_mov_b32_e32 v2, 0
	s_mov_b32 s7, exec_lo
	s_delay_alu instid0(VALU_DEP_2)
	v_cmpx_ne_u16_e32 0, v3
	s_cbranch_execz .LBB4_4728
; %bb.4721:                             ;   in Loop: Header=BB4_4032 Depth=2
	v_bfrev_b32_e32 v2, 1
	s_mov_b32 s40, exec_lo
	v_cmpx_ne_u16_e32 0x80, v3
	s_cbranch_execz .LBB4_4727
; %bb.4722:                             ;   in Loop: Header=BB4_4032 Depth=2
	v_and_b32_e32 v10, 0xffff, v3
	v_mov_b32_e32 v2, 0x7f800001
	s_mov_b32 s41, exec_lo
	s_delay_alu instid0(VALU_DEP_2) | instskip(NEXT) | instid1(VALU_DEP_1)
	v_and_b32_e32 v3, 0x7f, v10
	v_cmpx_ne_u32_e32 0x7f, v3
	s_cbranch_execz .LBB4_4726
; %bb.4723:                             ;   in Loop: Header=BB4_4032 Depth=2
	v_dual_mov_b32 v11, v37 :: v_dual_bitop2_b32 v10, 7, v10 bitop3:0x40
	v_lshrrev_b32_e32 v2, 3, v3
	s_mov_b32 s42, exec_lo
	v_cmpx_gt_u32_e32 8, v3
; %bb.4724:                             ;   in Loop: Header=BB4_4032 Depth=2
	s_delay_alu instid0(VALU_DEP_3) | instskip(NEXT) | instid1(VALU_DEP_1)
	v_clz_i32_u32_e32 v2, v10
	v_min_u32_e32 v2, 32, v2
	s_delay_alu instid0(VALU_DEP_1) | instskip(SKIP_1) | instid1(VALU_DEP_2)
	v_subrev_nc_u32_e32 v3, 28, v2
	v_sub_nc_u32_e32 v2, 29, v2
	v_lshlrev_b64_e32 v[10:11], v3, v[10:11]
	s_delay_alu instid0(VALU_DEP_1)
	v_and_b32_e32 v10, 7, v10
; %bb.4725:                             ;   in Loop: Header=BB4_4032 Depth=2
	s_or_b32 exec_lo, exec_lo, s42
	s_delay_alu instid0(VALU_DEP_1) | instskip(SKIP_1) | instid1(VALU_DEP_2)
	v_dual_lshlrev_b32 v3, 16, v36 :: v_dual_lshlrev_b32 v10, 20, v10
	v_lshl_add_u32 v2, v2, 23, 0x3c000000
	v_and_b32_e32 v3, 0x80000000, v3
	s_delay_alu instid0(VALU_DEP_1)
	v_or3_b32 v2, v10, v3, v2
.LBB4_4726:                             ;   in Loop: Header=BB4_4032 Depth=2
	s_or_b32 exec_lo, exec_lo, s41
.LBB4_4727:                             ;   in Loop: Header=BB4_4032 Depth=2
	s_delay_alu instid0(SALU_CYCLE_1)
	s_or_b32 exec_lo, exec_lo, s40
.LBB4_4728:                             ;   in Loop: Header=BB4_4032 Depth=2
	s_delay_alu instid0(SALU_CYCLE_1) | instskip(NEXT) | instid1(VALU_DEP_1)
	s_or_b32 exec_lo, exec_lo, s7
	v_mul_f32_e32 v3, s29, v2
                                        ; implicit-def: $vgpr117
	s_mov_b32 s7, exec_lo
	s_delay_alu instid0(VALU_DEP_1) | instskip(SKIP_1) | instid1(VALU_DEP_2)
	v_and_b32_e32 v36, 0x7f800000, v3
	v_lshrrev_b32_e32 v2, 24, v3
	v_cmpx_ne_u64_e32 0x7f800000, v[36:37]
	s_xor_b32 s40, exec_lo, s7
	s_cbranch_execz .LBB4_4742
; %bb.4729:                             ;   in Loop: Header=BB4_4032 Depth=2
	v_and_b32_e32 v36, 0x7fffffff, v3
	v_and_b32_e32 v2, 0x80, v2
                                        ; implicit-def: $vgpr117
	s_mov_b32 s7, exec_lo
	s_delay_alu instid0(VALU_DEP_2)
	v_cmpx_gt_u64_e32 0x43e00001, v[36:37]
	s_xor_b32 s41, exec_lo, s7
	s_cbranch_execz .LBB4_4739
; %bb.4730:                             ;   in Loop: Header=BB4_4032 Depth=2
	v_mov_b32_e32 v117, 0
	s_mov_b32 s42, exec_lo
	v_cmpx_ne_u32_e32 0, v3
	s_cbranch_execz .LBB4_4738
; %bb.4731:                             ;   in Loop: Header=BB4_4032 Depth=2
	v_bfe_u32 v16, v3, 23, 8
	v_and_b32_e32 v3, 0x7fffff, v3
	s_delay_alu instid0(VALU_DEP_2) | instskip(SKIP_1) | instid1(VALU_DEP_3)
	v_sub_nc_u32_e32 v10, 0x79, v16
	v_cmp_gt_u32_e32 vcc_lo, 0x7a, v16
	v_or_b32_e32 v14, 0x800000, v3
	s_delay_alu instid0(VALU_DEP_3) | instskip(SKIP_1) | instid1(VALU_DEP_2)
	v_cndmask_b32_e32 v10, 0, v10, vcc_lo
	v_cmp_eq_u32_e32 vcc_lo, 0, v16
	v_cndmask_b32_e64 v17, v10, 0x78, vcc_lo
	s_delay_alu instid0(VALU_DEP_1) | instskip(SKIP_1) | instid1(VALU_DEP_2)
	v_dual_cndmask_b32 v36, v14, v3, vcc_lo :: v_dual_add_nc_u32 v10, 20, v17
	v_add_nc_u32_e32 v15, 19, v17
	v_lshlrev_b64_e64 v[10:11], v10, -1
	s_delay_alu instid0(VALU_DEP_2) | instskip(NEXT) | instid1(VALU_DEP_2)
	v_lshlrev_b64_e64 v[14:15], v15, 1
	v_bfi_b32 v21, v11, 0, 0
	s_delay_alu instid0(VALU_DEP_3) | instskip(SKIP_1) | instid1(VALU_DEP_2)
	v_bfi_b32 v20, v10, 0, v36
	v_lshrrev_b64 v[10:11], v17, v[36:37]
	v_cmp_eq_u64_e64 s7, v[20:21], v[14:15]
	s_delay_alu instid0(VALU_DEP_2)
	v_mov_b64_e32 v[14:15], v[10:11]
	s_and_saveexec_b32 s43, s7
; %bb.4732:                             ;   in Loop: Header=BB4_4032 Depth=2
	v_bfe_u32 v36, v10, 20, 1
	s_delay_alu instid0(VALU_DEP_1) | instskip(NEXT) | instid1(VALU_DEP_1)
	v_add_nc_u64_e32 v[14:15], v[10:11], v[36:37]
	v_add_nc_u64_e32 v[14:15], -1, v[14:15]
; %bb.4733:                             ;   in Loop: Header=BB4_4032 Depth=2
	s_or_b32 exec_lo, exec_lo, s43
	v_add_nc_u32_e32 v3, 0xffffff81, v16
	v_lshrrev_b32_e32 v11, 23, v10
	s_mov_b32 s7, exec_lo
	s_delay_alu instid0(VALU_DEP_2) | instskip(NEXT) | instid1(VALU_DEP_1)
	v_cndmask_b32_e64 v3, v3, 0xffffff82, vcc_lo
	v_add3_u32 v15, v17, v3, v11
	v_and_b32_e32 v3, 0xfffff, v14
	s_delay_alu instid0(VALU_DEP_1) | instskip(NEXT) | instid1(VALU_DEP_1)
	v_dual_add_nc_u32 v14, 6, v15 :: v_dual_add_nc_u32 v36, v3, v10
                                        ; implicit-def: $vgpr10_vgpr11
                                        ; implicit-def: $vgpr3
	v_cmpx_ne_u32_e32 0, v14
	s_xor_b32 s7, exec_lo, s7
; %bb.4734:                             ;   in Loop: Header=BB4_4032 Depth=2
	s_delay_alu instid0(VALU_DEP_2) | instskip(SKIP_2) | instid1(VALU_DEP_2)
	v_cmp_lt_u64_e32 vcc_lo, 0xffffff, v[36:37]
	v_add_nc_u32_e32 v3, 7, v15
	v_cndmask_b32_e64 v10, 0, 1, vcc_lo
	v_cndmask_b32_e32 v3, v14, v3, vcc_lo
	s_delay_alu instid0(VALU_DEP_2)
	v_lshrrev_b64 v[10:11], v10, v[36:37]
; %bb.4735:                             ;   in Loop: Header=BB4_4032 Depth=2
	s_and_not1_saveexec_b32 s7, s7
; %bb.4736:                             ;   in Loop: Header=BB4_4032 Depth=2
	v_mov_b64_e32 v[10:11], v[36:37]
	v_bfe_u32 v3, v36, 23, 1
; %bb.4737:                             ;   in Loop: Header=BB4_4032 Depth=2
	s_or_b32 exec_lo, exec_lo, s7
	s_delay_alu instid0(VALU_DEP_2) | instskip(NEXT) | instid1(VALU_DEP_2)
	v_lshrrev_b64 v[10:11], 20, v[10:11]
	v_cmp_gt_i32_e32 vcc_lo, 16, v3
	v_min_i32_e32 v14, 15, v3
	v_cmp_eq_u32_e64 s7, 0, v3
	s_delay_alu instid0(VALU_DEP_4) | instskip(NEXT) | instid1(VALU_DEP_3)
	v_cndmask_b32_e32 v10, 7, v10, vcc_lo
	v_dual_cndmask_b32 v11, 0, v11 :: v_dual_lshlrev_b32 v14, 3, v14
	s_delay_alu instid0(VALU_DEP_1) | instskip(NEXT) | instid1(VALU_DEP_2)
	v_and_b32_e32 v14, 0xf8, v14
	v_cmp_eq_u64_e32 vcc_lo, 0, v[10:11]
	s_delay_alu instid0(VALU_DEP_2)
	v_and_or_b32 v3, v10, 7, v14
	s_and_b32 s7, s7, vcc_lo
	s_delay_alu instid0(VALU_DEP_1) | instid1(SALU_CYCLE_1)
	v_cndmask_b32_e64 v3, v3, 0, s7
	s_delay_alu instid0(VALU_DEP_1)
	v_or_b32_e32 v117, v3, v2
.LBB4_4738:                             ;   in Loop: Header=BB4_4032 Depth=2
	s_or_b32 exec_lo, exec_lo, s42
                                        ; implicit-def: $vgpr2
.LBB4_4739:                             ;   in Loop: Header=BB4_4032 Depth=2
	s_and_not1_saveexec_b32 s7, s41
; %bb.4740:                             ;   in Loop: Header=BB4_4032 Depth=2
	v_or_b32_e32 v117, 0x7e, v2
; %bb.4741:                             ;   in Loop: Header=BB4_4032 Depth=2
	s_or_b32 exec_lo, exec_lo, s7
                                        ; implicit-def: $vgpr2
.LBB4_4742:                             ;   in Loop: Header=BB4_4032 Depth=2
	s_and_not1_saveexec_b32 s7, s40
; %bb.4743:                             ;   in Loop: Header=BB4_4032 Depth=2
	v_or_b32_e32 v117, 0x7f, v2
; %bb.4744:                             ;   in Loop: Header=BB4_4032 Depth=2
	s_or_b32 exec_lo, exec_lo, s7
	v_dual_mov_b32 v3, 0 :: v_dual_lshrrev_b32 v2, 16, v13
	s_mov_b32 s7, exec_lo
	s_delay_alu instid0(VALU_DEP_1) | instskip(NEXT) | instid1(VALU_DEP_1)
	v_and_b32_e32 v10, 0xff, v2
	v_cmpx_ne_u16_e32 0, v10
	s_cbranch_execz .LBB4_4752
; %bb.4745:                             ;   in Loop: Header=BB4_4032 Depth=2
	v_bfrev_b32_e32 v3, 1
	s_mov_b32 s40, exec_lo
	v_cmpx_ne_u16_e32 0x80, v10
	s_cbranch_execz .LBB4_4751
; %bb.4746:                             ;   in Loop: Header=BB4_4032 Depth=2
	v_bfe_u32 v10, v13, 16, 7
	v_mov_b32_e32 v3, 0x7f800001
	s_mov_b32 s41, exec_lo
	s_delay_alu instid0(VALU_DEP_2)
	v_cmpx_ne_u32_e32 0x7f, v10
	s_cbranch_execz .LBB4_4750
; %bb.4747:                             ;   in Loop: Header=BB4_4032 Depth=2
	v_and_b32_e32 v36, 7, v2
	v_lshrrev_b32_e32 v3, 3, v10
	s_mov_b32 s42, exec_lo
	v_cmpx_gt_u32_e32 8, v10
; %bb.4748:                             ;   in Loop: Header=BB4_4032 Depth=2
	s_delay_alu instid0(VALU_DEP_3) | instskip(NEXT) | instid1(VALU_DEP_1)
	v_clz_i32_u32_e32 v3, v36
	v_min_u32_e32 v3, 32, v3
	s_delay_alu instid0(VALU_DEP_1) | instskip(NEXT) | instid1(VALU_DEP_1)
	v_subrev_nc_u32_e32 v10, 28, v3
	v_lshlrev_b64_e32 v[10:11], v10, v[36:37]
	s_delay_alu instid0(VALU_DEP_1)
	v_dual_sub_nc_u32 v3, 29, v3 :: v_dual_bitop2_b32 v36, 7, v10 bitop3:0x40
; %bb.4749:                             ;   in Loop: Header=BB4_4032 Depth=2
	s_or_b32 exec_lo, exec_lo, s42
	s_delay_alu instid0(VALU_DEP_1) | instskip(NEXT) | instid1(VALU_DEP_2)
	v_dual_lshlrev_b32 v2, 24, v2 :: v_dual_lshlrev_b32 v10, 20, v36
	v_lshl_add_u32 v3, v3, 23, 0x3c000000
	s_delay_alu instid0(VALU_DEP_2) | instskip(NEXT) | instid1(VALU_DEP_1)
	v_and_b32_e32 v2, 0x80000000, v2
	v_or3_b32 v3, v10, v2, v3
.LBB4_4750:                             ;   in Loop: Header=BB4_4032 Depth=2
	s_or_b32 exec_lo, exec_lo, s41
.LBB4_4751:                             ;   in Loop: Header=BB4_4032 Depth=2
	s_delay_alu instid0(SALU_CYCLE_1)
	s_or_b32 exec_lo, exec_lo, s40
.LBB4_4752:                             ;   in Loop: Header=BB4_4032 Depth=2
	s_delay_alu instid0(SALU_CYCLE_1) | instskip(NEXT) | instid1(VALU_DEP_1)
	s_or_b32 exec_lo, exec_lo, s7
	v_mul_f32_e32 v3, s29, v3
                                        ; implicit-def: $vgpr119
	s_mov_b32 s7, exec_lo
	s_delay_alu instid0(VALU_DEP_1) | instskip(SKIP_1) | instid1(VALU_DEP_2)
	v_and_b32_e32 v36, 0x7f800000, v3
	v_lshrrev_b32_e32 v2, 24, v3
	v_cmpx_ne_u64_e32 0x7f800000, v[36:37]
	s_xor_b32 s40, exec_lo, s7
	s_cbranch_execz .LBB4_4766
; %bb.4753:                             ;   in Loop: Header=BB4_4032 Depth=2
	v_and_b32_e32 v36, 0x7fffffff, v3
	v_and_b32_e32 v2, 0x80, v2
                                        ; implicit-def: $vgpr119
	s_mov_b32 s7, exec_lo
	s_delay_alu instid0(VALU_DEP_2)
	v_cmpx_gt_u64_e32 0x43e00001, v[36:37]
	s_xor_b32 s41, exec_lo, s7
	s_cbranch_execz .LBB4_4763
; %bb.4754:                             ;   in Loop: Header=BB4_4032 Depth=2
	v_mov_b32_e32 v119, 0
	s_mov_b32 s42, exec_lo
	v_cmpx_ne_u32_e32 0, v3
	s_cbranch_execz .LBB4_4762
; %bb.4755:                             ;   in Loop: Header=BB4_4032 Depth=2
	v_bfe_u32 v16, v3, 23, 8
	v_and_b32_e32 v3, 0x7fffff, v3
	s_delay_alu instid0(VALU_DEP_2) | instskip(SKIP_1) | instid1(VALU_DEP_3)
	v_sub_nc_u32_e32 v10, 0x79, v16
	v_cmp_gt_u32_e32 vcc_lo, 0x7a, v16
	v_or_b32_e32 v14, 0x800000, v3
	s_delay_alu instid0(VALU_DEP_3) | instskip(SKIP_1) | instid1(VALU_DEP_2)
	v_cndmask_b32_e32 v10, 0, v10, vcc_lo
	v_cmp_eq_u32_e32 vcc_lo, 0, v16
	v_cndmask_b32_e64 v17, v10, 0x78, vcc_lo
	s_delay_alu instid0(VALU_DEP_1) | instskip(SKIP_1) | instid1(VALU_DEP_2)
	v_dual_cndmask_b32 v36, v14, v3, vcc_lo :: v_dual_add_nc_u32 v10, 20, v17
	v_add_nc_u32_e32 v15, 19, v17
	v_lshlrev_b64_e64 v[10:11], v10, -1
	s_delay_alu instid0(VALU_DEP_2) | instskip(NEXT) | instid1(VALU_DEP_2)
	v_lshlrev_b64_e64 v[14:15], v15, 1
	v_bfi_b32 v21, v11, 0, 0
	s_delay_alu instid0(VALU_DEP_3) | instskip(SKIP_1) | instid1(VALU_DEP_2)
	v_bfi_b32 v20, v10, 0, v36
	v_lshrrev_b64 v[10:11], v17, v[36:37]
	v_cmp_eq_u64_e64 s7, v[20:21], v[14:15]
	s_delay_alu instid0(VALU_DEP_2)
	v_mov_b64_e32 v[14:15], v[10:11]
	s_and_saveexec_b32 s43, s7
; %bb.4756:                             ;   in Loop: Header=BB4_4032 Depth=2
	v_bfe_u32 v36, v10, 20, 1
	s_delay_alu instid0(VALU_DEP_1) | instskip(NEXT) | instid1(VALU_DEP_1)
	v_add_nc_u64_e32 v[14:15], v[10:11], v[36:37]
	v_add_nc_u64_e32 v[14:15], -1, v[14:15]
; %bb.4757:                             ;   in Loop: Header=BB4_4032 Depth=2
	s_or_b32 exec_lo, exec_lo, s43
	v_add_nc_u32_e32 v3, 0xffffff81, v16
	v_lshrrev_b32_e32 v11, 23, v10
	s_mov_b32 s7, exec_lo
	s_delay_alu instid0(VALU_DEP_2) | instskip(NEXT) | instid1(VALU_DEP_1)
	v_cndmask_b32_e64 v3, v3, 0xffffff82, vcc_lo
	v_add3_u32 v15, v17, v3, v11
	v_and_b32_e32 v3, 0xfffff, v14
	s_delay_alu instid0(VALU_DEP_1) | instskip(NEXT) | instid1(VALU_DEP_1)
	v_dual_add_nc_u32 v14, 6, v15 :: v_dual_add_nc_u32 v36, v3, v10
                                        ; implicit-def: $vgpr10_vgpr11
                                        ; implicit-def: $vgpr3
	v_cmpx_ne_u32_e32 0, v14
	s_xor_b32 s7, exec_lo, s7
; %bb.4758:                             ;   in Loop: Header=BB4_4032 Depth=2
	s_delay_alu instid0(VALU_DEP_2) | instskip(SKIP_2) | instid1(VALU_DEP_2)
	v_cmp_lt_u64_e32 vcc_lo, 0xffffff, v[36:37]
	v_add_nc_u32_e32 v3, 7, v15
	v_cndmask_b32_e64 v10, 0, 1, vcc_lo
	v_cndmask_b32_e32 v3, v14, v3, vcc_lo
	s_delay_alu instid0(VALU_DEP_2)
	v_lshrrev_b64 v[10:11], v10, v[36:37]
; %bb.4759:                             ;   in Loop: Header=BB4_4032 Depth=2
	s_and_not1_saveexec_b32 s7, s7
; %bb.4760:                             ;   in Loop: Header=BB4_4032 Depth=2
	v_mov_b64_e32 v[10:11], v[36:37]
	v_bfe_u32 v3, v36, 23, 1
; %bb.4761:                             ;   in Loop: Header=BB4_4032 Depth=2
	s_or_b32 exec_lo, exec_lo, s7
	s_delay_alu instid0(VALU_DEP_2) | instskip(NEXT) | instid1(VALU_DEP_2)
	v_lshrrev_b64 v[10:11], 20, v[10:11]
	v_cmp_gt_i32_e32 vcc_lo, 16, v3
	v_min_i32_e32 v14, 15, v3
	v_cmp_eq_u32_e64 s7, 0, v3
	s_delay_alu instid0(VALU_DEP_4) | instskip(NEXT) | instid1(VALU_DEP_3)
	v_cndmask_b32_e32 v10, 7, v10, vcc_lo
	v_dual_cndmask_b32 v11, 0, v11 :: v_dual_lshlrev_b32 v14, 3, v14
	s_delay_alu instid0(VALU_DEP_1) | instskip(NEXT) | instid1(VALU_DEP_2)
	v_and_b32_e32 v14, 0xf8, v14
	v_cmp_eq_u64_e32 vcc_lo, 0, v[10:11]
	s_delay_alu instid0(VALU_DEP_2)
	v_and_or_b32 v3, v10, 7, v14
	s_and_b32 s7, s7, vcc_lo
	s_delay_alu instid0(VALU_DEP_1) | instid1(SALU_CYCLE_1)
	v_cndmask_b32_e64 v3, v3, 0, s7
	s_delay_alu instid0(VALU_DEP_1)
	v_or_b32_e32 v119, v3, v2
.LBB4_4762:                             ;   in Loop: Header=BB4_4032 Depth=2
	s_or_b32 exec_lo, exec_lo, s42
                                        ; implicit-def: $vgpr2
.LBB4_4763:                             ;   in Loop: Header=BB4_4032 Depth=2
	s_and_not1_saveexec_b32 s7, s41
; %bb.4764:                             ;   in Loop: Header=BB4_4032 Depth=2
	v_or_b32_e32 v119, 0x7e, v2
; %bb.4765:                             ;   in Loop: Header=BB4_4032 Depth=2
	s_or_b32 exec_lo, exec_lo, s7
                                        ; implicit-def: $vgpr2
.LBB4_4766:                             ;   in Loop: Header=BB4_4032 Depth=2
	s_and_not1_saveexec_b32 s7, s40
; %bb.4767:                             ;   in Loop: Header=BB4_4032 Depth=2
	v_or_b32_e32 v119, 0x7f, v2
; %bb.4768:                             ;   in Loop: Header=BB4_4032 Depth=2
	s_or_b32 exec_lo, exec_lo, s7
	v_mov_b32_e32 v3, 0
	s_mov_b32 s7, exec_lo
	v_cmpx_lt_u64_e64 s[12:13], v[12:13]
	s_cbranch_execz .LBB4_4776
; %bb.4769:                             ;   in Loop: Header=BB4_4032 Depth=2
	v_lshrrev_b32_e32 v2, 24, v13
	v_bfrev_b32_e32 v3, 1
	s_mov_b32 s40, exec_lo
	s_delay_alu instid0(VALU_DEP_2)
	v_cmpx_ne_u32_e32 0x80, v2
	s_cbranch_execz .LBB4_4775
; %bb.4770:                             ;   in Loop: Header=BB4_4032 Depth=2
	v_bfe_u32 v10, v13, 24, 7
	v_mov_b32_e32 v3, 0x7f800001
	s_mov_b32 s41, exec_lo
	s_delay_alu instid0(VALU_DEP_2)
	v_cmpx_ne_u32_e32 0x7f, v10
	s_cbranch_execz .LBB4_4774
; %bb.4771:                             ;   in Loop: Header=BB4_4032 Depth=2
	v_and_b32_e32 v36, 7, v2
	v_lshrrev_b32_e32 v3, 3, v10
	s_mov_b32 s42, exec_lo
	v_cmpx_gt_u32_e32 8, v10
; %bb.4772:                             ;   in Loop: Header=BB4_4032 Depth=2
	s_delay_alu instid0(VALU_DEP_3) | instskip(NEXT) | instid1(VALU_DEP_1)
	v_clz_i32_u32_e32 v3, v36
	v_min_u32_e32 v3, 32, v3
	s_delay_alu instid0(VALU_DEP_1) | instskip(NEXT) | instid1(VALU_DEP_1)
	v_subrev_nc_u32_e32 v10, 28, v3
	v_lshlrev_b64_e32 v[10:11], v10, v[36:37]
	s_delay_alu instid0(VALU_DEP_1)
	v_dual_sub_nc_u32 v3, 29, v3 :: v_dual_bitop2_b32 v36, 7, v10 bitop3:0x40
; %bb.4773:                             ;   in Loop: Header=BB4_4032 Depth=2
	s_or_b32 exec_lo, exec_lo, s42
	s_delay_alu instid0(VALU_DEP_1) | instskip(NEXT) | instid1(VALU_DEP_2)
	v_dual_lshlrev_b32 v2, 24, v2 :: v_dual_lshlrev_b32 v10, 20, v36
	v_lshl_add_u32 v3, v3, 23, 0x3c000000
	s_delay_alu instid0(VALU_DEP_2) | instskip(NEXT) | instid1(VALU_DEP_1)
	v_and_b32_e32 v2, 0x80000000, v2
	v_or3_b32 v3, v10, v2, v3
.LBB4_4774:                             ;   in Loop: Header=BB4_4032 Depth=2
	s_or_b32 exec_lo, exec_lo, s41
.LBB4_4775:                             ;   in Loop: Header=BB4_4032 Depth=2
	s_delay_alu instid0(SALU_CYCLE_1)
	s_or_b32 exec_lo, exec_lo, s40
.LBB4_4776:                             ;   in Loop: Header=BB4_4032 Depth=2
	s_delay_alu instid0(SALU_CYCLE_1) | instskip(NEXT) | instid1(VALU_DEP_1)
	s_or_b32 exec_lo, exec_lo, s7
	v_mul_f32_e32 v3, s29, v3
                                        ; implicit-def: $vgpr42
	s_mov_b32 s7, exec_lo
	s_delay_alu instid0(VALU_DEP_1) | instskip(SKIP_1) | instid1(VALU_DEP_2)
	v_and_b32_e32 v36, 0x7f800000, v3
	v_lshrrev_b32_e32 v2, 24, v3
	v_cmpx_ne_u64_e32 0x7f800000, v[36:37]
	s_xor_b32 s29, exec_lo, s7
	s_cbranch_execz .LBB4_4790
; %bb.4777:                             ;   in Loop: Header=BB4_4032 Depth=2
	v_and_b32_e32 v36, 0x7fffffff, v3
	v_and_b32_e32 v2, 0x80, v2
                                        ; implicit-def: $vgpr42
	s_mov_b32 s7, exec_lo
	s_delay_alu instid0(VALU_DEP_2)
	v_cmpx_gt_u64_e32 0x43e00001, v[36:37]
	s_xor_b32 s40, exec_lo, s7
	s_cbranch_execz .LBB4_4787
; %bb.4778:                             ;   in Loop: Header=BB4_4032 Depth=2
	v_mov_b32_e32 v42, 0
	s_mov_b32 s41, exec_lo
	v_cmpx_ne_u32_e32 0, v3
	s_cbranch_execz .LBB4_4786
; %bb.4779:                             ;   in Loop: Header=BB4_4032 Depth=2
	v_bfe_u32 v14, v3, 23, 8
	v_and_b32_e32 v3, 0x7fffff, v3
	s_delay_alu instid0(VALU_DEP_2) | instskip(SKIP_1) | instid1(VALU_DEP_3)
	v_sub_nc_u32_e32 v10, 0x79, v14
	v_cmp_gt_u32_e32 vcc_lo, 0x7a, v14
	v_or_b32_e32 v12, 0x800000, v3
	s_delay_alu instid0(VALU_DEP_3) | instskip(SKIP_1) | instid1(VALU_DEP_2)
	v_cndmask_b32_e32 v10, 0, v10, vcc_lo
	v_cmp_eq_u32_e32 vcc_lo, 0, v14
	v_cndmask_b32_e64 v15, v10, 0x78, vcc_lo
	s_delay_alu instid0(VALU_DEP_4) | instskip(NEXT) | instid1(VALU_DEP_2)
	v_cndmask_b32_e32 v36, v12, v3, vcc_lo
	v_dual_add_nc_u32 v10, 20, v15 :: v_dual_add_nc_u32 v13, 19, v15
	s_delay_alu instid0(VALU_DEP_1) | instskip(NEXT) | instid1(VALU_DEP_2)
	v_lshlrev_b64_e64 v[10:11], v10, -1
	v_lshlrev_b64_e64 v[12:13], v13, 1
	s_delay_alu instid0(VALU_DEP_2) | instskip(NEXT) | instid1(VALU_DEP_3)
	v_bfi_b32 v17, v11, 0, 0
	v_bfi_b32 v16, v10, 0, v36
	v_lshrrev_b64 v[10:11], v15, v[36:37]
	s_delay_alu instid0(VALU_DEP_2) | instskip(NEXT) | instid1(VALU_DEP_2)
	v_cmp_eq_u64_e64 s7, v[16:17], v[12:13]
	v_mov_b64_e32 v[12:13], v[10:11]
	s_and_saveexec_b32 s42, s7
; %bb.4780:                             ;   in Loop: Header=BB4_4032 Depth=2
	v_bfe_u32 v36, v10, 20, 1
	s_delay_alu instid0(VALU_DEP_1) | instskip(NEXT) | instid1(VALU_DEP_1)
	v_add_nc_u64_e32 v[12:13], v[10:11], v[36:37]
	v_add_nc_u64_e32 v[12:13], -1, v[12:13]
; %bb.4781:                             ;   in Loop: Header=BB4_4032 Depth=2
	s_or_b32 exec_lo, exec_lo, s42
	v_add_nc_u32_e32 v3, 0xffffff81, v14
	v_lshrrev_b32_e32 v11, 23, v10
	s_mov_b32 s7, exec_lo
	s_delay_alu instid0(VALU_DEP_2) | instskip(NEXT) | instid1(VALU_DEP_1)
	v_cndmask_b32_e64 v3, v3, 0xffffff82, vcc_lo
	v_add3_u32 v13, v15, v3, v11
	v_and_b32_e32 v3, 0xfffff, v12
	s_delay_alu instid0(VALU_DEP_1) | instskip(NEXT) | instid1(VALU_DEP_1)
	v_dual_add_nc_u32 v12, 6, v13 :: v_dual_add_nc_u32 v36, v3, v10
                                        ; implicit-def: $vgpr10_vgpr11
                                        ; implicit-def: $vgpr3
	v_cmpx_ne_u32_e32 0, v12
	s_xor_b32 s7, exec_lo, s7
; %bb.4782:                             ;   in Loop: Header=BB4_4032 Depth=2
	s_delay_alu instid0(VALU_DEP_2) | instskip(SKIP_2) | instid1(VALU_DEP_2)
	v_cmp_lt_u64_e32 vcc_lo, 0xffffff, v[36:37]
	v_add_nc_u32_e32 v3, 7, v13
	v_cndmask_b32_e64 v10, 0, 1, vcc_lo
	v_cndmask_b32_e32 v3, v12, v3, vcc_lo
	s_delay_alu instid0(VALU_DEP_2)
	v_lshrrev_b64 v[10:11], v10, v[36:37]
; %bb.4783:                             ;   in Loop: Header=BB4_4032 Depth=2
	s_and_not1_saveexec_b32 s7, s7
; %bb.4784:                             ;   in Loop: Header=BB4_4032 Depth=2
	v_mov_b64_e32 v[10:11], v[36:37]
	v_bfe_u32 v3, v36, 23, 1
; %bb.4785:                             ;   in Loop: Header=BB4_4032 Depth=2
	s_or_b32 exec_lo, exec_lo, s7
	s_delay_alu instid0(VALU_DEP_2) | instskip(NEXT) | instid1(VALU_DEP_2)
	v_lshrrev_b64 v[10:11], 20, v[10:11]
	v_cmp_gt_i32_e32 vcc_lo, 16, v3
	v_min_i32_e32 v12, 15, v3
	v_cmp_eq_u32_e64 s7, 0, v3
	s_delay_alu instid0(VALU_DEP_2) | instskip(SKIP_1) | instid1(VALU_DEP_2)
	v_dual_cndmask_b32 v10, 7, v10, vcc_lo :: v_dual_lshlrev_b32 v12, 3, v12
	v_cndmask_b32_e32 v11, 0, v11, vcc_lo
	v_and_b32_e32 v12, 0xf8, v12
	s_delay_alu instid0(VALU_DEP_2) | instskip(NEXT) | instid1(VALU_DEP_2)
	v_cmp_eq_u64_e32 vcc_lo, 0, v[10:11]
	v_and_or_b32 v3, v10, 7, v12
	s_and_b32 s7, s7, vcc_lo
	s_delay_alu instid0(VALU_DEP_1) | instid1(SALU_CYCLE_1)
	v_cndmask_b32_e64 v3, v3, 0, s7
	s_delay_alu instid0(VALU_DEP_1)
	v_or_b32_e32 v42, v3, v2
.LBB4_4786:                             ;   in Loop: Header=BB4_4032 Depth=2
	s_or_b32 exec_lo, exec_lo, s41
                                        ; implicit-def: $vgpr2
.LBB4_4787:                             ;   in Loop: Header=BB4_4032 Depth=2
	s_and_not1_saveexec_b32 s7, s40
; %bb.4788:                             ;   in Loop: Header=BB4_4032 Depth=2
	v_or_b32_e32 v42, 0x7e, v2
; %bb.4789:                             ;   in Loop: Header=BB4_4032 Depth=2
	s_or_b32 exec_lo, exec_lo, s7
                                        ; implicit-def: $vgpr2
.LBB4_4790:                             ;   in Loop: Header=BB4_4032 Depth=2
	s_and_not1_saveexec_b32 s7, s29
; %bb.4791:                             ;   in Loop: Header=BB4_4032 Depth=2
	v_or_b32_e32 v42, 0x7f, v2
; %bb.4792:                             ;   in Loop: Header=BB4_4032 Depth=2
	s_or_b32 exec_lo, exec_lo, s7
	s_clause 0x1
	global_load_b128 v[14:17], v[84:85], off th:TH_LOAD_NT
	global_load_b128 v[10:13], v[84:85], off offset:512 th:TH_LOAD_NT
	v_lshl_or_b32 v2, v87, 8, v86
	v_dual_lshlrev_b32 v3, 16, v96 :: v_dual_lshlrev_b32 v20, 24, v97
	s_mov_b32 s7, exec_lo
	v_mov_b32_e32 v87, 0
	s_delay_alu instid0(VALU_DEP_2)
	v_or3_b32 v36, v3, v20, v2
	v_mov_b32_e32 v3, 0
	s_wait_xcnt 0x0
	v_cmpx_ne_u32_e32 0, v86
	s_cbranch_execz .LBB4_4798
; %bb.4793:                             ;   in Loop: Header=BB4_4032 Depth=2
	v_bfrev_b32_e32 v87, 1
	s_mov_b32 s29, exec_lo
	v_cmpx_ne_u32_e32 0x80, v86
	s_cbranch_execz .LBB4_4797
; %bb.4794:                             ;   in Loop: Header=BB4_4032 Depth=2
	v_and_b32_e32 v96, 0x7f, v86
	v_mov_b32_e32 v87, 0x7f800001
	s_mov_b32 s40, exec_lo
	s_delay_alu instid0(VALU_DEP_2)
	v_cmpx_ne_u32_e32 0x7f, v96
	s_cbranch_execz .LBB4_4796
; %bb.4795:                             ;   in Loop: Header=BB4_4032 Depth=2
	v_dual_lshrrev_b32 v21, 3, v96 :: v_dual_bitop2_b32 v20, 7, v86 bitop3:0x40
	v_cmp_gt_u32_e32 vcc_lo, 8, v96
	s_delay_alu instid0(VALU_DEP_2) | instskip(NEXT) | instid1(VALU_DEP_1)
	v_clz_i32_u32_e32 v20, v20
	v_min_u32_e32 v20, 32, v20
	s_delay_alu instid0(VALU_DEP_1) | instskip(SKIP_1) | instid1(VALU_DEP_1)
	v_subrev_nc_u32_e32 v86, 28, v20
	v_sub_nc_u32_e32 v20, 29, v20
	v_dual_cndmask_b32 v87, v21, v20 :: v_dual_cndmask_b32 v20, 0, v86
	s_delay_alu instid0(VALU_DEP_1) | instskip(NEXT) | instid1(VALU_DEP_2)
	v_lshl_add_u32 v86, v87, 23, 0x3c000000
	v_lshlrev_b64_e32 v[20:21], v20, v[36:37]
	v_lshlrev_b32_e32 v21, 24, v36
	s_delay_alu instid0(VALU_DEP_1) | instskip(NEXT) | instid1(VALU_DEP_3)
	v_and_b32_e32 v21, 0x80000000, v21
	v_lshlrev_b32_e32 v20, 20, v20
	s_delay_alu instid0(VALU_DEP_1) | instskip(NEXT) | instid1(VALU_DEP_1)
	v_and_b32_e32 v20, 0x700000, v20
	v_or3_b32 v87, v20, v21, v86
.LBB4_4796:                             ;   in Loop: Header=BB4_4032 Depth=2
	s_or_b32 exec_lo, exec_lo, s40
.LBB4_4797:                             ;   in Loop: Header=BB4_4032 Depth=2
	s_delay_alu instid0(SALU_CYCLE_1)
	s_or_b32 exec_lo, exec_lo, s29
.LBB4_4798:                             ;   in Loop: Header=BB4_4032 Depth=2
	s_delay_alu instid0(SALU_CYCLE_1) | instskip(SKIP_3) | instid1(VALU_DEP_1)
	s_or_b32 exec_lo, exec_lo, s7
	s_wait_loadcnt 0x1
	v_and_b32_e32 v86, 0xff, v14
	s_mov_b32 s7, exec_lo
	v_cmpx_ne_u16_e32 0, v86
	s_cbranch_execz .LBB4_4804
; %bb.4799:                             ;   in Loop: Header=BB4_4032 Depth=2
	v_bfrev_b32_e32 v3, 1
	s_mov_b32 s29, exec_lo
	v_cmpx_ne_u16_e32 0x80, v86
	s_cbranch_execz .LBB4_4803
; %bb.4800:                             ;   in Loop: Header=BB4_4032 Depth=2
	v_and_b32_e32 v86, 0x7f, v14
	v_mov_b32_e32 v3, 0x7f800001
	s_mov_b32 s40, exec_lo
	s_delay_alu instid0(VALU_DEP_2)
	v_cmpx_ne_u32_e32 0x7f, v86
	s_cbranch_execz .LBB4_4802
; %bb.4801:                             ;   in Loop: Header=BB4_4032 Depth=2
	v_cmp_gt_u32_e32 vcc_lo, 8, v86
	v_and_b32_e32 v3, 7, v14
	s_delay_alu instid0(VALU_DEP_1) | instskip(NEXT) | instid1(VALU_DEP_1)
	v_clz_i32_u32_e32 v3, v3
	v_min_u32_e32 v3, 32, v3
	v_lshrrev_b32_e32 v20, 3, v86
	s_delay_alu instid0(VALU_DEP_2) | instskip(SKIP_1) | instid1(VALU_DEP_1)
	v_subrev_nc_u32_e32 v21, 28, v3
	v_sub_nc_u32_e32 v3, 29, v3
	v_dual_cndmask_b32 v3, v20, v3 :: v_dual_cndmask_b32 v20, 0, v21
	s_delay_alu instid0(VALU_DEP_1) | instskip(SKIP_1) | instid1(VALU_DEP_3)
	v_lshlrev_b64_e32 v[20:21], v20, v[14:15]
	v_lshlrev_b32_e32 v21, 24, v14
	v_lshl_add_u32 v3, v3, 23, 0x3c000000
	s_delay_alu instid0(VALU_DEP_2) | instskip(NEXT) | instid1(VALU_DEP_4)
	v_and_b32_e32 v21, 0x80000000, v21
	v_lshlrev_b32_e32 v20, 20, v20
	s_delay_alu instid0(VALU_DEP_1) | instskip(NEXT) | instid1(VALU_DEP_1)
	v_and_b32_e32 v20, 0x700000, v20
	v_or3_b32 v3, v20, v21, v3
.LBB4_4802:                             ;   in Loop: Header=BB4_4032 Depth=2
	s_or_b32 exec_lo, exec_lo, s40
.LBB4_4803:                             ;   in Loop: Header=BB4_4032 Depth=2
	s_delay_alu instid0(SALU_CYCLE_1)
	s_or_b32 exec_lo, exec_lo, s29
.LBB4_4804:                             ;   in Loop: Header=BB4_4032 Depth=2
	s_delay_alu instid0(SALU_CYCLE_1) | instskip(NEXT) | instid1(VALU_DEP_1)
	s_or_b32 exec_lo, exec_lo, s7
	v_dual_add_f32 v86, v87, v3 :: v_dual_mov_b32 v21, v37
                                        ; implicit-def: $vgpr103
	s_mov_b32 s7, exec_lo
	s_delay_alu instid0(VALU_DEP_1) | instskip(SKIP_1) | instid1(VALU_DEP_2)
	v_and_b32_e32 v20, 0x7f800000, v86
	v_lshrrev_b32_e32 v3, 24, v86
	v_cmpx_ne_u64_e32 0x7f800000, v[20:21]
	s_xor_b32 s29, exec_lo, s7
	s_cbranch_execz .LBB4_4818
; %bb.4805:                             ;   in Loop: Header=BB4_4032 Depth=2
	v_and_b32_e32 v20, 0x7fffffff, v86
	v_mov_b32_e32 v21, v37
	v_and_b32_e32 v3, 0x80, v3
                                        ; implicit-def: $vgpr103
	s_mov_b32 s7, exec_lo
	s_delay_alu instid0(VALU_DEP_2)
	v_cmpx_gt_u64_e32 0x43e00001, v[20:21]
	s_xor_b32 s40, exec_lo, s7
	s_cbranch_execz .LBB4_4815
; %bb.4806:                             ;   in Loop: Header=BB4_4032 Depth=2
	v_mov_b32_e32 v103, 0
	s_mov_b32 s41, exec_lo
	v_cmpx_ne_u32_e32 0, v86
	s_cbranch_execz .LBB4_4814
; %bb.4807:                             ;   in Loop: Header=BB4_4032 Depth=2
	v_bfe_u32 v103, v86, 23, 8
	v_and_b32_e32 v86, 0x7fffff, v86
	s_delay_alu instid0(VALU_DEP_2) | instskip(SKIP_1) | instid1(VALU_DEP_3)
	v_sub_nc_u32_e32 v20, 0x79, v103
	v_cmp_gt_u32_e32 vcc_lo, 0x7a, v103
	v_or_b32_e32 v87, 0x800000, v86
	s_delay_alu instid0(VALU_DEP_3) | instskip(SKIP_1) | instid1(VALU_DEP_2)
	v_cndmask_b32_e32 v20, 0, v20, vcc_lo
	v_cmp_eq_u32_e32 vcc_lo, 0, v103
	v_cndmask_b32_e64 v113, v20, 0x78, vcc_lo
	s_delay_alu instid0(VALU_DEP_4) | instskip(NEXT) | instid1(VALU_DEP_2)
	v_dual_cndmask_b32 v86, v87, v86 :: v_dual_mov_b32 v87, v37
	v_dual_add_nc_u32 v20, 20, v113 :: v_dual_add_nc_u32 v96, 19, v113
	s_delay_alu instid0(VALU_DEP_1) | instskip(NEXT) | instid1(VALU_DEP_2)
	v_lshlrev_b64_e64 v[20:21], v20, -1
	v_lshlrev_b64_e64 v[96:97], v96, 1
	s_delay_alu instid0(VALU_DEP_2) | instskip(SKIP_1) | instid1(VALU_DEP_4)
	v_bfi_b32 v20, v20, 0, v86
	v_lshrrev_b64 v[86:87], v113, v[86:87]
	v_bfi_b32 v21, v21, 0, 0
	s_delay_alu instid0(VALU_DEP_1) | instskip(NEXT) | instid1(VALU_DEP_3)
	v_cmp_eq_u64_e64 s7, v[20:21], v[96:97]
	v_mov_b64_e32 v[96:97], v[86:87]
	s_and_saveexec_b32 s42, s7
; %bb.4808:                             ;   in Loop: Header=BB4_4032 Depth=2
	v_bfe_u32 v20, v86, 20, 1
	v_mov_b32_e32 v21, v37
	s_delay_alu instid0(VALU_DEP_1) | instskip(NEXT) | instid1(VALU_DEP_1)
	v_add_nc_u64_e32 v[20:21], v[86:87], v[20:21]
	v_add_nc_u64_e32 v[96:97], -1, v[20:21]
; %bb.4809:                             ;   in Loop: Header=BB4_4032 Depth=2
	s_or_b32 exec_lo, exec_lo, s42
	v_dual_mov_b32 v87, v37 :: v_dual_add_nc_u32 v20, 0xffffff81, v103
	v_lshrrev_b32_e32 v21, 23, v86
	s_mov_b32 s7, exec_lo
	s_delay_alu instid0(VALU_DEP_2) | instskip(NEXT) | instid1(VALU_DEP_1)
	v_cndmask_b32_e64 v20, v20, 0xffffff82, vcc_lo
	v_add3_u32 v97, v113, v20, v21
	v_and_b32_e32 v20, 0xfffff, v96
                                        ; implicit-def: $vgpr96
	s_delay_alu instid0(VALU_DEP_1) | instskip(NEXT) | instid1(VALU_DEP_1)
	v_dual_add_nc_u32 v103, 6, v97 :: v_dual_add_nc_u32 v86, v20, v86
	v_cmpx_ne_u32_e32 0, v103
	s_xor_b32 s7, exec_lo, s7
; %bb.4810:                             ;   in Loop: Header=BB4_4032 Depth=2
	s_delay_alu instid0(VALU_DEP_2) | instskip(SKIP_1) | instid1(VALU_DEP_1)
	v_cmp_lt_u64_e32 vcc_lo, 0xffffff, v[86:87]
	v_add_nc_u32_e32 v20, 7, v97
	v_cndmask_b32_e32 v96, v103, v20, vcc_lo
	v_cndmask_b32_e64 v20, 0, 1, vcc_lo
	s_delay_alu instid0(VALU_DEP_1)
	v_lshrrev_b64 v[86:87], v20, v[86:87]
; %bb.4811:                             ;   in Loop: Header=BB4_4032 Depth=2
	s_and_not1_saveexec_b32 s7, s7
; %bb.4812:                             ;   in Loop: Header=BB4_4032 Depth=2
	s_delay_alu instid0(VALU_DEP_1)
	v_bfe_u32 v96, v86, 23, 1
; %bb.4813:                             ;   in Loop: Header=BB4_4032 Depth=2
	s_or_b32 exec_lo, exec_lo, s7
	s_delay_alu instid0(VALU_DEP_2) | instskip(NEXT) | instid1(VALU_DEP_2)
	v_lshrrev_b64 v[20:21], 20, v[86:87]
	v_cmp_gt_i32_e32 vcc_lo, 16, v96
	v_min_i32_e32 v86, 15, v96
	v_cmp_eq_u32_e64 s7, 0, v96
	s_delay_alu instid0(VALU_DEP_2) | instskip(SKIP_1) | instid1(VALU_DEP_2)
	v_dual_cndmask_b32 v21, 0, v21 :: v_dual_lshlrev_b32 v86, 3, v86
	v_cndmask_b32_e32 v20, 7, v20, vcc_lo
	v_and_b32_e32 v86, 0xf8, v86
	s_delay_alu instid0(VALU_DEP_2) | instskip(NEXT) | instid1(VALU_DEP_2)
	v_cmp_eq_u64_e32 vcc_lo, 0, v[20:21]
	v_and_or_b32 v20, v20, 7, v86
	s_and_b32 s7, s7, vcc_lo
	s_delay_alu instid0(VALU_DEP_1) | instid1(SALU_CYCLE_1)
	v_cndmask_b32_e64 v20, v20, 0, s7
	s_delay_alu instid0(VALU_DEP_1)
	v_or_b32_e32 v103, v20, v3
.LBB4_4814:                             ;   in Loop: Header=BB4_4032 Depth=2
	s_or_b32 exec_lo, exec_lo, s41
                                        ; implicit-def: $vgpr3
.LBB4_4815:                             ;   in Loop: Header=BB4_4032 Depth=2
	s_and_not1_saveexec_b32 s7, s40
; %bb.4816:                             ;   in Loop: Header=BB4_4032 Depth=2
	v_or_b32_e32 v103, 0x7e, v3
; %bb.4817:                             ;   in Loop: Header=BB4_4032 Depth=2
	s_or_b32 exec_lo, exec_lo, s7
                                        ; implicit-def: $vgpr3
.LBB4_4818:                             ;   in Loop: Header=BB4_4032 Depth=2
	s_and_not1_saveexec_b32 s7, s29
; %bb.4819:                             ;   in Loop: Header=BB4_4032 Depth=2
	v_or_b32_e32 v103, 0x7f, v3
; %bb.4820:                             ;   in Loop: Header=BB4_4032 Depth=2
	s_or_b32 exec_lo, exec_lo, s7
	v_lshrrev_b16 v86, 8, v2
	v_dual_mov_b32 v3, 0 :: v_dual_mov_b32 v96, 0
	s_mov_b32 s7, exec_lo
	s_delay_alu instid0(VALU_DEP_2)
	v_cmpx_ne_u16_e32 0, v86
	s_cbranch_execz .LBB4_4828
; %bb.4821:                             ;   in Loop: Header=BB4_4032 Depth=2
	v_bfrev_b32_e32 v96, 1
	s_mov_b32 s29, exec_lo
	v_cmpx_ne_u16_e32 0x80, v86
	s_cbranch_execz .LBB4_4827
; %bb.4822:                             ;   in Loop: Header=BB4_4032 Depth=2
	v_and_b32_e32 v86, 0xffff, v86
	v_mov_b32_e32 v96, 0x7f800001
	s_mov_b32 s40, exec_lo
	s_delay_alu instid0(VALU_DEP_2) | instskip(NEXT) | instid1(VALU_DEP_1)
	v_and_b32_e32 v97, 0x7f, v86
	v_cmpx_ne_u32_e32 0x7f, v97
	s_cbranch_execz .LBB4_4826
; %bb.4823:                             ;   in Loop: Header=BB4_4032 Depth=2
	v_dual_mov_b32 v87, v37 :: v_dual_bitop2_b32 v86, 7, v86 bitop3:0x40
	v_lshrrev_b32_e32 v96, 3, v97
	s_mov_b32 s41, exec_lo
	v_cmpx_gt_u32_e32 8, v97
; %bb.4824:                             ;   in Loop: Header=BB4_4032 Depth=2
	s_delay_alu instid0(VALU_DEP_3) | instskip(NEXT) | instid1(VALU_DEP_1)
	v_clz_i32_u32_e32 v20, v86
	v_min_u32_e32 v96, 32, v20
	s_delay_alu instid0(VALU_DEP_1) | instskip(SKIP_1) | instid1(VALU_DEP_2)
	v_subrev_nc_u32_e32 v20, 28, v96
	v_sub_nc_u32_e32 v96, 29, v96
	v_lshlrev_b64_e32 v[20:21], v20, v[86:87]
	s_delay_alu instid0(VALU_DEP_1)
	v_and_b32_e32 v86, 7, v20
; %bb.4825:                             ;   in Loop: Header=BB4_4032 Depth=2
	s_or_b32 exec_lo, exec_lo, s41
	v_lshlrev_b32_e32 v2, 16, v2
	s_delay_alu instid0(VALU_DEP_2) | instskip(SKIP_1) | instid1(VALU_DEP_3)
	v_lshlrev_b32_e32 v20, 20, v86
	v_lshl_add_u32 v21, v96, 23, 0x3c000000
	v_and_b32_e32 v2, 0x80000000, v2
	s_delay_alu instid0(VALU_DEP_1)
	v_or3_b32 v96, v20, v2, v21
.LBB4_4826:                             ;   in Loop: Header=BB4_4032 Depth=2
	s_or_b32 exec_lo, exec_lo, s40
.LBB4_4827:                             ;   in Loop: Header=BB4_4032 Depth=2
	s_delay_alu instid0(SALU_CYCLE_1)
	s_or_b32 exec_lo, exec_lo, s29
.LBB4_4828:                             ;   in Loop: Header=BB4_4032 Depth=2
	s_delay_alu instid0(SALU_CYCLE_1) | instskip(SKIP_2) | instid1(VALU_DEP_1)
	s_or_b32 exec_lo, exec_lo, s7
	v_lshrrev_b16 v2, 8, v14
	s_mov_b32 s7, exec_lo
	v_cmpx_ne_u16_e32 0, v2
	s_cbranch_execz .LBB4_4836
; %bb.4829:                             ;   in Loop: Header=BB4_4032 Depth=2
	v_bfrev_b32_e32 v3, 1
	s_mov_b32 s29, exec_lo
	v_cmpx_ne_u16_e32 0x80, v2
	s_cbranch_execz .LBB4_4835
; %bb.4830:                             ;   in Loop: Header=BB4_4032 Depth=2
	v_and_b32_e32 v2, 0xffff, v2
	v_mov_b32_e32 v3, 0x7f800001
	s_mov_b32 s40, exec_lo
	s_delay_alu instid0(VALU_DEP_2) | instskip(NEXT) | instid1(VALU_DEP_1)
	v_and_b32_e32 v97, 0x7f, v2
	v_cmpx_ne_u32_e32 0x7f, v97
	s_cbranch_execz .LBB4_4834
; %bb.4831:                             ;   in Loop: Header=BB4_4032 Depth=2
	v_dual_mov_b32 v87, v37 :: v_dual_bitop2_b32 v86, 7, v2 bitop3:0x40
	v_lshrrev_b32_e32 v2, 3, v97
	s_mov_b32 s41, exec_lo
	v_cmpx_gt_u32_e32 8, v97
; %bb.4832:                             ;   in Loop: Header=BB4_4032 Depth=2
	s_delay_alu instid0(VALU_DEP_3) | instskip(NEXT) | instid1(VALU_DEP_1)
	v_clz_i32_u32_e32 v2, v86
	v_min_u32_e32 v2, 32, v2
	s_delay_alu instid0(VALU_DEP_1) | instskip(NEXT) | instid1(VALU_DEP_1)
	v_subrev_nc_u32_e32 v3, 28, v2
	v_lshlrev_b64_e32 v[20:21], v3, v[86:87]
	s_delay_alu instid0(VALU_DEP_1)
	v_dual_sub_nc_u32 v2, 29, v2 :: v_dual_bitop2_b32 v86, 7, v20 bitop3:0x40
; %bb.4833:                             ;   in Loop: Header=BB4_4032 Depth=2
	s_or_b32 exec_lo, exec_lo, s41
	v_lshlrev_b32_e32 v3, 16, v14
	s_delay_alu instid0(VALU_DEP_2) | instskip(NEXT) | instid1(VALU_DEP_3)
	v_lshlrev_b32_e32 v20, 20, v86
	v_lshl_add_u32 v2, v2, 23, 0x3c000000
	s_delay_alu instid0(VALU_DEP_3) | instskip(NEXT) | instid1(VALU_DEP_1)
	v_and_b32_e32 v3, 0x80000000, v3
	v_or3_b32 v3, v20, v3, v2
.LBB4_4834:                             ;   in Loop: Header=BB4_4032 Depth=2
	s_or_b32 exec_lo, exec_lo, s40
.LBB4_4835:                             ;   in Loop: Header=BB4_4032 Depth=2
	s_delay_alu instid0(SALU_CYCLE_1)
	s_or_b32 exec_lo, exec_lo, s29
.LBB4_4836:                             ;   in Loop: Header=BB4_4032 Depth=2
	s_delay_alu instid0(SALU_CYCLE_1) | instskip(NEXT) | instid1(VALU_DEP_1)
	s_or_b32 exec_lo, exec_lo, s7
	v_dual_add_f32 v3, v96, v3 :: v_dual_mov_b32 v21, v37
                                        ; implicit-def: $vgpr115
	s_mov_b32 s7, exec_lo
	s_delay_alu instid0(VALU_DEP_1) | instskip(SKIP_1) | instid1(VALU_DEP_2)
	v_and_b32_e32 v20, 0x7f800000, v3
	v_lshrrev_b32_e32 v2, 24, v3
	v_cmpx_ne_u64_e32 0x7f800000, v[20:21]
	s_xor_b32 s29, exec_lo, s7
	s_cbranch_execz .LBB4_4850
; %bb.4837:                             ;   in Loop: Header=BB4_4032 Depth=2
	v_and_b32_e32 v20, 0x7fffffff, v3
	v_mov_b32_e32 v21, v37
	v_and_b32_e32 v2, 0x80, v2
                                        ; implicit-def: $vgpr115
	s_mov_b32 s7, exec_lo
	s_delay_alu instid0(VALU_DEP_2)
	v_cmpx_gt_u64_e32 0x43e00001, v[20:21]
	s_xor_b32 s40, exec_lo, s7
	s_cbranch_execz .LBB4_4847
; %bb.4838:                             ;   in Loop: Header=BB4_4032 Depth=2
	v_mov_b32_e32 v115, 0
	s_mov_b32 s41, exec_lo
	v_cmpx_ne_u32_e32 0, v3
	s_cbranch_execz .LBB4_4846
; %bb.4839:                             ;   in Loop: Header=BB4_4032 Depth=2
	v_bfe_u32 v113, v3, 23, 8
	v_and_b32_e32 v3, 0x7fffff, v3
	s_delay_alu instid0(VALU_DEP_2) | instskip(SKIP_1) | instid1(VALU_DEP_3)
	v_dual_mov_b32 v87, v37 :: v_dual_sub_nc_u32 v20, 0x79, v113
	v_cmp_gt_u32_e32 vcc_lo, 0x7a, v113
	v_or_b32_e32 v86, 0x800000, v3
	s_delay_alu instid0(VALU_DEP_3) | instskip(SKIP_1) | instid1(VALU_DEP_2)
	v_cndmask_b32_e32 v20, 0, v20, vcc_lo
	v_cmp_eq_u32_e32 vcc_lo, 0, v113
	v_cndmask_b32_e64 v115, v20, 0x78, vcc_lo
	s_delay_alu instid0(VALU_DEP_4) | instskip(NEXT) | instid1(VALU_DEP_2)
	v_cndmask_b32_e32 v86, v86, v3, vcc_lo
	v_dual_add_nc_u32 v20, 20, v115 :: v_dual_add_nc_u32 v96, 19, v115
	s_delay_alu instid0(VALU_DEP_1) | instskip(NEXT) | instid1(VALU_DEP_2)
	v_lshlrev_b64_e64 v[20:21], v20, -1
	v_lshlrev_b64_e64 v[96:97], v96, 1
	s_delay_alu instid0(VALU_DEP_2) | instskip(SKIP_1) | instid1(VALU_DEP_4)
	v_bfi_b32 v20, v20, 0, v86
	v_lshrrev_b64 v[86:87], v115, v[86:87]
	v_bfi_b32 v21, v21, 0, 0
	s_delay_alu instid0(VALU_DEP_1) | instskip(NEXT) | instid1(VALU_DEP_3)
	v_cmp_eq_u64_e64 s7, v[20:21], v[96:97]
	v_mov_b64_e32 v[96:97], v[86:87]
	s_and_saveexec_b32 s42, s7
; %bb.4840:                             ;   in Loop: Header=BB4_4032 Depth=2
	v_bfe_u32 v20, v86, 20, 1
	v_mov_b32_e32 v21, v37
	s_delay_alu instid0(VALU_DEP_1) | instskip(NEXT) | instid1(VALU_DEP_1)
	v_add_nc_u64_e32 v[20:21], v[86:87], v[20:21]
	v_add_nc_u64_e32 v[96:97], -1, v[20:21]
; %bb.4841:                             ;   in Loop: Header=BB4_4032 Depth=2
	s_or_b32 exec_lo, exec_lo, s42
	v_add_nc_u32_e32 v3, 0xffffff81, v113
	v_lshrrev_b32_e32 v20, 23, v86
	s_mov_b32 s7, exec_lo
	v_mov_b32_e32 v87, v37
	s_delay_alu instid0(VALU_DEP_3) | instskip(NEXT) | instid1(VALU_DEP_1)
	v_cndmask_b32_e64 v3, v3, 0xffffff82, vcc_lo
	v_add3_u32 v97, v115, v3, v20
	v_and_b32_e32 v3, 0xfffff, v96
	s_delay_alu instid0(VALU_DEP_1) | instskip(NEXT) | instid1(VALU_DEP_1)
	v_dual_add_nc_u32 v96, 6, v97 :: v_dual_add_nc_u32 v86, v3, v86
                                        ; implicit-def: $vgpr3
	v_cmpx_ne_u32_e32 0, v96
	s_xor_b32 s7, exec_lo, s7
; %bb.4842:                             ;   in Loop: Header=BB4_4032 Depth=2
	s_delay_alu instid0(VALU_DEP_2) | instskip(SKIP_2) | instid1(VALU_DEP_2)
	v_cmp_lt_u64_e32 vcc_lo, 0xffffff, v[86:87]
	v_add_nc_u32_e32 v3, 7, v97
	v_cndmask_b32_e64 v20, 0, 1, vcc_lo
	v_cndmask_b32_e32 v3, v96, v3, vcc_lo
	s_delay_alu instid0(VALU_DEP_2)
	v_lshrrev_b64 v[86:87], v20, v[86:87]
; %bb.4843:                             ;   in Loop: Header=BB4_4032 Depth=2
	s_and_not1_saveexec_b32 s7, s7
; %bb.4844:                             ;   in Loop: Header=BB4_4032 Depth=2
	s_delay_alu instid0(VALU_DEP_1)
	v_bfe_u32 v3, v86, 23, 1
; %bb.4845:                             ;   in Loop: Header=BB4_4032 Depth=2
	s_or_b32 exec_lo, exec_lo, s7
	s_delay_alu instid0(VALU_DEP_2) | instskip(NEXT) | instid1(VALU_DEP_2)
	v_lshrrev_b64 v[20:21], 20, v[86:87]
	v_cmp_gt_i32_e32 vcc_lo, 16, v3
	v_min_i32_e32 v86, 15, v3
	v_cmp_eq_u32_e64 s7, 0, v3
	s_delay_alu instid0(VALU_DEP_2) | instskip(SKIP_1) | instid1(VALU_DEP_2)
	v_dual_cndmask_b32 v21, 0, v21 :: v_dual_lshlrev_b32 v86, 3, v86
	v_cndmask_b32_e32 v20, 7, v20, vcc_lo
	v_and_b32_e32 v86, 0xf8, v86
	s_delay_alu instid0(VALU_DEP_2) | instskip(NEXT) | instid1(VALU_DEP_2)
	v_cmp_eq_u64_e32 vcc_lo, 0, v[20:21]
	v_and_or_b32 v3, v20, 7, v86
	s_and_b32 s7, s7, vcc_lo
	s_delay_alu instid0(VALU_DEP_1) | instid1(SALU_CYCLE_1)
	v_cndmask_b32_e64 v3, v3, 0, s7
	s_delay_alu instid0(VALU_DEP_1)
	v_or_b32_e32 v115, v3, v2
.LBB4_4846:                             ;   in Loop: Header=BB4_4032 Depth=2
	s_or_b32 exec_lo, exec_lo, s41
                                        ; implicit-def: $vgpr2
.LBB4_4847:                             ;   in Loop: Header=BB4_4032 Depth=2
	s_and_not1_saveexec_b32 s7, s40
; %bb.4848:                             ;   in Loop: Header=BB4_4032 Depth=2
	v_or_b32_e32 v115, 0x7e, v2
; %bb.4849:                             ;   in Loop: Header=BB4_4032 Depth=2
	s_or_b32 exec_lo, exec_lo, s7
                                        ; implicit-def: $vgpr2
.LBB4_4850:                             ;   in Loop: Header=BB4_4032 Depth=2
	s_and_not1_saveexec_b32 s7, s29
; %bb.4851:                             ;   in Loop: Header=BB4_4032 Depth=2
	v_or_b32_e32 v115, 0x7f, v2
; %bb.4852:                             ;   in Loop: Header=BB4_4032 Depth=2
	s_or_b32 exec_lo, exec_lo, s7
	v_dual_lshrrev_b32 v96, 16, v36 :: v_dual_mov_b32 v2, 0
	v_mov_b32_e32 v3, 0
	s_mov_b32 s7, exec_lo
	s_delay_alu instid0(VALU_DEP_2) | instskip(NEXT) | instid1(VALU_DEP_1)
	v_and_b32_e32 v86, 0xff, v96
	v_cmpx_ne_u16_e32 0, v86
	s_cbranch_execz .LBB4_4860
; %bb.4853:                             ;   in Loop: Header=BB4_4032 Depth=2
	v_bfrev_b32_e32 v3, 1
	s_mov_b32 s29, exec_lo
	v_cmpx_ne_u16_e32 0x80, v86
	s_cbranch_execz .LBB4_4859
; %bb.4854:                             ;   in Loop: Header=BB4_4032 Depth=2
	v_bfe_u32 v97, v36, 16, 7
	v_mov_b32_e32 v3, 0x7f800001
	s_mov_b32 s40, exec_lo
	s_delay_alu instid0(VALU_DEP_2)
	v_cmpx_ne_u32_e32 0x7f, v97
	s_cbranch_execz .LBB4_4858
; %bb.4855:                             ;   in Loop: Header=BB4_4032 Depth=2
	v_dual_mov_b32 v87, v37 :: v_dual_bitop2_b32 v86, 7, v96 bitop3:0x40
	v_lshrrev_b32_e32 v3, 3, v97
	s_mov_b32 s41, exec_lo
	v_cmpx_gt_u32_e32 8, v97
; %bb.4856:                             ;   in Loop: Header=BB4_4032 Depth=2
	s_delay_alu instid0(VALU_DEP_3) | instskip(NEXT) | instid1(VALU_DEP_1)
	v_clz_i32_u32_e32 v3, v86
	v_min_u32_e32 v3, 32, v3
	s_delay_alu instid0(VALU_DEP_1) | instskip(NEXT) | instid1(VALU_DEP_1)
	v_subrev_nc_u32_e32 v20, 28, v3
	v_lshlrev_b64_e32 v[20:21], v20, v[86:87]
	s_delay_alu instid0(VALU_DEP_1)
	v_dual_sub_nc_u32 v3, 29, v3 :: v_dual_bitop2_b32 v86, 7, v20 bitop3:0x40
; %bb.4857:                             ;   in Loop: Header=BB4_4032 Depth=2
	s_or_b32 exec_lo, exec_lo, s41
	s_delay_alu instid0(VALU_DEP_1) | instskip(NEXT) | instid1(VALU_DEP_2)
	v_dual_lshlrev_b32 v20, 24, v96 :: v_dual_lshlrev_b32 v21, 20, v86
	v_lshl_add_u32 v3, v3, 23, 0x3c000000
	s_delay_alu instid0(VALU_DEP_2) | instskip(NEXT) | instid1(VALU_DEP_1)
	v_and_b32_e32 v20, 0x80000000, v20
	v_or3_b32 v3, v21, v20, v3
.LBB4_4858:                             ;   in Loop: Header=BB4_4032 Depth=2
	s_or_b32 exec_lo, exec_lo, s40
.LBB4_4859:                             ;   in Loop: Header=BB4_4032 Depth=2
	s_delay_alu instid0(SALU_CYCLE_1)
	s_or_b32 exec_lo, exec_lo, s29
.LBB4_4860:                             ;   in Loop: Header=BB4_4032 Depth=2
	s_delay_alu instid0(SALU_CYCLE_1) | instskip(SKIP_2) | instid1(VALU_DEP_1)
	s_or_b32 exec_lo, exec_lo, s7
	v_lshrrev_b32_e32 v86, 16, v14
	s_mov_b32 s7, exec_lo
	v_and_b32_e32 v87, 0xff, v86
	s_delay_alu instid0(VALU_DEP_1)
	v_cmpx_ne_u16_e32 0, v87
	s_cbranch_execz .LBB4_4868
; %bb.4861:                             ;   in Loop: Header=BB4_4032 Depth=2
	v_bfrev_b32_e32 v2, 1
	s_mov_b32 s29, exec_lo
	v_cmpx_ne_u16_e32 0x80, v87
	s_cbranch_execz .LBB4_4867
; %bb.4862:                             ;   in Loop: Header=BB4_4032 Depth=2
	v_bfe_u32 v96, v14, 16, 7
	v_mov_b32_e32 v2, 0x7f800001
	s_mov_b32 s40, exec_lo
	s_delay_alu instid0(VALU_DEP_2)
	v_cmpx_ne_u32_e32 0x7f, v96
	s_cbranch_execz .LBB4_4866
; %bb.4863:                             ;   in Loop: Header=BB4_4032 Depth=2
	v_dual_mov_b32 v87, v37 :: v_dual_bitop2_b32 v86, 7, v86 bitop3:0x40
	v_lshrrev_b32_e32 v2, 3, v96
	s_mov_b32 s41, exec_lo
	v_cmpx_gt_u32_e32 8, v96
; %bb.4864:                             ;   in Loop: Header=BB4_4032 Depth=2
	s_delay_alu instid0(VALU_DEP_3) | instskip(NEXT) | instid1(VALU_DEP_1)
	v_clz_i32_u32_e32 v2, v86
	v_min_u32_e32 v2, 32, v2
	s_delay_alu instid0(VALU_DEP_1) | instskip(NEXT) | instid1(VALU_DEP_1)
	v_subrev_nc_u32_e32 v20, 28, v2
	v_lshlrev_b64_e32 v[20:21], v20, v[86:87]
	s_delay_alu instid0(VALU_DEP_1)
	v_dual_sub_nc_u32 v2, 29, v2 :: v_dual_bitop2_b32 v86, 7, v20 bitop3:0x40
; %bb.4865:                             ;   in Loop: Header=BB4_4032 Depth=2
	s_or_b32 exec_lo, exec_lo, s41
	v_lshlrev_b32_e32 v20, 8, v14
	s_delay_alu instid0(VALU_DEP_2) | instskip(NEXT) | instid1(VALU_DEP_3)
	v_lshlrev_b32_e32 v21, 20, v86
	v_lshl_add_u32 v2, v2, 23, 0x3c000000
	s_delay_alu instid0(VALU_DEP_3) | instskip(NEXT) | instid1(VALU_DEP_1)
	v_and_b32_e32 v20, 0x80000000, v20
	v_or3_b32 v2, v21, v20, v2
.LBB4_4866:                             ;   in Loop: Header=BB4_4032 Depth=2
	s_or_b32 exec_lo, exec_lo, s40
.LBB4_4867:                             ;   in Loop: Header=BB4_4032 Depth=2
	s_delay_alu instid0(SALU_CYCLE_1)
	s_or_b32 exec_lo, exec_lo, s29
.LBB4_4868:                             ;   in Loop: Header=BB4_4032 Depth=2
	s_delay_alu instid0(SALU_CYCLE_1) | instskip(NEXT) | instid1(VALU_DEP_1)
	s_or_b32 exec_lo, exec_lo, s7
	v_dual_add_f32 v3, v3, v2 :: v_dual_mov_b32 v21, v37
                                        ; implicit-def: $vgpr118
	s_mov_b32 s7, exec_lo
	s_delay_alu instid0(VALU_DEP_1) | instskip(SKIP_1) | instid1(VALU_DEP_2)
	v_and_b32_e32 v20, 0x7f800000, v3
	v_lshrrev_b32_e32 v2, 24, v3
	v_cmpx_ne_u64_e32 0x7f800000, v[20:21]
	s_xor_b32 s29, exec_lo, s7
	s_cbranch_execz .LBB4_4882
; %bb.4869:                             ;   in Loop: Header=BB4_4032 Depth=2
	v_and_b32_e32 v20, 0x7fffffff, v3
	v_mov_b32_e32 v21, v37
	v_and_b32_e32 v2, 0x80, v2
                                        ; implicit-def: $vgpr118
	s_mov_b32 s7, exec_lo
	s_delay_alu instid0(VALU_DEP_2)
	v_cmpx_gt_u64_e32 0x43e00001, v[20:21]
	s_xor_b32 s40, exec_lo, s7
	s_cbranch_execz .LBB4_4879
; %bb.4870:                             ;   in Loop: Header=BB4_4032 Depth=2
	v_mov_b32_e32 v118, 0
	s_mov_b32 s41, exec_lo
	v_cmpx_ne_u32_e32 0, v3
	s_cbranch_execz .LBB4_4878
; %bb.4871:                             ;   in Loop: Header=BB4_4032 Depth=2
	v_bfe_u32 v113, v3, 23, 8
	v_and_b32_e32 v3, 0x7fffff, v3
	s_delay_alu instid0(VALU_DEP_2) | instskip(SKIP_1) | instid1(VALU_DEP_3)
	v_dual_mov_b32 v87, v37 :: v_dual_sub_nc_u32 v20, 0x79, v113
	v_cmp_gt_u32_e32 vcc_lo, 0x7a, v113
	v_or_b32_e32 v86, 0x800000, v3
	s_delay_alu instid0(VALU_DEP_3) | instskip(SKIP_1) | instid1(VALU_DEP_2)
	v_cndmask_b32_e32 v20, 0, v20, vcc_lo
	v_cmp_eq_u32_e32 vcc_lo, 0, v113
	v_cndmask_b32_e64 v118, v20, 0x78, vcc_lo
	s_delay_alu instid0(VALU_DEP_1) | instskip(SKIP_1) | instid1(VALU_DEP_2)
	v_dual_cndmask_b32 v86, v86, v3, vcc_lo :: v_dual_add_nc_u32 v20, 20, v118
	v_add_nc_u32_e32 v96, 19, v118
	v_lshlrev_b64_e64 v[20:21], v20, -1
	s_delay_alu instid0(VALU_DEP_2) | instskip(NEXT) | instid1(VALU_DEP_2)
	v_lshlrev_b64_e64 v[96:97], v96, 1
	v_bfi_b32 v20, v20, 0, v86
	v_lshrrev_b64 v[86:87], v118, v[86:87]
	s_delay_alu instid0(VALU_DEP_4) | instskip(NEXT) | instid1(VALU_DEP_1)
	v_bfi_b32 v21, v21, 0, 0
	v_cmp_eq_u64_e64 s7, v[20:21], v[96:97]
	s_delay_alu instid0(VALU_DEP_3)
	v_mov_b64_e32 v[96:97], v[86:87]
	s_and_saveexec_b32 s42, s7
; %bb.4872:                             ;   in Loop: Header=BB4_4032 Depth=2
	v_bfe_u32 v20, v86, 20, 1
	v_mov_b32_e32 v21, v37
	s_delay_alu instid0(VALU_DEP_1) | instskip(NEXT) | instid1(VALU_DEP_1)
	v_add_nc_u64_e32 v[20:21], v[86:87], v[20:21]
	v_add_nc_u64_e32 v[96:97], -1, v[20:21]
; %bb.4873:                             ;   in Loop: Header=BB4_4032 Depth=2
	s_or_b32 exec_lo, exec_lo, s42
	v_add_nc_u32_e32 v3, 0xffffff81, v113
	v_lshrrev_b32_e32 v20, 23, v86
	s_mov_b32 s7, exec_lo
	v_mov_b32_e32 v87, v37
	s_delay_alu instid0(VALU_DEP_3) | instskip(NEXT) | instid1(VALU_DEP_1)
	v_cndmask_b32_e64 v3, v3, 0xffffff82, vcc_lo
	v_add3_u32 v97, v118, v3, v20
	v_and_b32_e32 v3, 0xfffff, v96
	s_delay_alu instid0(VALU_DEP_1) | instskip(NEXT) | instid1(VALU_DEP_1)
	v_dual_add_nc_u32 v96, 6, v97 :: v_dual_add_nc_u32 v86, v3, v86
                                        ; implicit-def: $vgpr3
	v_cmpx_ne_u32_e32 0, v96
	s_xor_b32 s7, exec_lo, s7
; %bb.4874:                             ;   in Loop: Header=BB4_4032 Depth=2
	s_delay_alu instid0(VALU_DEP_2) | instskip(SKIP_2) | instid1(VALU_DEP_2)
	v_cmp_lt_u64_e32 vcc_lo, 0xffffff, v[86:87]
	v_add_nc_u32_e32 v3, 7, v97
	v_cndmask_b32_e64 v20, 0, 1, vcc_lo
	v_cndmask_b32_e32 v3, v96, v3, vcc_lo
	s_delay_alu instid0(VALU_DEP_2)
	v_lshrrev_b64 v[86:87], v20, v[86:87]
; %bb.4875:                             ;   in Loop: Header=BB4_4032 Depth=2
	s_and_not1_saveexec_b32 s7, s7
; %bb.4876:                             ;   in Loop: Header=BB4_4032 Depth=2
	s_delay_alu instid0(VALU_DEP_1)
	v_bfe_u32 v3, v86, 23, 1
; %bb.4877:                             ;   in Loop: Header=BB4_4032 Depth=2
	s_or_b32 exec_lo, exec_lo, s7
	s_delay_alu instid0(VALU_DEP_2) | instskip(NEXT) | instid1(VALU_DEP_2)
	v_lshrrev_b64 v[20:21], 20, v[86:87]
	v_cmp_gt_i32_e32 vcc_lo, 16, v3
	v_min_i32_e32 v86, 15, v3
	v_cmp_eq_u32_e64 s7, 0, v3
	s_delay_alu instid0(VALU_DEP_2) | instskip(SKIP_1) | instid1(VALU_DEP_2)
	v_dual_cndmask_b32 v21, 0, v21 :: v_dual_lshlrev_b32 v86, 3, v86
	v_cndmask_b32_e32 v20, 7, v20, vcc_lo
	v_and_b32_e32 v86, 0xf8, v86
	s_delay_alu instid0(VALU_DEP_2) | instskip(NEXT) | instid1(VALU_DEP_2)
	v_cmp_eq_u64_e32 vcc_lo, 0, v[20:21]
	v_and_or_b32 v3, v20, 7, v86
	s_and_b32 s7, s7, vcc_lo
	s_delay_alu instid0(VALU_DEP_1) | instid1(SALU_CYCLE_1)
	v_cndmask_b32_e64 v3, v3, 0, s7
	s_delay_alu instid0(VALU_DEP_1)
	v_or_b32_e32 v118, v3, v2
.LBB4_4878:                             ;   in Loop: Header=BB4_4032 Depth=2
	s_or_b32 exec_lo, exec_lo, s41
                                        ; implicit-def: $vgpr2
.LBB4_4879:                             ;   in Loop: Header=BB4_4032 Depth=2
	s_and_not1_saveexec_b32 s7, s40
; %bb.4880:                             ;   in Loop: Header=BB4_4032 Depth=2
	v_or_b32_e32 v118, 0x7e, v2
; %bb.4881:                             ;   in Loop: Header=BB4_4032 Depth=2
	s_or_b32 exec_lo, exec_lo, s7
                                        ; implicit-def: $vgpr2
.LBB4_4882:                             ;   in Loop: Header=BB4_4032 Depth=2
	s_and_not1_saveexec_b32 s7, s29
; %bb.4883:                             ;   in Loop: Header=BB4_4032 Depth=2
	v_or_b32_e32 v118, 0x7f, v2
; %bb.4884:                             ;   in Loop: Header=BB4_4032 Depth=2
	s_or_b32 exec_lo, exec_lo, s7
	v_dual_mov_b32 v2, 0 :: v_dual_mov_b32 v3, 0
	s_mov_b32 s7, exec_lo
	v_cmpx_lt_u32_e32 0xffffff, v36
	s_cbranch_execz .LBB4_4892
; %bb.4885:                             ;   in Loop: Header=BB4_4032 Depth=2
	v_lshrrev_b32_e32 v86, 24, v36
	v_bfrev_b32_e32 v3, 1
	s_mov_b32 s29, exec_lo
	s_delay_alu instid0(VALU_DEP_2)
	v_cmpx_ne_u32_e32 0x80, v86
	s_cbranch_execz .LBB4_4891
; %bb.4886:                             ;   in Loop: Header=BB4_4032 Depth=2
	v_bfe_u32 v87, v36, 24, 7
	v_mov_b32_e32 v3, 0x7f800001
	s_mov_b32 s40, exec_lo
	s_delay_alu instid0(VALU_DEP_2)
	v_cmpx_ne_u32_e32 0x7f, v87
	s_cbranch_execz .LBB4_4890
; %bb.4887:                             ;   in Loop: Header=BB4_4032 Depth=2
	v_dual_lshrrev_b32 v3, 3, v87 :: v_dual_bitop2_b32 v36, 7, v86 bitop3:0x40
	s_mov_b32 s41, exec_lo
	v_cmpx_gt_u32_e32 8, v87
; %bb.4888:                             ;   in Loop: Header=BB4_4032 Depth=2
	s_delay_alu instid0(VALU_DEP_2) | instskip(NEXT) | instid1(VALU_DEP_1)
	v_clz_i32_u32_e32 v3, v36
	v_min_u32_e32 v3, 32, v3
	s_delay_alu instid0(VALU_DEP_1) | instskip(NEXT) | instid1(VALU_DEP_1)
	v_subrev_nc_u32_e32 v20, 28, v3
	v_lshlrev_b64_e32 v[20:21], v20, v[36:37]
	s_delay_alu instid0(VALU_DEP_1)
	v_dual_sub_nc_u32 v3, 29, v3 :: v_dual_bitop2_b32 v36, 7, v20 bitop3:0x40
; %bb.4889:                             ;   in Loop: Header=BB4_4032 Depth=2
	s_or_b32 exec_lo, exec_lo, s41
	s_delay_alu instid0(VALU_DEP_1) | instskip(NEXT) | instid1(VALU_DEP_2)
	v_dual_lshlrev_b32 v20, 24, v86 :: v_dual_lshlrev_b32 v21, 20, v36
	v_lshl_add_u32 v3, v3, 23, 0x3c000000
	s_delay_alu instid0(VALU_DEP_2) | instskip(NEXT) | instid1(VALU_DEP_1)
	v_and_b32_e32 v20, 0x80000000, v20
	v_or3_b32 v3, v21, v20, v3
.LBB4_4890:                             ;   in Loop: Header=BB4_4032 Depth=2
	s_or_b32 exec_lo, exec_lo, s40
.LBB4_4891:                             ;   in Loop: Header=BB4_4032 Depth=2
	s_delay_alu instid0(SALU_CYCLE_1)
	s_or_b32 exec_lo, exec_lo, s29
.LBB4_4892:                             ;   in Loop: Header=BB4_4032 Depth=2
	s_delay_alu instid0(SALU_CYCLE_1) | instskip(NEXT) | instid1(SALU_CYCLE_1)
	s_or_b32 exec_lo, exec_lo, s7
	s_mov_b32 s7, exec_lo
	v_cmpx_lt_u32_e32 0xffffff, v14
	s_cbranch_execz .LBB4_4900
; %bb.4893:                             ;   in Loop: Header=BB4_4032 Depth=2
	v_lshrrev_b32_e32 v86, 24, v14
	v_bfrev_b32_e32 v2, 1
	s_mov_b32 s29, exec_lo
	s_delay_alu instid0(VALU_DEP_2)
	v_cmpx_ne_u32_e32 0x80, v86
	s_cbranch_execz .LBB4_4899
; %bb.4894:                             ;   in Loop: Header=BB4_4032 Depth=2
	v_bfe_u32 v87, v14, 24, 7
	v_mov_b32_e32 v2, 0x7f800001
	s_mov_b32 s40, exec_lo
	s_delay_alu instid0(VALU_DEP_2)
	v_cmpx_ne_u32_e32 0x7f, v87
	s_cbranch_execz .LBB4_4898
; %bb.4895:                             ;   in Loop: Header=BB4_4032 Depth=2
	v_dual_lshrrev_b32 v2, 3, v87 :: v_dual_bitop2_b32 v36, 7, v86 bitop3:0x40
	s_mov_b32 s41, exec_lo
	v_cmpx_gt_u32_e32 8, v87
; %bb.4896:                             ;   in Loop: Header=BB4_4032 Depth=2
	s_delay_alu instid0(VALU_DEP_2) | instskip(NEXT) | instid1(VALU_DEP_1)
	v_clz_i32_u32_e32 v2, v36
	v_min_u32_e32 v2, 32, v2
	s_delay_alu instid0(VALU_DEP_1) | instskip(NEXT) | instid1(VALU_DEP_1)
	v_subrev_nc_u32_e32 v20, 28, v2
	v_lshlrev_b64_e32 v[20:21], v20, v[36:37]
	s_delay_alu instid0(VALU_DEP_1)
	v_dual_sub_nc_u32 v2, 29, v2 :: v_dual_bitop2_b32 v36, 7, v20 bitop3:0x40
; %bb.4897:                             ;   in Loop: Header=BB4_4032 Depth=2
	s_or_b32 exec_lo, exec_lo, s41
	s_delay_alu instid0(VALU_DEP_1) | instskip(NEXT) | instid1(VALU_DEP_2)
	v_dual_lshlrev_b32 v20, 24, v86 :: v_dual_lshlrev_b32 v21, 20, v36
	v_lshl_add_u32 v2, v2, 23, 0x3c000000
	s_delay_alu instid0(VALU_DEP_2) | instskip(NEXT) | instid1(VALU_DEP_1)
	v_and_b32_e32 v20, 0x80000000, v20
	v_or3_b32 v2, v21, v20, v2
.LBB4_4898:                             ;   in Loop: Header=BB4_4032 Depth=2
	s_or_b32 exec_lo, exec_lo, s40
.LBB4_4899:                             ;   in Loop: Header=BB4_4032 Depth=2
	s_delay_alu instid0(SALU_CYCLE_1)
	s_or_b32 exec_lo, exec_lo, s29
.LBB4_4900:                             ;   in Loop: Header=BB4_4032 Depth=2
	s_delay_alu instid0(SALU_CYCLE_1) | instskip(NEXT) | instid1(VALU_DEP_1)
	s_or_b32 exec_lo, exec_lo, s7
	v_add_f32_e32 v3, v3, v2
                                        ; implicit-def: $vgpr43
	s_mov_b32 s7, exec_lo
	s_delay_alu instid0(VALU_DEP_1) | instskip(SKIP_1) | instid1(VALU_DEP_2)
	v_and_b32_e32 v36, 0x7f800000, v3
	v_lshrrev_b32_e32 v2, 24, v3
	v_cmpx_ne_u64_e32 0x7f800000, v[36:37]
	s_xor_b32 s29, exec_lo, s7
	s_cbranch_execz .LBB4_4914
; %bb.4901:                             ;   in Loop: Header=BB4_4032 Depth=2
	v_and_b32_e32 v36, 0x7fffffff, v3
	v_and_b32_e32 v2, 0x80, v2
                                        ; implicit-def: $vgpr43
	s_mov_b32 s7, exec_lo
	s_delay_alu instid0(VALU_DEP_2)
	v_cmpx_gt_u64_e32 0x43e00001, v[36:37]
	s_xor_b32 s40, exec_lo, s7
	s_cbranch_execz .LBB4_4911
; %bb.4902:                             ;   in Loop: Header=BB4_4032 Depth=2
	v_mov_b32_e32 v43, 0
	s_mov_b32 s41, exec_lo
	v_cmpx_ne_u32_e32 0, v3
	s_cbranch_execz .LBB4_4910
; %bb.4903:                             ;   in Loop: Header=BB4_4032 Depth=2
	v_bfe_u32 v113, v3, 23, 8
	v_and_b32_e32 v3, 0x7fffff, v3
	s_delay_alu instid0(VALU_DEP_2) | instskip(SKIP_1) | instid1(VALU_DEP_3)
	v_sub_nc_u32_e32 v20, 0x79, v113
	v_cmp_gt_u32_e32 vcc_lo, 0x7a, v113
	v_or_b32_e32 v36, 0x800000, v3
	s_delay_alu instid0(VALU_DEP_3) | instskip(SKIP_1) | instid1(VALU_DEP_2)
	v_cndmask_b32_e32 v20, 0, v20, vcc_lo
	v_cmp_eq_u32_e32 vcc_lo, 0, v113
	v_cndmask_b32_e64 v43, v20, 0x78, vcc_lo
	s_delay_alu instid0(VALU_DEP_4) | instskip(NEXT) | instid1(VALU_DEP_2)
	v_cndmask_b32_e32 v36, v36, v3, vcc_lo
	v_dual_add_nc_u32 v20, 20, v43 :: v_dual_add_nc_u32 v86, 19, v43
	s_delay_alu instid0(VALU_DEP_1) | instskip(NEXT) | instid1(VALU_DEP_2)
	v_lshlrev_b64_e64 v[20:21], v20, -1
	v_lshlrev_b64_e64 v[96:97], v86, 1
	s_delay_alu instid0(VALU_DEP_4) | instskip(NEXT) | instid1(VALU_DEP_3)
	v_lshrrev_b64 v[86:87], v43, v[36:37]
	v_bfi_b32 v21, v21, 0, 0
	s_delay_alu instid0(VALU_DEP_4) | instskip(NEXT) | instid1(VALU_DEP_1)
	v_bfi_b32 v20, v20, 0, v36
	v_cmp_eq_u64_e64 s7, v[20:21], v[96:97]
	s_delay_alu instid0(VALU_DEP_4)
	v_mov_b64_e32 v[96:97], v[86:87]
	s_and_saveexec_b32 s42, s7
; %bb.4904:                             ;   in Loop: Header=BB4_4032 Depth=2
	v_bfe_u32 v36, v86, 20, 1
	s_delay_alu instid0(VALU_DEP_1) | instskip(NEXT) | instid1(VALU_DEP_1)
	v_add_nc_u64_e32 v[20:21], v[86:87], v[36:37]
	v_add_nc_u64_e32 v[96:97], -1, v[20:21]
; %bb.4905:                             ;   in Loop: Header=BB4_4032 Depth=2
	s_or_b32 exec_lo, exec_lo, s42
	v_add_nc_u32_e32 v3, 0xffffff81, v113
	v_lshrrev_b32_e32 v20, 23, v86
	s_mov_b32 s7, exec_lo
	s_delay_alu instid0(VALU_DEP_2) | instskip(NEXT) | instid1(VALU_DEP_1)
	v_cndmask_b32_e64 v3, v3, 0xffffff82, vcc_lo
	v_add3_u32 v97, v43, v3, v20
	v_and_b32_e32 v3, 0xfffff, v96
	s_delay_alu instid0(VALU_DEP_1) | instskip(NEXT) | instid1(VALU_DEP_1)
	v_dual_add_nc_u32 v96, 6, v97 :: v_dual_add_nc_u32 v36, v3, v86
                                        ; implicit-def: $vgpr86_vgpr87
                                        ; implicit-def: $vgpr3
	v_cmpx_ne_u32_e32 0, v96
	s_xor_b32 s7, exec_lo, s7
; %bb.4906:                             ;   in Loop: Header=BB4_4032 Depth=2
	s_delay_alu instid0(VALU_DEP_2) | instskip(SKIP_2) | instid1(VALU_DEP_2)
	v_cmp_lt_u64_e32 vcc_lo, 0xffffff, v[36:37]
	v_add_nc_u32_e32 v3, 7, v97
	v_cndmask_b32_e64 v20, 0, 1, vcc_lo
	v_cndmask_b32_e32 v3, v96, v3, vcc_lo
	s_delay_alu instid0(VALU_DEP_2)
	v_lshrrev_b64 v[86:87], v20, v[36:37]
; %bb.4907:                             ;   in Loop: Header=BB4_4032 Depth=2
	s_and_not1_saveexec_b32 s7, s7
; %bb.4908:                             ;   in Loop: Header=BB4_4032 Depth=2
	v_mov_b64_e32 v[86:87], v[36:37]
	v_bfe_u32 v3, v36, 23, 1
; %bb.4909:                             ;   in Loop: Header=BB4_4032 Depth=2
	s_or_b32 exec_lo, exec_lo, s7
	s_delay_alu instid0(VALU_DEP_2) | instskip(NEXT) | instid1(VALU_DEP_2)
	v_lshrrev_b64 v[20:21], 20, v[86:87]
	v_cmp_gt_i32_e32 vcc_lo, 16, v3
	v_min_i32_e32 v36, 15, v3
	v_cmp_eq_u32_e64 s7, 0, v3
	s_delay_alu instid0(VALU_DEP_2) | instskip(SKIP_1) | instid1(VALU_DEP_2)
	v_dual_cndmask_b32 v21, 0, v21 :: v_dual_lshlrev_b32 v36, 3, v36
	v_cndmask_b32_e32 v20, 7, v20, vcc_lo
	v_and_b32_e32 v36, 0xf8, v36
	s_delay_alu instid0(VALU_DEP_2) | instskip(NEXT) | instid1(VALU_DEP_2)
	v_cmp_eq_u64_e32 vcc_lo, 0, v[20:21]
	v_and_or_b32 v3, v20, 7, v36
	s_and_b32 s7, s7, vcc_lo
	s_delay_alu instid0(VALU_DEP_1) | instid1(SALU_CYCLE_1)
	v_cndmask_b32_e64 v3, v3, 0, s7
	s_delay_alu instid0(VALU_DEP_1)
	v_or_b32_e32 v43, v3, v2
.LBB4_4910:                             ;   in Loop: Header=BB4_4032 Depth=2
	s_or_b32 exec_lo, exec_lo, s41
                                        ; implicit-def: $vgpr2
.LBB4_4911:                             ;   in Loop: Header=BB4_4032 Depth=2
	s_and_not1_saveexec_b32 s7, s40
; %bb.4912:                             ;   in Loop: Header=BB4_4032 Depth=2
	v_or_b32_e32 v43, 0x7e, v2
; %bb.4913:                             ;   in Loop: Header=BB4_4032 Depth=2
	s_or_b32 exec_lo, exec_lo, s7
                                        ; implicit-def: $vgpr2
.LBB4_4914:                             ;   in Loop: Header=BB4_4032 Depth=2
	s_and_not1_saveexec_b32 s7, s29
; %bb.4915:                             ;   in Loop: Header=BB4_4032 Depth=2
	v_or_b32_e32 v43, 0x7f, v2
; %bb.4916:                             ;   in Loop: Header=BB4_4032 Depth=2
	s_or_b32 exec_lo, exec_lo, s7
	v_lshl_or_b32 v2, v72, 8, v57
	v_dual_lshlrev_b32 v3, 16, v79 :: v_dual_lshlrev_b32 v20, 24, v88
	v_mov_b32_e32 v86, 0
	s_mov_b32 s7, exec_lo
	s_delay_alu instid0(VALU_DEP_2)
	v_or3_b32 v36, v3, v20, v2
	v_mov_b32_e32 v3, 0
	v_cmpx_ne_u32_e32 0, v57
	s_cbranch_execz .LBB4_4922
; %bb.4917:                             ;   in Loop: Header=BB4_4032 Depth=2
	v_bfrev_b32_e32 v3, 1
	s_mov_b32 s29, exec_lo
	v_cmpx_ne_u32_e32 0x80, v57
	s_cbranch_execz .LBB4_4921
; %bb.4918:                             ;   in Loop: Header=BB4_4032 Depth=2
	v_and_b32_e32 v87, 0x7f, v57
	v_mov_b32_e32 v3, 0x7f800001
	s_mov_b32 s40, exec_lo
	s_delay_alu instid0(VALU_DEP_2)
	v_cmpx_ne_u32_e32 0x7f, v87
	s_cbranch_execz .LBB4_4920
; %bb.4919:                             ;   in Loop: Header=BB4_4032 Depth=2
	v_dual_lshrrev_b32 v20, 3, v87 :: v_dual_bitop2_b32 v3, 7, v57 bitop3:0x40
	v_cmp_gt_u32_e32 vcc_lo, 8, v87
	s_delay_alu instid0(VALU_DEP_2) | instskip(NEXT) | instid1(VALU_DEP_1)
	v_clz_i32_u32_e32 v3, v3
	v_min_u32_e32 v3, 32, v3
	s_delay_alu instid0(VALU_DEP_1) | instskip(SKIP_1) | instid1(VALU_DEP_1)
	v_subrev_nc_u32_e32 v21, 28, v3
	v_sub_nc_u32_e32 v3, 29, v3
	v_dual_cndmask_b32 v3, v20, v3 :: v_dual_cndmask_b32 v20, 0, v21
	s_delay_alu instid0(VALU_DEP_1) | instskip(SKIP_1) | instid1(VALU_DEP_3)
	v_lshlrev_b64_e32 v[20:21], v20, v[36:37]
	v_lshlrev_b32_e32 v21, 24, v36
	v_lshl_add_u32 v3, v3, 23, 0x3c000000
	s_delay_alu instid0(VALU_DEP_2) | instskip(NEXT) | instid1(VALU_DEP_4)
	v_and_b32_e32 v21, 0x80000000, v21
	v_lshlrev_b32_e32 v20, 20, v20
	s_delay_alu instid0(VALU_DEP_1) | instskip(NEXT) | instid1(VALU_DEP_1)
	v_and_b32_e32 v20, 0x700000, v20
	v_or3_b32 v3, v20, v21, v3
.LBB4_4920:                             ;   in Loop: Header=BB4_4032 Depth=2
	s_or_b32 exec_lo, exec_lo, s40
.LBB4_4921:                             ;   in Loop: Header=BB4_4032 Depth=2
	s_delay_alu instid0(SALU_CYCLE_1)
	s_or_b32 exec_lo, exec_lo, s29
.LBB4_4922:                             ;   in Loop: Header=BB4_4032 Depth=2
	s_delay_alu instid0(SALU_CYCLE_1) | instskip(SKIP_2) | instid1(VALU_DEP_1)
	s_or_b32 exec_lo, exec_lo, s7
	v_and_b32_e32 v87, 0xff, v15
	s_mov_b32 s7, exec_lo
	v_cmpx_ne_u16_e32 0, v87
	s_cbranch_execz .LBB4_4928
; %bb.4923:                             ;   in Loop: Header=BB4_4032 Depth=2
	v_bfrev_b32_e32 v86, 1
	s_mov_b32 s29, exec_lo
	v_cmpx_ne_u16_e32 0x80, v87
	s_cbranch_execz .LBB4_4927
; %bb.4924:                             ;   in Loop: Header=BB4_4032 Depth=2
	v_and_b32_e32 v87, 0x7f, v15
	v_mov_b32_e32 v86, 0x7f800001
	s_mov_b32 s40, exec_lo
	s_delay_alu instid0(VALU_DEP_2)
	v_cmpx_ne_u32_e32 0x7f, v87
	s_cbranch_execz .LBB4_4926
; %bb.4925:                             ;   in Loop: Header=BB4_4032 Depth=2
	v_dual_mov_b32 v21, v37 :: v_dual_bitop2_b32 v20, 7, v15 bitop3:0x40
	v_cmp_gt_u32_e32 vcc_lo, 8, v87
	s_delay_alu instid0(VALU_DEP_2) | instskip(NEXT) | instid1(VALU_DEP_1)
	v_clz_i32_u32_e32 v20, v20
	v_min_u32_e32 v20, 32, v20
	s_delay_alu instid0(VALU_DEP_1) | instskip(SKIP_1) | instid1(VALU_DEP_2)
	v_dual_lshrrev_b32 v86, 3, v87 :: v_dual_sub_nc_u32 v96, 29, v20
	v_subrev_nc_u32_e32 v87, 28, v20
	v_dual_mov_b32 v20, v15 :: v_dual_cndmask_b32 v96, v86, v96, vcc_lo
	s_delay_alu instid0(VALU_DEP_2) | instskip(NEXT) | instid1(VALU_DEP_1)
	v_cndmask_b32_e32 v86, 0, v87, vcc_lo
	v_lshlrev_b64_e32 v[86:87], v86, v[20:21]
	v_lshlrev_b32_e32 v20, 24, v20
	s_delay_alu instid0(VALU_DEP_1) | instskip(NEXT) | instid1(VALU_DEP_3)
	v_and_b32_e32 v20, 0x80000000, v20
	v_lshlrev_b32_e32 v21, 20, v86
	v_lshl_add_u32 v86, v96, 23, 0x3c000000
	s_delay_alu instid0(VALU_DEP_2) | instskip(NEXT) | instid1(VALU_DEP_1)
	v_and_b32_e32 v21, 0x700000, v21
	v_or3_b32 v86, v21, v20, v86
.LBB4_4926:                             ;   in Loop: Header=BB4_4032 Depth=2
	s_or_b32 exec_lo, exec_lo, s40
.LBB4_4927:                             ;   in Loop: Header=BB4_4032 Depth=2
	s_delay_alu instid0(SALU_CYCLE_1)
	s_or_b32 exec_lo, exec_lo, s29
.LBB4_4928:                             ;   in Loop: Header=BB4_4032 Depth=2
	s_delay_alu instid0(SALU_CYCLE_1) | instskip(NEXT) | instid1(VALU_DEP_1)
	s_or_b32 exec_lo, exec_lo, s7
	v_dual_add_f32 v86, v3, v86 :: v_dual_mov_b32 v21, v37
                                        ; implicit-def: $vgpr57
	s_mov_b32 s7, exec_lo
	s_delay_alu instid0(VALU_DEP_1) | instskip(SKIP_1) | instid1(VALU_DEP_2)
	v_and_b32_e32 v20, 0x7f800000, v86
	v_lshrrev_b32_e32 v3, 24, v86
	v_cmpx_ne_u64_e32 0x7f800000, v[20:21]
	s_xor_b32 s29, exec_lo, s7
	s_cbranch_execz .LBB4_4942
; %bb.4929:                             ;   in Loop: Header=BB4_4032 Depth=2
	v_and_b32_e32 v20, 0x7fffffff, v86
	v_mov_b32_e32 v21, v37
	v_and_b32_e32 v3, 0x80, v3
                                        ; implicit-def: $vgpr57
	s_mov_b32 s7, exec_lo
	s_delay_alu instid0(VALU_DEP_2)
	v_cmpx_gt_u64_e32 0x43e00001, v[20:21]
	s_xor_b32 s40, exec_lo, s7
	s_cbranch_execz .LBB4_4939
; %bb.4930:                             ;   in Loop: Header=BB4_4032 Depth=2
	v_mov_b32_e32 v57, 0
	s_mov_b32 s41, exec_lo
	v_cmpx_ne_u32_e32 0, v86
	s_cbranch_execz .LBB4_4938
; %bb.4931:                             ;   in Loop: Header=BB4_4032 Depth=2
	v_bfe_u32 v113, v86, 23, 8
	v_and_b32_e32 v86, 0x7fffff, v86
	s_delay_alu instid0(VALU_DEP_2) | instskip(SKIP_1) | instid1(VALU_DEP_3)
	v_sub_nc_u32_e32 v20, 0x79, v113
	v_cmp_gt_u32_e32 vcc_lo, 0x7a, v113
	v_or_b32_e32 v87, 0x800000, v86
	s_delay_alu instid0(VALU_DEP_3) | instskip(SKIP_1) | instid1(VALU_DEP_2)
	v_cndmask_b32_e32 v20, 0, v20, vcc_lo
	v_cmp_eq_u32_e32 vcc_lo, 0, v113
	v_cndmask_b32_e64 v57, v20, 0x78, vcc_lo
	s_delay_alu instid0(VALU_DEP_4) | instskip(NEXT) | instid1(VALU_DEP_2)
	v_dual_cndmask_b32 v86, v87, v86 :: v_dual_mov_b32 v87, v37
	v_dual_add_nc_u32 v20, 20, v57 :: v_dual_add_nc_u32 v96, 19, v57
	s_delay_alu instid0(VALU_DEP_1) | instskip(NEXT) | instid1(VALU_DEP_2)
	v_lshlrev_b64_e64 v[20:21], v20, -1
	v_lshlrev_b64_e64 v[96:97], v96, 1
	s_delay_alu instid0(VALU_DEP_2) | instskip(SKIP_1) | instid1(VALU_DEP_4)
	v_bfi_b32 v20, v20, 0, v86
	v_lshrrev_b64 v[86:87], v57, v[86:87]
	v_bfi_b32 v21, v21, 0, 0
	s_delay_alu instid0(VALU_DEP_1) | instskip(NEXT) | instid1(VALU_DEP_3)
	v_cmp_eq_u64_e64 s7, v[20:21], v[96:97]
	v_mov_b64_e32 v[96:97], v[86:87]
	s_and_saveexec_b32 s42, s7
; %bb.4932:                             ;   in Loop: Header=BB4_4032 Depth=2
	v_bfe_u32 v20, v86, 20, 1
	v_mov_b32_e32 v21, v37
	s_delay_alu instid0(VALU_DEP_1) | instskip(NEXT) | instid1(VALU_DEP_1)
	v_add_nc_u64_e32 v[20:21], v[86:87], v[20:21]
	v_add_nc_u64_e32 v[96:97], -1, v[20:21]
; %bb.4933:                             ;   in Loop: Header=BB4_4032 Depth=2
	s_or_b32 exec_lo, exec_lo, s42
	v_dual_mov_b32 v87, v37 :: v_dual_add_nc_u32 v20, 0xffffff81, v113
	v_lshrrev_b32_e32 v21, 23, v86
	s_mov_b32 s7, exec_lo
	s_delay_alu instid0(VALU_DEP_2) | instskip(NEXT) | instid1(VALU_DEP_1)
	v_cndmask_b32_e64 v20, v20, 0xffffff82, vcc_lo
	v_add3_u32 v97, v57, v20, v21
	v_and_b32_e32 v20, 0xfffff, v96
                                        ; implicit-def: $vgpr96
	s_delay_alu instid0(VALU_DEP_1) | instskip(NEXT) | instid1(VALU_DEP_1)
	v_dual_add_nc_u32 v113, 6, v97 :: v_dual_add_nc_u32 v86, v20, v86
	v_cmpx_ne_u32_e32 0, v113
	s_xor_b32 s7, exec_lo, s7
; %bb.4934:                             ;   in Loop: Header=BB4_4032 Depth=2
	s_delay_alu instid0(VALU_DEP_2) | instskip(SKIP_1) | instid1(VALU_DEP_1)
	v_cmp_lt_u64_e32 vcc_lo, 0xffffff, v[86:87]
	v_add_nc_u32_e32 v20, 7, v97
	v_cndmask_b32_e32 v96, v113, v20, vcc_lo
	v_cndmask_b32_e64 v20, 0, 1, vcc_lo
	s_delay_alu instid0(VALU_DEP_1)
	v_lshrrev_b64 v[86:87], v20, v[86:87]
; %bb.4935:                             ;   in Loop: Header=BB4_4032 Depth=2
	s_and_not1_saveexec_b32 s7, s7
; %bb.4936:                             ;   in Loop: Header=BB4_4032 Depth=2
	s_delay_alu instid0(VALU_DEP_1)
	v_bfe_u32 v96, v86, 23, 1
; %bb.4937:                             ;   in Loop: Header=BB4_4032 Depth=2
	s_or_b32 exec_lo, exec_lo, s7
	s_delay_alu instid0(VALU_DEP_2) | instskip(NEXT) | instid1(VALU_DEP_2)
	v_lshrrev_b64 v[20:21], 20, v[86:87]
	v_cmp_gt_i32_e32 vcc_lo, 16, v96
	v_min_i32_e32 v86, 15, v96
	v_cmp_eq_u32_e64 s7, 0, v96
	s_delay_alu instid0(VALU_DEP_2) | instskip(SKIP_1) | instid1(VALU_DEP_2)
	v_dual_cndmask_b32 v21, 0, v21 :: v_dual_lshlrev_b32 v86, 3, v86
	v_cndmask_b32_e32 v20, 7, v20, vcc_lo
	v_and_b32_e32 v86, 0xf8, v86
	s_delay_alu instid0(VALU_DEP_2) | instskip(NEXT) | instid1(VALU_DEP_2)
	v_cmp_eq_u64_e32 vcc_lo, 0, v[20:21]
	v_and_or_b32 v20, v20, 7, v86
	s_and_b32 s7, s7, vcc_lo
	s_delay_alu instid0(VALU_DEP_1) | instid1(SALU_CYCLE_1)
	v_cndmask_b32_e64 v20, v20, 0, s7
	s_delay_alu instid0(VALU_DEP_1)
	v_or_b32_e32 v57, v20, v3
.LBB4_4938:                             ;   in Loop: Header=BB4_4032 Depth=2
	s_or_b32 exec_lo, exec_lo, s41
                                        ; implicit-def: $vgpr3
.LBB4_4939:                             ;   in Loop: Header=BB4_4032 Depth=2
	s_and_not1_saveexec_b32 s7, s40
; %bb.4940:                             ;   in Loop: Header=BB4_4032 Depth=2
	v_or_b32_e32 v57, 0x7e, v3
; %bb.4941:                             ;   in Loop: Header=BB4_4032 Depth=2
	s_or_b32 exec_lo, exec_lo, s7
                                        ; implicit-def: $vgpr3
.LBB4_4942:                             ;   in Loop: Header=BB4_4032 Depth=2
	s_and_not1_saveexec_b32 s7, s29
; %bb.4943:                             ;   in Loop: Header=BB4_4032 Depth=2
	v_or_b32_e32 v57, 0x7f, v3
; %bb.4944:                             ;   in Loop: Header=BB4_4032 Depth=2
	s_or_b32 exec_lo, exec_lo, s7
	v_lshrrev_b16 v86, 8, v2
	v_dual_mov_b32 v3, 0 :: v_dual_mov_b32 v96, 0
	s_mov_b32 s7, exec_lo
	s_delay_alu instid0(VALU_DEP_2)
	v_cmpx_ne_u16_e32 0, v86
	s_cbranch_execz .LBB4_4952
; %bb.4945:                             ;   in Loop: Header=BB4_4032 Depth=2
	v_bfrev_b32_e32 v96, 1
	s_mov_b32 s29, exec_lo
	v_cmpx_ne_u16_e32 0x80, v86
	s_cbranch_execz .LBB4_4951
; %bb.4946:                             ;   in Loop: Header=BB4_4032 Depth=2
	v_and_b32_e32 v86, 0xffff, v86
	v_mov_b32_e32 v96, 0x7f800001
	s_mov_b32 s40, exec_lo
	s_delay_alu instid0(VALU_DEP_2) | instskip(NEXT) | instid1(VALU_DEP_1)
	v_and_b32_e32 v97, 0x7f, v86
	v_cmpx_ne_u32_e32 0x7f, v97
	s_cbranch_execz .LBB4_4950
; %bb.4947:                             ;   in Loop: Header=BB4_4032 Depth=2
	v_dual_mov_b32 v87, v37 :: v_dual_bitop2_b32 v86, 7, v86 bitop3:0x40
	v_lshrrev_b32_e32 v96, 3, v97
	s_mov_b32 s41, exec_lo
	v_cmpx_gt_u32_e32 8, v97
; %bb.4948:                             ;   in Loop: Header=BB4_4032 Depth=2
	s_delay_alu instid0(VALU_DEP_3) | instskip(NEXT) | instid1(VALU_DEP_1)
	v_clz_i32_u32_e32 v20, v86
	v_min_u32_e32 v96, 32, v20
	s_delay_alu instid0(VALU_DEP_1) | instskip(SKIP_1) | instid1(VALU_DEP_2)
	v_subrev_nc_u32_e32 v20, 28, v96
	v_sub_nc_u32_e32 v96, 29, v96
	v_lshlrev_b64_e32 v[20:21], v20, v[86:87]
	s_delay_alu instid0(VALU_DEP_1)
	v_and_b32_e32 v86, 7, v20
; %bb.4949:                             ;   in Loop: Header=BB4_4032 Depth=2
	s_or_b32 exec_lo, exec_lo, s41
	v_lshlrev_b32_e32 v2, 16, v2
	s_delay_alu instid0(VALU_DEP_2) | instskip(SKIP_1) | instid1(VALU_DEP_3)
	v_lshlrev_b32_e32 v20, 20, v86
	v_lshl_add_u32 v21, v96, 23, 0x3c000000
	v_and_b32_e32 v2, 0x80000000, v2
	s_delay_alu instid0(VALU_DEP_1)
	v_or3_b32 v96, v20, v2, v21
.LBB4_4950:                             ;   in Loop: Header=BB4_4032 Depth=2
	s_or_b32 exec_lo, exec_lo, s40
.LBB4_4951:                             ;   in Loop: Header=BB4_4032 Depth=2
	s_delay_alu instid0(SALU_CYCLE_1)
	s_or_b32 exec_lo, exec_lo, s29
.LBB4_4952:                             ;   in Loop: Header=BB4_4032 Depth=2
	s_delay_alu instid0(SALU_CYCLE_1) | instskip(SKIP_2) | instid1(VALU_DEP_1)
	s_or_b32 exec_lo, exec_lo, s7
	v_lshrrev_b16 v2, 8, v15
	s_mov_b32 s7, exec_lo
	v_cmpx_ne_u16_e32 0, v2
	s_cbranch_execz .LBB4_4960
; %bb.4953:                             ;   in Loop: Header=BB4_4032 Depth=2
	v_bfrev_b32_e32 v3, 1
	s_mov_b32 s29, exec_lo
	v_cmpx_ne_u16_e32 0x80, v2
	s_cbranch_execz .LBB4_4959
; %bb.4954:                             ;   in Loop: Header=BB4_4032 Depth=2
	v_and_b32_e32 v2, 0xffff, v2
	v_mov_b32_e32 v3, 0x7f800001
	s_mov_b32 s40, exec_lo
	s_delay_alu instid0(VALU_DEP_2) | instskip(NEXT) | instid1(VALU_DEP_1)
	v_and_b32_e32 v97, 0x7f, v2
	v_cmpx_ne_u32_e32 0x7f, v97
	s_cbranch_execz .LBB4_4958
; %bb.4955:                             ;   in Loop: Header=BB4_4032 Depth=2
	v_dual_mov_b32 v87, v37 :: v_dual_bitop2_b32 v86, 7, v2 bitop3:0x40
	v_lshrrev_b32_e32 v2, 3, v97
	s_mov_b32 s41, exec_lo
	v_cmpx_gt_u32_e32 8, v97
; %bb.4956:                             ;   in Loop: Header=BB4_4032 Depth=2
	s_delay_alu instid0(VALU_DEP_3) | instskip(NEXT) | instid1(VALU_DEP_1)
	v_clz_i32_u32_e32 v2, v86
	v_min_u32_e32 v2, 32, v2
	s_delay_alu instid0(VALU_DEP_1) | instskip(NEXT) | instid1(VALU_DEP_1)
	v_subrev_nc_u32_e32 v3, 28, v2
	v_lshlrev_b64_e32 v[20:21], v3, v[86:87]
	s_delay_alu instid0(VALU_DEP_1)
	v_dual_sub_nc_u32 v2, 29, v2 :: v_dual_bitop2_b32 v86, 7, v20 bitop3:0x40
; %bb.4957:                             ;   in Loop: Header=BB4_4032 Depth=2
	s_or_b32 exec_lo, exec_lo, s41
	s_delay_alu instid0(VALU_DEP_1) | instskip(NEXT) | instid1(VALU_DEP_2)
	v_dual_lshlrev_b32 v3, 16, v15 :: v_dual_lshlrev_b32 v20, 20, v86
	v_lshl_add_u32 v2, v2, 23, 0x3c000000
	s_delay_alu instid0(VALU_DEP_2) | instskip(NEXT) | instid1(VALU_DEP_1)
	v_and_b32_e32 v3, 0x80000000, v3
	v_or3_b32 v3, v20, v3, v2
.LBB4_4958:                             ;   in Loop: Header=BB4_4032 Depth=2
	s_or_b32 exec_lo, exec_lo, s40
.LBB4_4959:                             ;   in Loop: Header=BB4_4032 Depth=2
	s_delay_alu instid0(SALU_CYCLE_1)
	s_or_b32 exec_lo, exec_lo, s29
.LBB4_4960:                             ;   in Loop: Header=BB4_4032 Depth=2
	s_delay_alu instid0(SALU_CYCLE_1) | instskip(NEXT) | instid1(VALU_DEP_1)
	s_or_b32 exec_lo, exec_lo, s7
	v_dual_add_f32 v3, v96, v3 :: v_dual_mov_b32 v21, v37
                                        ; implicit-def: $vgpr72
	s_mov_b32 s7, exec_lo
	s_delay_alu instid0(VALU_DEP_1) | instskip(SKIP_1) | instid1(VALU_DEP_2)
	v_and_b32_e32 v20, 0x7f800000, v3
	v_lshrrev_b32_e32 v2, 24, v3
	v_cmpx_ne_u64_e32 0x7f800000, v[20:21]
	s_xor_b32 s29, exec_lo, s7
	s_cbranch_execz .LBB4_4974
; %bb.4961:                             ;   in Loop: Header=BB4_4032 Depth=2
	v_and_b32_e32 v20, 0x7fffffff, v3
	v_mov_b32_e32 v21, v37
	v_and_b32_e32 v2, 0x80, v2
                                        ; implicit-def: $vgpr72
	s_mov_b32 s7, exec_lo
	s_delay_alu instid0(VALU_DEP_2)
	v_cmpx_gt_u64_e32 0x43e00001, v[20:21]
	s_xor_b32 s40, exec_lo, s7
	s_cbranch_execz .LBB4_4971
; %bb.4962:                             ;   in Loop: Header=BB4_4032 Depth=2
	v_mov_b32_e32 v72, 0
	s_mov_b32 s41, exec_lo
	v_cmpx_ne_u32_e32 0, v3
	s_cbranch_execz .LBB4_4970
; %bb.4963:                             ;   in Loop: Header=BB4_4032 Depth=2
	v_bfe_u32 v113, v3, 23, 8
	v_and_b32_e32 v3, 0x7fffff, v3
	s_delay_alu instid0(VALU_DEP_2) | instskip(SKIP_1) | instid1(VALU_DEP_3)
	v_dual_mov_b32 v87, v37 :: v_dual_sub_nc_u32 v20, 0x79, v113
	v_cmp_gt_u32_e32 vcc_lo, 0x7a, v113
	v_or_b32_e32 v86, 0x800000, v3
	s_delay_alu instid0(VALU_DEP_3) | instskip(SKIP_1) | instid1(VALU_DEP_3)
	v_cndmask_b32_e32 v20, 0, v20, vcc_lo
	v_cmp_eq_u32_e32 vcc_lo, 0, v113
	v_cndmask_b32_e32 v86, v86, v3, vcc_lo
	s_delay_alu instid0(VALU_DEP_3) | instskip(NEXT) | instid1(VALU_DEP_1)
	v_cndmask_b32_e64 v72, v20, 0x78, vcc_lo
	v_dual_add_nc_u32 v20, 20, v72 :: v_dual_add_nc_u32 v96, 19, v72
	s_delay_alu instid0(VALU_DEP_1) | instskip(NEXT) | instid1(VALU_DEP_2)
	v_lshlrev_b64_e64 v[20:21], v20, -1
	v_lshlrev_b64_e64 v[96:97], v96, 1
	s_delay_alu instid0(VALU_DEP_2) | instskip(SKIP_1) | instid1(VALU_DEP_4)
	v_bfi_b32 v20, v20, 0, v86
	v_lshrrev_b64 v[86:87], v72, v[86:87]
	v_bfi_b32 v21, v21, 0, 0
	s_delay_alu instid0(VALU_DEP_1) | instskip(NEXT) | instid1(VALU_DEP_3)
	v_cmp_eq_u64_e64 s7, v[20:21], v[96:97]
	v_mov_b64_e32 v[96:97], v[86:87]
	s_and_saveexec_b32 s42, s7
; %bb.4964:                             ;   in Loop: Header=BB4_4032 Depth=2
	v_bfe_u32 v20, v86, 20, 1
	v_mov_b32_e32 v21, v37
	s_delay_alu instid0(VALU_DEP_1) | instskip(NEXT) | instid1(VALU_DEP_1)
	v_add_nc_u64_e32 v[20:21], v[86:87], v[20:21]
	v_add_nc_u64_e32 v[96:97], -1, v[20:21]
; %bb.4965:                             ;   in Loop: Header=BB4_4032 Depth=2
	s_or_b32 exec_lo, exec_lo, s42
	v_add_nc_u32_e32 v3, 0xffffff81, v113
	v_lshrrev_b32_e32 v20, 23, v86
	s_mov_b32 s7, exec_lo
	v_mov_b32_e32 v87, v37
	s_delay_alu instid0(VALU_DEP_3) | instskip(NEXT) | instid1(VALU_DEP_1)
	v_cndmask_b32_e64 v3, v3, 0xffffff82, vcc_lo
	v_add3_u32 v97, v72, v3, v20
	v_and_b32_e32 v3, 0xfffff, v96
	s_delay_alu instid0(VALU_DEP_1) | instskip(NEXT) | instid1(VALU_DEP_1)
	v_dual_add_nc_u32 v96, 6, v97 :: v_dual_add_nc_u32 v86, v3, v86
                                        ; implicit-def: $vgpr3
	v_cmpx_ne_u32_e32 0, v96
	s_xor_b32 s7, exec_lo, s7
; %bb.4966:                             ;   in Loop: Header=BB4_4032 Depth=2
	s_delay_alu instid0(VALU_DEP_2) | instskip(SKIP_2) | instid1(VALU_DEP_2)
	v_cmp_lt_u64_e32 vcc_lo, 0xffffff, v[86:87]
	v_add_nc_u32_e32 v3, 7, v97
	v_cndmask_b32_e64 v20, 0, 1, vcc_lo
	v_cndmask_b32_e32 v3, v96, v3, vcc_lo
	s_delay_alu instid0(VALU_DEP_2)
	v_lshrrev_b64 v[86:87], v20, v[86:87]
; %bb.4967:                             ;   in Loop: Header=BB4_4032 Depth=2
	s_and_not1_saveexec_b32 s7, s7
; %bb.4968:                             ;   in Loop: Header=BB4_4032 Depth=2
	s_delay_alu instid0(VALU_DEP_1)
	v_bfe_u32 v3, v86, 23, 1
; %bb.4969:                             ;   in Loop: Header=BB4_4032 Depth=2
	s_or_b32 exec_lo, exec_lo, s7
	s_delay_alu instid0(VALU_DEP_2) | instskip(NEXT) | instid1(VALU_DEP_2)
	v_lshrrev_b64 v[20:21], 20, v[86:87]
	v_cmp_gt_i32_e32 vcc_lo, 16, v3
	v_min_i32_e32 v86, 15, v3
	v_cmp_eq_u32_e64 s7, 0, v3
	s_delay_alu instid0(VALU_DEP_2) | instskip(SKIP_1) | instid1(VALU_DEP_2)
	v_dual_cndmask_b32 v21, 0, v21 :: v_dual_lshlrev_b32 v86, 3, v86
	v_cndmask_b32_e32 v20, 7, v20, vcc_lo
	v_and_b32_e32 v86, 0xf8, v86
	s_delay_alu instid0(VALU_DEP_2) | instskip(NEXT) | instid1(VALU_DEP_2)
	v_cmp_eq_u64_e32 vcc_lo, 0, v[20:21]
	v_and_or_b32 v3, v20, 7, v86
	s_and_b32 s7, s7, vcc_lo
	s_delay_alu instid0(VALU_DEP_1) | instid1(SALU_CYCLE_1)
	v_cndmask_b32_e64 v3, v3, 0, s7
	s_delay_alu instid0(VALU_DEP_1)
	v_or_b32_e32 v72, v3, v2
.LBB4_4970:                             ;   in Loop: Header=BB4_4032 Depth=2
	s_or_b32 exec_lo, exec_lo, s41
                                        ; implicit-def: $vgpr2
.LBB4_4971:                             ;   in Loop: Header=BB4_4032 Depth=2
	s_and_not1_saveexec_b32 s7, s40
; %bb.4972:                             ;   in Loop: Header=BB4_4032 Depth=2
	v_or_b32_e32 v72, 0x7e, v2
; %bb.4973:                             ;   in Loop: Header=BB4_4032 Depth=2
	s_or_b32 exec_lo, exec_lo, s7
                                        ; implicit-def: $vgpr2
.LBB4_4974:                             ;   in Loop: Header=BB4_4032 Depth=2
	s_and_not1_saveexec_b32 s7, s29
; %bb.4975:                             ;   in Loop: Header=BB4_4032 Depth=2
	v_or_b32_e32 v72, 0x7f, v2
; %bb.4976:                             ;   in Loop: Header=BB4_4032 Depth=2
	s_or_b32 exec_lo, exec_lo, s7
	v_dual_lshrrev_b32 v96, 16, v36 :: v_dual_mov_b32 v2, 0
	v_mov_b32_e32 v3, 0
	s_mov_b32 s7, exec_lo
	s_delay_alu instid0(VALU_DEP_2) | instskip(NEXT) | instid1(VALU_DEP_1)
	v_and_b32_e32 v86, 0xff, v96
	v_cmpx_ne_u16_e32 0, v86
	s_cbranch_execz .LBB4_4984
; %bb.4977:                             ;   in Loop: Header=BB4_4032 Depth=2
	v_bfrev_b32_e32 v3, 1
	s_mov_b32 s29, exec_lo
	v_cmpx_ne_u16_e32 0x80, v86
	s_cbranch_execz .LBB4_4983
; %bb.4978:                             ;   in Loop: Header=BB4_4032 Depth=2
	v_bfe_u32 v97, v36, 16, 7
	v_mov_b32_e32 v3, 0x7f800001
	s_mov_b32 s40, exec_lo
	s_delay_alu instid0(VALU_DEP_2)
	v_cmpx_ne_u32_e32 0x7f, v97
	s_cbranch_execz .LBB4_4982
; %bb.4979:                             ;   in Loop: Header=BB4_4032 Depth=2
	v_dual_mov_b32 v87, v37 :: v_dual_bitop2_b32 v86, 7, v96 bitop3:0x40
	v_lshrrev_b32_e32 v3, 3, v97
	s_mov_b32 s41, exec_lo
	v_cmpx_gt_u32_e32 8, v97
; %bb.4980:                             ;   in Loop: Header=BB4_4032 Depth=2
	s_delay_alu instid0(VALU_DEP_3) | instskip(NEXT) | instid1(VALU_DEP_1)
	v_clz_i32_u32_e32 v3, v86
	v_min_u32_e32 v3, 32, v3
	s_delay_alu instid0(VALU_DEP_1) | instskip(NEXT) | instid1(VALU_DEP_1)
	v_subrev_nc_u32_e32 v20, 28, v3
	v_lshlrev_b64_e32 v[20:21], v20, v[86:87]
	s_delay_alu instid0(VALU_DEP_1)
	v_dual_sub_nc_u32 v3, 29, v3 :: v_dual_bitop2_b32 v86, 7, v20 bitop3:0x40
; %bb.4981:                             ;   in Loop: Header=BB4_4032 Depth=2
	s_or_b32 exec_lo, exec_lo, s41
	s_delay_alu instid0(VALU_DEP_1) | instskip(NEXT) | instid1(VALU_DEP_2)
	v_dual_lshlrev_b32 v20, 24, v96 :: v_dual_lshlrev_b32 v21, 20, v86
	v_lshl_add_u32 v3, v3, 23, 0x3c000000
	s_delay_alu instid0(VALU_DEP_2) | instskip(NEXT) | instid1(VALU_DEP_1)
	v_and_b32_e32 v20, 0x80000000, v20
	v_or3_b32 v3, v21, v20, v3
.LBB4_4982:                             ;   in Loop: Header=BB4_4032 Depth=2
	s_or_b32 exec_lo, exec_lo, s40
.LBB4_4983:                             ;   in Loop: Header=BB4_4032 Depth=2
	s_delay_alu instid0(SALU_CYCLE_1)
	s_or_b32 exec_lo, exec_lo, s29
.LBB4_4984:                             ;   in Loop: Header=BB4_4032 Depth=2
	s_delay_alu instid0(SALU_CYCLE_1) | instskip(SKIP_2) | instid1(VALU_DEP_1)
	s_or_b32 exec_lo, exec_lo, s7
	v_lshrrev_b32_e32 v86, 16, v15
	s_mov_b32 s7, exec_lo
	v_and_b32_e32 v87, 0xff, v86
	s_delay_alu instid0(VALU_DEP_1)
	v_cmpx_ne_u16_e32 0, v87
	s_cbranch_execz .LBB4_4992
; %bb.4985:                             ;   in Loop: Header=BB4_4032 Depth=2
	v_bfrev_b32_e32 v2, 1
	s_mov_b32 s29, exec_lo
	v_cmpx_ne_u16_e32 0x80, v87
	s_cbranch_execz .LBB4_4991
; %bb.4986:                             ;   in Loop: Header=BB4_4032 Depth=2
	v_bfe_u32 v96, v15, 16, 7
	v_mov_b32_e32 v2, 0x7f800001
	s_mov_b32 s40, exec_lo
	s_delay_alu instid0(VALU_DEP_2)
	v_cmpx_ne_u32_e32 0x7f, v96
	s_cbranch_execz .LBB4_4990
; %bb.4987:                             ;   in Loop: Header=BB4_4032 Depth=2
	v_dual_mov_b32 v87, v37 :: v_dual_bitop2_b32 v86, 7, v86 bitop3:0x40
	v_lshrrev_b32_e32 v2, 3, v96
	s_mov_b32 s41, exec_lo
	v_cmpx_gt_u32_e32 8, v96
; %bb.4988:                             ;   in Loop: Header=BB4_4032 Depth=2
	s_delay_alu instid0(VALU_DEP_3) | instskip(NEXT) | instid1(VALU_DEP_1)
	v_clz_i32_u32_e32 v2, v86
	v_min_u32_e32 v2, 32, v2
	s_delay_alu instid0(VALU_DEP_1) | instskip(NEXT) | instid1(VALU_DEP_1)
	v_subrev_nc_u32_e32 v20, 28, v2
	v_lshlrev_b64_e32 v[20:21], v20, v[86:87]
	s_delay_alu instid0(VALU_DEP_1)
	v_dual_sub_nc_u32 v2, 29, v2 :: v_dual_bitop2_b32 v86, 7, v20 bitop3:0x40
; %bb.4989:                             ;   in Loop: Header=BB4_4032 Depth=2
	s_or_b32 exec_lo, exec_lo, s41
	s_delay_alu instid0(VALU_DEP_1) | instskip(NEXT) | instid1(VALU_DEP_2)
	v_dual_lshlrev_b32 v20, 8, v15 :: v_dual_lshlrev_b32 v21, 20, v86
	v_lshl_add_u32 v2, v2, 23, 0x3c000000
	s_delay_alu instid0(VALU_DEP_2) | instskip(NEXT) | instid1(VALU_DEP_1)
	v_and_b32_e32 v20, 0x80000000, v20
	v_or3_b32 v2, v21, v20, v2
.LBB4_4990:                             ;   in Loop: Header=BB4_4032 Depth=2
	s_or_b32 exec_lo, exec_lo, s40
.LBB4_4991:                             ;   in Loop: Header=BB4_4032 Depth=2
	s_delay_alu instid0(SALU_CYCLE_1)
	s_or_b32 exec_lo, exec_lo, s29
.LBB4_4992:                             ;   in Loop: Header=BB4_4032 Depth=2
	s_delay_alu instid0(SALU_CYCLE_1) | instskip(NEXT) | instid1(VALU_DEP_1)
	s_or_b32 exec_lo, exec_lo, s7
	v_dual_add_f32 v3, v3, v2 :: v_dual_mov_b32 v21, v37
                                        ; implicit-def: $vgpr96
	s_mov_b32 s7, exec_lo
	s_delay_alu instid0(VALU_DEP_1) | instskip(SKIP_1) | instid1(VALU_DEP_2)
	v_and_b32_e32 v20, 0x7f800000, v3
	v_lshrrev_b32_e32 v2, 24, v3
	v_cmpx_ne_u64_e32 0x7f800000, v[20:21]
	s_xor_b32 s29, exec_lo, s7
	s_cbranch_execz .LBB4_5006
; %bb.4993:                             ;   in Loop: Header=BB4_4032 Depth=2
	v_and_b32_e32 v20, 0x7fffffff, v3
	v_mov_b32_e32 v21, v37
	v_and_b32_e32 v2, 0x80, v2
                                        ; implicit-def: $vgpr96
	s_mov_b32 s7, exec_lo
	s_delay_alu instid0(VALU_DEP_2)
	v_cmpx_gt_u64_e32 0x43e00001, v[20:21]
	s_xor_b32 s40, exec_lo, s7
	s_cbranch_execz .LBB4_5003
; %bb.4994:                             ;   in Loop: Header=BB4_4032 Depth=2
	v_mov_b32_e32 v96, 0
	s_mov_b32 s41, exec_lo
	v_cmpx_ne_u32_e32 0, v3
	s_cbranch_execz .LBB4_5002
; %bb.4995:                             ;   in Loop: Header=BB4_4032 Depth=2
	v_bfe_u32 v113, v3, 23, 8
	v_and_b32_e32 v3, 0x7fffff, v3
	s_delay_alu instid0(VALU_DEP_2) | instskip(SKIP_1) | instid1(VALU_DEP_3)
	v_dual_mov_b32 v87, v37 :: v_dual_sub_nc_u32 v20, 0x79, v113
	v_cmp_gt_u32_e32 vcc_lo, 0x7a, v113
	v_or_b32_e32 v86, 0x800000, v3
	s_delay_alu instid0(VALU_DEP_3) | instskip(SKIP_1) | instid1(VALU_DEP_2)
	v_cndmask_b32_e32 v20, 0, v20, vcc_lo
	v_cmp_eq_u32_e32 vcc_lo, 0, v113
	v_cndmask_b32_e64 v79, v20, 0x78, vcc_lo
	s_delay_alu instid0(VALU_DEP_4) | instskip(NEXT) | instid1(VALU_DEP_2)
	v_cndmask_b32_e32 v86, v86, v3, vcc_lo
	v_dual_add_nc_u32 v20, 20, v79 :: v_dual_add_nc_u32 v96, 19, v79
	s_delay_alu instid0(VALU_DEP_1) | instskip(NEXT) | instid1(VALU_DEP_2)
	v_lshlrev_b64_e64 v[20:21], v20, -1
	v_lshlrev_b64_e64 v[96:97], v96, 1
	s_delay_alu instid0(VALU_DEP_2) | instskip(SKIP_1) | instid1(VALU_DEP_4)
	v_bfi_b32 v20, v20, 0, v86
	v_lshrrev_b64 v[86:87], v79, v[86:87]
	v_bfi_b32 v21, v21, 0, 0
	s_delay_alu instid0(VALU_DEP_1) | instskip(NEXT) | instid1(VALU_DEP_3)
	v_cmp_eq_u64_e64 s7, v[20:21], v[96:97]
	v_mov_b64_e32 v[96:97], v[86:87]
	s_and_saveexec_b32 s42, s7
; %bb.4996:                             ;   in Loop: Header=BB4_4032 Depth=2
	v_bfe_u32 v20, v86, 20, 1
	v_mov_b32_e32 v21, v37
	s_delay_alu instid0(VALU_DEP_1) | instskip(NEXT) | instid1(VALU_DEP_1)
	v_add_nc_u64_e32 v[20:21], v[86:87], v[20:21]
	v_add_nc_u64_e32 v[96:97], -1, v[20:21]
; %bb.4997:                             ;   in Loop: Header=BB4_4032 Depth=2
	s_or_b32 exec_lo, exec_lo, s42
	v_add_nc_u32_e32 v3, 0xffffff81, v113
	v_lshrrev_b32_e32 v20, 23, v86
	s_mov_b32 s7, exec_lo
	v_mov_b32_e32 v87, v37
	s_delay_alu instid0(VALU_DEP_3) | instskip(NEXT) | instid1(VALU_DEP_1)
	v_cndmask_b32_e64 v3, v3, 0xffffff82, vcc_lo
	v_add3_u32 v97, v79, v3, v20
	v_and_b32_e32 v3, 0xfffff, v96
	s_delay_alu instid0(VALU_DEP_1) | instskip(NEXT) | instid1(VALU_DEP_1)
	v_dual_add_nc_u32 v96, 6, v97 :: v_dual_add_nc_u32 v86, v3, v86
                                        ; implicit-def: $vgpr3
	v_cmpx_ne_u32_e32 0, v96
	s_xor_b32 s7, exec_lo, s7
; %bb.4998:                             ;   in Loop: Header=BB4_4032 Depth=2
	s_delay_alu instid0(VALU_DEP_2) | instskip(SKIP_2) | instid1(VALU_DEP_2)
	v_cmp_lt_u64_e32 vcc_lo, 0xffffff, v[86:87]
	v_add_nc_u32_e32 v3, 7, v97
	v_cndmask_b32_e64 v20, 0, 1, vcc_lo
	v_cndmask_b32_e32 v3, v96, v3, vcc_lo
	s_delay_alu instid0(VALU_DEP_2)
	v_lshrrev_b64 v[86:87], v20, v[86:87]
; %bb.4999:                             ;   in Loop: Header=BB4_4032 Depth=2
	s_and_not1_saveexec_b32 s7, s7
; %bb.5000:                             ;   in Loop: Header=BB4_4032 Depth=2
	s_delay_alu instid0(VALU_DEP_1)
	v_bfe_u32 v3, v86, 23, 1
; %bb.5001:                             ;   in Loop: Header=BB4_4032 Depth=2
	s_or_b32 exec_lo, exec_lo, s7
	s_delay_alu instid0(VALU_DEP_2) | instskip(NEXT) | instid1(VALU_DEP_2)
	v_lshrrev_b64 v[20:21], 20, v[86:87]
	v_cmp_gt_i32_e32 vcc_lo, 16, v3
	v_min_i32_e32 v86, 15, v3
	v_cmp_eq_u32_e64 s7, 0, v3
	s_delay_alu instid0(VALU_DEP_2) | instskip(SKIP_1) | instid1(VALU_DEP_2)
	v_dual_cndmask_b32 v21, 0, v21 :: v_dual_lshlrev_b32 v86, 3, v86
	v_cndmask_b32_e32 v20, 7, v20, vcc_lo
	v_and_b32_e32 v86, 0xf8, v86
	s_delay_alu instid0(VALU_DEP_2) | instskip(NEXT) | instid1(VALU_DEP_2)
	v_cmp_eq_u64_e32 vcc_lo, 0, v[20:21]
	v_and_or_b32 v3, v20, 7, v86
	s_and_b32 s7, s7, vcc_lo
	s_delay_alu instid0(VALU_DEP_1) | instid1(SALU_CYCLE_1)
	v_cndmask_b32_e64 v3, v3, 0, s7
	s_delay_alu instid0(VALU_DEP_1)
	v_or_b32_e32 v96, v3, v2
.LBB4_5002:                             ;   in Loop: Header=BB4_4032 Depth=2
	s_or_b32 exec_lo, exec_lo, s41
                                        ; implicit-def: $vgpr2
.LBB4_5003:                             ;   in Loop: Header=BB4_4032 Depth=2
	s_and_not1_saveexec_b32 s7, s40
; %bb.5004:                             ;   in Loop: Header=BB4_4032 Depth=2
	v_or_b32_e32 v96, 0x7e, v2
; %bb.5005:                             ;   in Loop: Header=BB4_4032 Depth=2
	s_or_b32 exec_lo, exec_lo, s7
                                        ; implicit-def: $vgpr2
.LBB4_5006:                             ;   in Loop: Header=BB4_4032 Depth=2
	s_and_not1_saveexec_b32 s7, s29
; %bb.5007:                             ;   in Loop: Header=BB4_4032 Depth=2
	v_or_b32_e32 v96, 0x7f, v2
; %bb.5008:                             ;   in Loop: Header=BB4_4032 Depth=2
	s_or_b32 exec_lo, exec_lo, s7
	v_dual_mov_b32 v2, 0 :: v_dual_mov_b32 v3, 0
	s_mov_b32 s7, exec_lo
	v_cmpx_lt_u32_e32 0xffffff, v36
	s_cbranch_execz .LBB4_5016
; %bb.5009:                             ;   in Loop: Header=BB4_4032 Depth=2
	v_lshrrev_b32_e32 v86, 24, v36
	v_bfrev_b32_e32 v3, 1
	s_mov_b32 s29, exec_lo
	s_delay_alu instid0(VALU_DEP_2)
	v_cmpx_ne_u32_e32 0x80, v86
	s_cbranch_execz .LBB4_5015
; %bb.5010:                             ;   in Loop: Header=BB4_4032 Depth=2
	v_bfe_u32 v87, v36, 24, 7
	v_mov_b32_e32 v3, 0x7f800001
	s_mov_b32 s40, exec_lo
	s_delay_alu instid0(VALU_DEP_2)
	v_cmpx_ne_u32_e32 0x7f, v87
	s_cbranch_execz .LBB4_5014
; %bb.5011:                             ;   in Loop: Header=BB4_4032 Depth=2
	v_dual_lshrrev_b32 v3, 3, v87 :: v_dual_bitop2_b32 v36, 7, v86 bitop3:0x40
	s_mov_b32 s41, exec_lo
	v_cmpx_gt_u32_e32 8, v87
; %bb.5012:                             ;   in Loop: Header=BB4_4032 Depth=2
	s_delay_alu instid0(VALU_DEP_2) | instskip(NEXT) | instid1(VALU_DEP_1)
	v_clz_i32_u32_e32 v3, v36
	v_min_u32_e32 v3, 32, v3
	s_delay_alu instid0(VALU_DEP_1) | instskip(NEXT) | instid1(VALU_DEP_1)
	v_subrev_nc_u32_e32 v20, 28, v3
	v_lshlrev_b64_e32 v[20:21], v20, v[36:37]
	s_delay_alu instid0(VALU_DEP_1)
	v_dual_sub_nc_u32 v3, 29, v3 :: v_dual_bitop2_b32 v36, 7, v20 bitop3:0x40
; %bb.5013:                             ;   in Loop: Header=BB4_4032 Depth=2
	s_or_b32 exec_lo, exec_lo, s41
	s_delay_alu instid0(VALU_DEP_1) | instskip(NEXT) | instid1(VALU_DEP_2)
	v_dual_lshlrev_b32 v20, 24, v86 :: v_dual_lshlrev_b32 v21, 20, v36
	v_lshl_add_u32 v3, v3, 23, 0x3c000000
	s_delay_alu instid0(VALU_DEP_2) | instskip(NEXT) | instid1(VALU_DEP_1)
	v_and_b32_e32 v20, 0x80000000, v20
	v_or3_b32 v3, v21, v20, v3
.LBB4_5014:                             ;   in Loop: Header=BB4_4032 Depth=2
	s_or_b32 exec_lo, exec_lo, s40
.LBB4_5015:                             ;   in Loop: Header=BB4_4032 Depth=2
	s_delay_alu instid0(SALU_CYCLE_1)
	s_or_b32 exec_lo, exec_lo, s29
.LBB4_5016:                             ;   in Loop: Header=BB4_4032 Depth=2
	s_delay_alu instid0(SALU_CYCLE_1) | instskip(NEXT) | instid1(SALU_CYCLE_1)
	s_or_b32 exec_lo, exec_lo, s7
	s_mov_b32 s7, exec_lo
	v_cmpx_lt_u64_e64 s[12:13], v[14:15]
	s_cbranch_execz .LBB4_5024
; %bb.5017:                             ;   in Loop: Header=BB4_4032 Depth=2
	v_lshrrev_b32_e32 v14, 24, v15
	v_bfrev_b32_e32 v2, 1
	s_mov_b32 s29, exec_lo
	s_delay_alu instid0(VALU_DEP_2)
	v_cmpx_ne_u32_e32 0x80, v14
	s_cbranch_execz .LBB4_5023
; %bb.5018:                             ;   in Loop: Header=BB4_4032 Depth=2
	v_bfe_u32 v15, v15, 24, 7
	v_mov_b32_e32 v2, 0x7f800001
	s_mov_b32 s40, exec_lo
	s_delay_alu instid0(VALU_DEP_2)
	v_cmpx_ne_u32_e32 0x7f, v15
	s_cbranch_execz .LBB4_5022
; %bb.5019:                             ;   in Loop: Header=BB4_4032 Depth=2
	v_dual_lshrrev_b32 v2, 3, v15 :: v_dual_bitop2_b32 v36, 7, v14 bitop3:0x40
	s_mov_b32 s41, exec_lo
	v_cmpx_gt_u32_e32 8, v15
; %bb.5020:                             ;   in Loop: Header=BB4_4032 Depth=2
	s_delay_alu instid0(VALU_DEP_2) | instskip(NEXT) | instid1(VALU_DEP_1)
	v_clz_i32_u32_e32 v2, v36
	v_min_u32_e32 v2, 32, v2
	s_delay_alu instid0(VALU_DEP_1) | instskip(NEXT) | instid1(VALU_DEP_1)
	v_subrev_nc_u32_e32 v15, 28, v2
	v_lshlrev_b64_e32 v[20:21], v15, v[36:37]
	s_delay_alu instid0(VALU_DEP_1)
	v_dual_sub_nc_u32 v2, 29, v2 :: v_dual_bitop2_b32 v36, 7, v20 bitop3:0x40
; %bb.5021:                             ;   in Loop: Header=BB4_4032 Depth=2
	s_or_b32 exec_lo, exec_lo, s41
	s_delay_alu instid0(VALU_DEP_1) | instskip(NEXT) | instid1(VALU_DEP_2)
	v_dual_lshlrev_b32 v14, 24, v14 :: v_dual_lshlrev_b32 v15, 20, v36
	v_lshl_add_u32 v2, v2, 23, 0x3c000000
	s_delay_alu instid0(VALU_DEP_2) | instskip(NEXT) | instid1(VALU_DEP_1)
	v_and_b32_e32 v14, 0x80000000, v14
	v_or3_b32 v2, v15, v14, v2
.LBB4_5022:                             ;   in Loop: Header=BB4_4032 Depth=2
	s_or_b32 exec_lo, exec_lo, s40
.LBB4_5023:                             ;   in Loop: Header=BB4_4032 Depth=2
	s_delay_alu instid0(SALU_CYCLE_1)
	s_or_b32 exec_lo, exec_lo, s29
.LBB4_5024:                             ;   in Loop: Header=BB4_4032 Depth=2
	s_delay_alu instid0(SALU_CYCLE_1) | instskip(NEXT) | instid1(VALU_DEP_1)
	s_or_b32 exec_lo, exec_lo, s7
	v_add_f32_e32 v3, v3, v2
                                        ; implicit-def: $vgpr97
	s_mov_b32 s7, exec_lo
	s_delay_alu instid0(VALU_DEP_1) | instskip(SKIP_1) | instid1(VALU_DEP_2)
	v_and_b32_e32 v36, 0x7f800000, v3
	v_lshrrev_b32_e32 v2, 24, v3
	v_cmpx_ne_u64_e32 0x7f800000, v[36:37]
	s_xor_b32 s29, exec_lo, s7
	s_cbranch_execz .LBB4_5038
; %bb.5025:                             ;   in Loop: Header=BB4_4032 Depth=2
	v_and_b32_e32 v36, 0x7fffffff, v3
	v_and_b32_e32 v2, 0x80, v2
                                        ; implicit-def: $vgpr97
	s_mov_b32 s7, exec_lo
	s_delay_alu instid0(VALU_DEP_2)
	v_cmpx_gt_u64_e32 0x43e00001, v[36:37]
	s_xor_b32 s40, exec_lo, s7
	s_cbranch_execz .LBB4_5035
; %bb.5026:                             ;   in Loop: Header=BB4_4032 Depth=2
	v_mov_b32_e32 v97, 0
	s_mov_b32 s41, exec_lo
	v_cmpx_ne_u32_e32 0, v3
	s_cbranch_execz .LBB4_5034
; %bb.5027:                             ;   in Loop: Header=BB4_4032 Depth=2
	v_bfe_u32 v97, v3, 23, 8
	v_and_b32_e32 v3, 0x7fffff, v3
	s_delay_alu instid0(VALU_DEP_2) | instskip(SKIP_1) | instid1(VALU_DEP_3)
	v_sub_nc_u32_e32 v14, 0x79, v97
	v_cmp_gt_u32_e32 vcc_lo, 0x7a, v97
	v_or_b32_e32 v20, 0x800000, v3
	s_delay_alu instid0(VALU_DEP_3) | instskip(SKIP_1) | instid1(VALU_DEP_2)
	v_cndmask_b32_e32 v14, 0, v14, vcc_lo
	v_cmp_eq_u32_e32 vcc_lo, 0, v97
	v_cndmask_b32_e64 v113, v14, 0x78, vcc_lo
	s_delay_alu instid0(VALU_DEP_1) | instskip(SKIP_1) | instid1(VALU_DEP_2)
	v_dual_cndmask_b32 v36, v20, v3, vcc_lo :: v_dual_add_nc_u32 v14, 20, v113
	v_add_nc_u32_e32 v21, 19, v113
	v_lshlrev_b64_e64 v[14:15], v14, -1
	s_delay_alu instid0(VALU_DEP_2) | instskip(NEXT) | instid1(VALU_DEP_2)
	v_lshlrev_b64_e64 v[20:21], v21, 1
	v_bfi_b32 v87, v15, 0, 0
	s_delay_alu instid0(VALU_DEP_3) | instskip(SKIP_1) | instid1(VALU_DEP_2)
	v_bfi_b32 v86, v14, 0, v36
	v_lshrrev_b64 v[14:15], v113, v[36:37]
	v_cmp_eq_u64_e64 s7, v[86:87], v[20:21]
	s_delay_alu instid0(VALU_DEP_2)
	v_mov_b64_e32 v[86:87], v[14:15]
	s_and_saveexec_b32 s42, s7
; %bb.5028:                             ;   in Loop: Header=BB4_4032 Depth=2
	v_bfe_u32 v36, v14, 20, 1
	s_delay_alu instid0(VALU_DEP_1) | instskip(NEXT) | instid1(VALU_DEP_1)
	v_add_nc_u64_e32 v[20:21], v[14:15], v[36:37]
	v_add_nc_u64_e32 v[86:87], -1, v[20:21]
; %bb.5029:                             ;   in Loop: Header=BB4_4032 Depth=2
	s_or_b32 exec_lo, exec_lo, s42
	v_add_nc_u32_e32 v3, 0xffffff81, v97
	v_lshrrev_b32_e32 v15, 23, v14
	s_mov_b32 s7, exec_lo
	s_delay_alu instid0(VALU_DEP_2) | instskip(NEXT) | instid1(VALU_DEP_1)
	v_cndmask_b32_e64 v3, v3, 0xffffff82, vcc_lo
	v_add3_u32 v87, v113, v3, v15
	v_and_b32_e32 v3, 0xfffff, v86
	s_delay_alu instid0(VALU_DEP_1) | instskip(NEXT) | instid1(VALU_DEP_1)
	v_dual_add_nc_u32 v86, 6, v87 :: v_dual_add_nc_u32 v36, v3, v14
                                        ; implicit-def: $vgpr14_vgpr15
                                        ; implicit-def: $vgpr3
	v_cmpx_ne_u32_e32 0, v86
	s_xor_b32 s7, exec_lo, s7
; %bb.5030:                             ;   in Loop: Header=BB4_4032 Depth=2
	s_delay_alu instid0(VALU_DEP_2) | instskip(SKIP_2) | instid1(VALU_DEP_2)
	v_cmp_lt_u64_e32 vcc_lo, 0xffffff, v[36:37]
	v_add_nc_u32_e32 v3, 7, v87
	v_cndmask_b32_e64 v14, 0, 1, vcc_lo
	v_cndmask_b32_e32 v3, v86, v3, vcc_lo
	s_delay_alu instid0(VALU_DEP_2)
	v_lshrrev_b64 v[14:15], v14, v[36:37]
; %bb.5031:                             ;   in Loop: Header=BB4_4032 Depth=2
	s_and_not1_saveexec_b32 s7, s7
; %bb.5032:                             ;   in Loop: Header=BB4_4032 Depth=2
	v_mov_b64_e32 v[14:15], v[36:37]
	v_bfe_u32 v3, v36, 23, 1
; %bb.5033:                             ;   in Loop: Header=BB4_4032 Depth=2
	s_or_b32 exec_lo, exec_lo, s7
	s_delay_alu instid0(VALU_DEP_2) | instskip(NEXT) | instid1(VALU_DEP_2)
	v_lshrrev_b64 v[14:15], 20, v[14:15]
	v_cmp_gt_i32_e32 vcc_lo, 16, v3
	v_min_i32_e32 v20, 15, v3
	v_cmp_eq_u32_e64 s7, 0, v3
	s_delay_alu instid0(VALU_DEP_2) | instskip(SKIP_1) | instid1(VALU_DEP_2)
	v_dual_cndmask_b32 v14, 7, v14, vcc_lo :: v_dual_lshlrev_b32 v20, 3, v20
	v_cndmask_b32_e32 v15, 0, v15, vcc_lo
	v_and_b32_e32 v20, 0xf8, v20
	s_delay_alu instid0(VALU_DEP_2) | instskip(NEXT) | instid1(VALU_DEP_2)
	v_cmp_eq_u64_e32 vcc_lo, 0, v[14:15]
	v_and_or_b32 v3, v14, 7, v20
	s_and_b32 s7, s7, vcc_lo
	s_delay_alu instid0(VALU_DEP_1) | instid1(SALU_CYCLE_1)
	v_cndmask_b32_e64 v3, v3, 0, s7
	s_delay_alu instid0(VALU_DEP_1)
	v_or_b32_e32 v97, v3, v2
.LBB4_5034:                             ;   in Loop: Header=BB4_4032 Depth=2
	s_or_b32 exec_lo, exec_lo, s41
                                        ; implicit-def: $vgpr2
.LBB4_5035:                             ;   in Loop: Header=BB4_4032 Depth=2
	s_and_not1_saveexec_b32 s7, s40
; %bb.5036:                             ;   in Loop: Header=BB4_4032 Depth=2
	v_or_b32_e32 v97, 0x7e, v2
; %bb.5037:                             ;   in Loop: Header=BB4_4032 Depth=2
	s_or_b32 exec_lo, exec_lo, s7
                                        ; implicit-def: $vgpr2
.LBB4_5038:                             ;   in Loop: Header=BB4_4032 Depth=2
	s_and_not1_saveexec_b32 s7, s29
; %bb.5039:                             ;   in Loop: Header=BB4_4032 Depth=2
	v_or_b32_e32 v97, 0x7f, v2
; %bb.5040:                             ;   in Loop: Header=BB4_4032 Depth=2
	s_or_b32 exec_lo, exec_lo, s7
	v_lshl_or_b32 v2, v75, 8, v62
	v_dual_lshlrev_b32 v14, 16, v77 :: v_dual_lshlrev_b32 v15, 24, v78
	v_mov_b32_e32 v3, 0
	s_mov_b32 s7, exec_lo
	s_delay_alu instid0(VALU_DEP_2)
	v_or3_b32 v36, v14, v15, v2
	v_mov_b32_e32 v14, 0
	v_cmpx_ne_u32_e32 0, v62
	s_cbranch_execz .LBB4_5046
; %bb.5041:                             ;   in Loop: Header=BB4_4032 Depth=2
	v_bfrev_b32_e32 v14, 1
	s_mov_b32 s29, exec_lo
	v_cmpx_ne_u32_e32 0x80, v62
	s_cbranch_execz .LBB4_5045
; %bb.5042:                             ;   in Loop: Header=BB4_4032 Depth=2
	v_and_b32_e32 v15, 0x7f, v62
	v_mov_b32_e32 v14, 0x7f800001
	s_mov_b32 s40, exec_lo
	s_delay_alu instid0(VALU_DEP_2)
	v_cmpx_ne_u32_e32 0x7f, v15
	s_cbranch_execz .LBB4_5044
; %bb.5043:                             ;   in Loop: Header=BB4_4032 Depth=2
	v_dual_lshrrev_b32 v20, 3, v15 :: v_dual_bitop2_b32 v14, 7, v62 bitop3:0x40
	v_cmp_gt_u32_e32 vcc_lo, 8, v15
	s_delay_alu instid0(VALU_DEP_2) | instskip(NEXT) | instid1(VALU_DEP_1)
	v_clz_i32_u32_e32 v14, v14
	v_min_u32_e32 v14, 32, v14
	s_delay_alu instid0(VALU_DEP_1) | instskip(SKIP_1) | instid1(VALU_DEP_1)
	v_subrev_nc_u32_e32 v21, 28, v14
	v_sub_nc_u32_e32 v14, 29, v14
	v_dual_cndmask_b32 v20, v20, v14, vcc_lo :: v_dual_cndmask_b32 v14, 0, v21, vcc_lo
	s_delay_alu instid0(VALU_DEP_1) | instskip(NEXT) | instid1(VALU_DEP_2)
	v_lshl_add_u32 v20, v20, 23, 0x3c000000
	v_lshlrev_b64_e32 v[14:15], v14, v[36:37]
	v_lshlrev_b32_e32 v15, 24, v36
	s_delay_alu instid0(VALU_DEP_1) | instskip(NEXT) | instid1(VALU_DEP_3)
	v_and_b32_e32 v15, 0x80000000, v15
	v_lshlrev_b32_e32 v14, 20, v14
	s_delay_alu instid0(VALU_DEP_1) | instskip(NEXT) | instid1(VALU_DEP_1)
	v_and_b32_e32 v14, 0x700000, v14
	v_or3_b32 v14, v14, v15, v20
.LBB4_5044:                             ;   in Loop: Header=BB4_4032 Depth=2
	s_or_b32 exec_lo, exec_lo, s40
.LBB4_5045:                             ;   in Loop: Header=BB4_4032 Depth=2
	s_delay_alu instid0(SALU_CYCLE_1)
	s_or_b32 exec_lo, exec_lo, s29
.LBB4_5046:                             ;   in Loop: Header=BB4_4032 Depth=2
	s_delay_alu instid0(SALU_CYCLE_1) | instskip(SKIP_2) | instid1(VALU_DEP_1)
	s_or_b32 exec_lo, exec_lo, s7
	v_and_b32_e32 v15, 0xff, v16
	s_mov_b32 s7, exec_lo
	v_cmpx_ne_u16_e32 0, v15
	s_cbranch_execz .LBB4_5052
; %bb.5047:                             ;   in Loop: Header=BB4_4032 Depth=2
	v_bfrev_b32_e32 v3, 1
	s_mov_b32 s29, exec_lo
	v_cmpx_ne_u16_e32 0x80, v15
	s_cbranch_execz .LBB4_5051
; %bb.5048:                             ;   in Loop: Header=BB4_4032 Depth=2
	v_and_b32_e32 v15, 0x7f, v16
	v_mov_b32_e32 v3, 0x7f800001
	s_mov_b32 s40, exec_lo
	s_delay_alu instid0(VALU_DEP_2)
	v_cmpx_ne_u32_e32 0x7f, v15
	s_cbranch_execz .LBB4_5050
; %bb.5049:                             ;   in Loop: Header=BB4_4032 Depth=2
	v_dual_lshrrev_b32 v20, 3, v15 :: v_dual_bitop2_b32 v3, 7, v16 bitop3:0x40
	v_cmp_gt_u32_e32 vcc_lo, 8, v15
	s_delay_alu instid0(VALU_DEP_2) | instskip(NEXT) | instid1(VALU_DEP_1)
	v_clz_i32_u32_e32 v3, v3
	v_min_u32_e32 v3, 32, v3
	s_delay_alu instid0(VALU_DEP_1) | instskip(NEXT) | instid1(VALU_DEP_1)
	v_subrev_nc_u32_e32 v21, 28, v3
	v_dual_sub_nc_u32 v3, 29, v3 :: v_dual_cndmask_b32 v15, 0, v21, vcc_lo
	s_delay_alu instid0(VALU_DEP_1) | instskip(NEXT) | instid1(VALU_DEP_2)
	v_cndmask_b32_e32 v3, v20, v3, vcc_lo
	v_lshlrev_b64_e32 v[20:21], v15, v[16:17]
	v_lshlrev_b32_e32 v15, 24, v16
	s_delay_alu instid0(VALU_DEP_3) | instskip(NEXT) | instid1(VALU_DEP_2)
	v_lshl_add_u32 v3, v3, 23, 0x3c000000
	v_and_b32_e32 v15, 0x80000000, v15
	s_delay_alu instid0(VALU_DEP_4) | instskip(NEXT) | instid1(VALU_DEP_1)
	v_lshlrev_b32_e32 v20, 20, v20
	v_and_b32_e32 v20, 0x700000, v20
	s_delay_alu instid0(VALU_DEP_1)
	v_or3_b32 v3, v20, v15, v3
.LBB4_5050:                             ;   in Loop: Header=BB4_4032 Depth=2
	s_or_b32 exec_lo, exec_lo, s40
.LBB4_5051:                             ;   in Loop: Header=BB4_4032 Depth=2
	s_delay_alu instid0(SALU_CYCLE_1)
	s_or_b32 exec_lo, exec_lo, s29
.LBB4_5052:                             ;   in Loop: Header=BB4_4032 Depth=2
	s_delay_alu instid0(SALU_CYCLE_1) | instskip(NEXT) | instid1(VALU_DEP_1)
	s_or_b32 exec_lo, exec_lo, s7
	v_dual_add_f32 v14, v14, v3 :: v_dual_mov_b32 v21, v37
                                        ; implicit-def: $vgpr62
	s_mov_b32 s7, exec_lo
	s_delay_alu instid0(VALU_DEP_1) | instskip(SKIP_1) | instid1(VALU_DEP_2)
	v_and_b32_e32 v20, 0x7f800000, v14
	v_lshrrev_b32_e32 v3, 24, v14
	v_cmpx_ne_u64_e32 0x7f800000, v[20:21]
	s_xor_b32 s29, exec_lo, s7
	s_cbranch_execz .LBB4_5066
; %bb.5053:                             ;   in Loop: Header=BB4_4032 Depth=2
	v_and_b32_e32 v20, 0x7fffffff, v14
	v_mov_b32_e32 v21, v37
	v_and_b32_e32 v3, 0x80, v3
                                        ; implicit-def: $vgpr62
	s_mov_b32 s7, exec_lo
	s_delay_alu instid0(VALU_DEP_2)
	v_cmpx_gt_u64_e32 0x43e00001, v[20:21]
	s_xor_b32 s40, exec_lo, s7
	s_cbranch_execz .LBB4_5063
; %bb.5054:                             ;   in Loop: Header=BB4_4032 Depth=2
	v_mov_b32_e32 v62, 0
	s_mov_b32 s41, exec_lo
	v_cmpx_ne_u32_e32 0, v14
	s_cbranch_execz .LBB4_5062
; %bb.5055:                             ;   in Loop: Header=BB4_4032 Depth=2
	v_bfe_u32 v113, v14, 23, 8
	v_and_b32_e32 v20, 0x7fffff, v14
	s_delay_alu instid0(VALU_DEP_2) | instskip(NEXT) | instid1(VALU_DEP_2)
	v_cmp_gt_u32_e32 vcc_lo, 0x7a, v113
	v_or_b32_e32 v21, 0x800000, v20
	v_sub_nc_u32_e32 v15, 0x79, v113
	s_delay_alu instid0(VALU_DEP_1) | instskip(SKIP_1) | instid1(VALU_DEP_2)
	v_cndmask_b32_e32 v15, 0, v15, vcc_lo
	v_cmp_eq_u32_e32 vcc_lo, 0, v113
	v_cndmask_b32_e64 v62, v15, 0x78, vcc_lo
	v_cndmask_b32_e32 v20, v21, v20, vcc_lo
	s_delay_alu instid0(VALU_DEP_2) | instskip(SKIP_1) | instid1(VALU_DEP_2)
	v_dual_mov_b32 v21, v37 :: v_dual_add_nc_u32 v86, 19, v62
	v_add_nc_u32_e32 v14, 20, v62
	v_lshlrev_b64_e64 v[86:87], v86, 1
	s_delay_alu instid0(VALU_DEP_2) | instskip(NEXT) | instid1(VALU_DEP_1)
	v_lshlrev_b64_e64 v[14:15], v14, -1
	v_bfi_b32 v79, v15, 0, 0
	s_delay_alu instid0(VALU_DEP_2) | instskip(SKIP_1) | instid1(VALU_DEP_2)
	v_bfi_b32 v78, v14, 0, v20
	v_lshrrev_b64 v[14:15], v62, v[20:21]
	v_cmp_eq_u64_e64 s7, v[78:79], v[86:87]
	s_delay_alu instid0(VALU_DEP_2)
	v_mov_b64_e32 v[86:87], v[14:15]
	s_and_saveexec_b32 s42, s7
; %bb.5056:                             ;   in Loop: Header=BB4_4032 Depth=2
	v_bfe_u32 v20, v14, 20, 1
	v_mov_b32_e32 v21, v37
	s_delay_alu instid0(VALU_DEP_1) | instskip(NEXT) | instid1(VALU_DEP_1)
	v_add_nc_u64_e32 v[20:21], v[14:15], v[20:21]
	v_add_nc_u64_e32 v[86:87], -1, v[20:21]
; %bb.5057:                             ;   in Loop: Header=BB4_4032 Depth=2
	s_or_b32 exec_lo, exec_lo, s42
	v_add_nc_u32_e32 v15, 0xffffff81, v113
	v_lshrrev_b32_e32 v20, 23, v14
	s_mov_b32 s7, exec_lo
	s_delay_alu instid0(VALU_DEP_2) | instskip(NEXT) | instid1(VALU_DEP_1)
	v_cndmask_b32_e64 v15, v15, 0xffffff82, vcc_lo
	v_add3_u32 v87, v62, v15, v20
	v_and_b32_e32 v15, 0xfffff, v86
                                        ; implicit-def: $vgpr86
	s_delay_alu instid0(VALU_DEP_1) | instskip(SKIP_1) | instid1(VALU_DEP_2)
	v_dual_add_nc_u32 v113, 6, v87 :: v_dual_add_nc_u32 v14, v15, v14
	v_mov_b32_e32 v15, v37
	v_cmpx_ne_u32_e32 0, v113
	s_xor_b32 s7, exec_lo, s7
; %bb.5058:                             ;   in Loop: Header=BB4_4032 Depth=2
	s_delay_alu instid0(VALU_DEP_2) | instskip(SKIP_1) | instid1(VALU_DEP_1)
	v_cmp_lt_u64_e32 vcc_lo, 0xffffff, v[14:15]
	v_add_nc_u32_e32 v20, 7, v87
	v_cndmask_b32_e32 v86, v113, v20, vcc_lo
	v_cndmask_b32_e64 v20, 0, 1, vcc_lo
	s_delay_alu instid0(VALU_DEP_1)
	v_lshrrev_b64 v[14:15], v20, v[14:15]
; %bb.5059:                             ;   in Loop: Header=BB4_4032 Depth=2
	s_and_not1_saveexec_b32 s7, s7
; %bb.5060:                             ;   in Loop: Header=BB4_4032 Depth=2
	s_delay_alu instid0(VALU_DEP_1)
	v_bfe_u32 v86, v14, 23, 1
; %bb.5061:                             ;   in Loop: Header=BB4_4032 Depth=2
	s_or_b32 exec_lo, exec_lo, s7
	s_delay_alu instid0(VALU_DEP_2) | instskip(NEXT) | instid1(VALU_DEP_2)
	v_lshrrev_b64 v[14:15], 20, v[14:15]
	v_cmp_gt_i32_e32 vcc_lo, 16, v86
	v_min_i32_e32 v20, 15, v86
	v_cmp_eq_u32_e64 s7, 0, v86
	s_delay_alu instid0(VALU_DEP_2) | instskip(SKIP_1) | instid1(VALU_DEP_2)
	v_dual_cndmask_b32 v15, 0, v15 :: v_dual_lshlrev_b32 v20, 3, v20
	v_cndmask_b32_e32 v14, 7, v14, vcc_lo
	v_and_b32_e32 v20, 0xf8, v20
	s_delay_alu instid0(VALU_DEP_2) | instskip(NEXT) | instid1(VALU_DEP_2)
	v_cmp_eq_u64_e32 vcc_lo, 0, v[14:15]
	v_and_or_b32 v14, v14, 7, v20
	s_and_b32 s7, s7, vcc_lo
	s_delay_alu instid0(VALU_DEP_1) | instid1(SALU_CYCLE_1)
	v_cndmask_b32_e64 v14, v14, 0, s7
	s_delay_alu instid0(VALU_DEP_1)
	v_or_b32_e32 v62, v14, v3
.LBB4_5062:                             ;   in Loop: Header=BB4_4032 Depth=2
	s_or_b32 exec_lo, exec_lo, s41
                                        ; implicit-def: $vgpr3
.LBB4_5063:                             ;   in Loop: Header=BB4_4032 Depth=2
	s_and_not1_saveexec_b32 s7, s40
; %bb.5064:                             ;   in Loop: Header=BB4_4032 Depth=2
	v_or_b32_e32 v62, 0x7e, v3
; %bb.5065:                             ;   in Loop: Header=BB4_4032 Depth=2
	s_or_b32 exec_lo, exec_lo, s7
                                        ; implicit-def: $vgpr3
.LBB4_5066:                             ;   in Loop: Header=BB4_4032 Depth=2
	s_and_not1_saveexec_b32 s7, s29
; %bb.5067:                             ;   in Loop: Header=BB4_4032 Depth=2
	v_or_b32_e32 v62, 0x7f, v3
; %bb.5068:                             ;   in Loop: Header=BB4_4032 Depth=2
	s_or_b32 exec_lo, exec_lo, s7
	v_lshrrev_b16 v14, 8, v2
	v_dual_mov_b32 v3, 0 :: v_dual_mov_b32 v86, 0
	s_mov_b32 s7, exec_lo
	s_delay_alu instid0(VALU_DEP_2)
	v_cmpx_ne_u16_e32 0, v14
	s_cbranch_execz .LBB4_5076
; %bb.5069:                             ;   in Loop: Header=BB4_4032 Depth=2
	v_bfrev_b32_e32 v86, 1
	s_mov_b32 s29, exec_lo
	v_cmpx_ne_u16_e32 0x80, v14
	s_cbranch_execz .LBB4_5075
; %bb.5070:                             ;   in Loop: Header=BB4_4032 Depth=2
	v_and_b32_e32 v14, 0xffff, v14
	v_mov_b32_e32 v86, 0x7f800001
	s_mov_b32 s40, exec_lo
	s_delay_alu instid0(VALU_DEP_2) | instskip(NEXT) | instid1(VALU_DEP_1)
	v_and_b32_e32 v87, 0x7f, v14
	v_cmpx_ne_u32_e32 0x7f, v87
	s_cbranch_execz .LBB4_5074
; %bb.5071:                             ;   in Loop: Header=BB4_4032 Depth=2
	v_dual_mov_b32 v15, v37 :: v_dual_bitop2_b32 v14, 7, v14 bitop3:0x40
	v_lshrrev_b32_e32 v86, 3, v87
	s_mov_b32 s41, exec_lo
	v_cmpx_gt_u32_e32 8, v87
; %bb.5072:                             ;   in Loop: Header=BB4_4032 Depth=2
	s_delay_alu instid0(VALU_DEP_3) | instskip(NEXT) | instid1(VALU_DEP_1)
	v_clz_i32_u32_e32 v20, v14
	v_min_u32_e32 v20, 32, v20
	s_delay_alu instid0(VALU_DEP_1) | instskip(NEXT) | instid1(VALU_DEP_1)
	v_subrev_nc_u32_e32 v21, 28, v20
	v_lshlrev_b64_e32 v[14:15], v21, v[14:15]
	s_delay_alu instid0(VALU_DEP_1)
	v_dual_sub_nc_u32 v86, 29, v20 :: v_dual_bitop2_b32 v14, 7, v14 bitop3:0x40
; %bb.5073:                             ;   in Loop: Header=BB4_4032 Depth=2
	s_or_b32 exec_lo, exec_lo, s41
	v_lshlrev_b32_e32 v2, 16, v2
	s_delay_alu instid0(VALU_DEP_2) | instskip(NEXT) | instid1(VALU_DEP_3)
	v_lshlrev_b32_e32 v14, 20, v14
	v_lshl_add_u32 v15, v86, 23, 0x3c000000
	s_delay_alu instid0(VALU_DEP_3) | instskip(NEXT) | instid1(VALU_DEP_1)
	v_and_b32_e32 v2, 0x80000000, v2
	v_or3_b32 v86, v14, v2, v15
.LBB4_5074:                             ;   in Loop: Header=BB4_4032 Depth=2
	s_or_b32 exec_lo, exec_lo, s40
.LBB4_5075:                             ;   in Loop: Header=BB4_4032 Depth=2
	s_delay_alu instid0(SALU_CYCLE_1)
	s_or_b32 exec_lo, exec_lo, s29
.LBB4_5076:                             ;   in Loop: Header=BB4_4032 Depth=2
	s_delay_alu instid0(SALU_CYCLE_1) | instskip(SKIP_2) | instid1(VALU_DEP_1)
	s_or_b32 exec_lo, exec_lo, s7
	v_lshrrev_b16 v2, 8, v16
	s_mov_b32 s7, exec_lo
	v_cmpx_ne_u16_e32 0, v2
	s_cbranch_execz .LBB4_5084
; %bb.5077:                             ;   in Loop: Header=BB4_4032 Depth=2
	v_bfrev_b32_e32 v3, 1
	s_mov_b32 s29, exec_lo
	v_cmpx_ne_u16_e32 0x80, v2
	s_cbranch_execz .LBB4_5083
; %bb.5078:                             ;   in Loop: Header=BB4_4032 Depth=2
	v_and_b32_e32 v2, 0xffff, v2
	v_mov_b32_e32 v3, 0x7f800001
	s_mov_b32 s40, exec_lo
	s_delay_alu instid0(VALU_DEP_2) | instskip(NEXT) | instid1(VALU_DEP_1)
	v_and_b32_e32 v87, 0x7f, v2
	v_cmpx_ne_u32_e32 0x7f, v87
	s_cbranch_execz .LBB4_5082
; %bb.5079:                             ;   in Loop: Header=BB4_4032 Depth=2
	v_dual_mov_b32 v15, v37 :: v_dual_bitop2_b32 v14, 7, v2 bitop3:0x40
	v_lshrrev_b32_e32 v2, 3, v87
	s_mov_b32 s41, exec_lo
	v_cmpx_gt_u32_e32 8, v87
; %bb.5080:                             ;   in Loop: Header=BB4_4032 Depth=2
	s_delay_alu instid0(VALU_DEP_3) | instskip(NEXT) | instid1(VALU_DEP_1)
	v_clz_i32_u32_e32 v2, v14
	v_min_u32_e32 v2, 32, v2
	s_delay_alu instid0(VALU_DEP_1) | instskip(SKIP_1) | instid1(VALU_DEP_2)
	v_subrev_nc_u32_e32 v3, 28, v2
	v_sub_nc_u32_e32 v2, 29, v2
	v_lshlrev_b64_e32 v[14:15], v3, v[14:15]
	s_delay_alu instid0(VALU_DEP_1)
	v_and_b32_e32 v14, 7, v14
; %bb.5081:                             ;   in Loop: Header=BB4_4032 Depth=2
	s_or_b32 exec_lo, exec_lo, s41
	s_delay_alu instid0(VALU_DEP_1) | instskip(SKIP_1) | instid1(VALU_DEP_2)
	v_dual_lshlrev_b32 v3, 16, v16 :: v_dual_lshlrev_b32 v14, 20, v14
	v_lshl_add_u32 v2, v2, 23, 0x3c000000
	v_and_b32_e32 v3, 0x80000000, v3
	s_delay_alu instid0(VALU_DEP_1)
	v_or3_b32 v3, v14, v3, v2
.LBB4_5082:                             ;   in Loop: Header=BB4_4032 Depth=2
	s_or_b32 exec_lo, exec_lo, s40
.LBB4_5083:                             ;   in Loop: Header=BB4_4032 Depth=2
	s_delay_alu instid0(SALU_CYCLE_1)
	s_or_b32 exec_lo, exec_lo, s29
.LBB4_5084:                             ;   in Loop: Header=BB4_4032 Depth=2
	s_delay_alu instid0(SALU_CYCLE_1) | instskip(NEXT) | instid1(VALU_DEP_1)
	s_or_b32 exec_lo, exec_lo, s7
	v_dual_add_f32 v3, v86, v3 :: v_dual_mov_b32 v15, v37
                                        ; implicit-def: $vgpr75
	s_mov_b32 s7, exec_lo
	s_delay_alu instid0(VALU_DEP_1) | instskip(SKIP_1) | instid1(VALU_DEP_2)
	v_and_b32_e32 v14, 0x7f800000, v3
	v_lshrrev_b32_e32 v2, 24, v3
	v_cmpx_ne_u64_e32 0x7f800000, v[14:15]
	s_xor_b32 s29, exec_lo, s7
	s_cbranch_execz .LBB4_5098
; %bb.5085:                             ;   in Loop: Header=BB4_4032 Depth=2
	v_and_b32_e32 v14, 0x7fffffff, v3
	v_mov_b32_e32 v15, v37
	v_and_b32_e32 v2, 0x80, v2
                                        ; implicit-def: $vgpr75
	s_mov_b32 s7, exec_lo
	s_delay_alu instid0(VALU_DEP_2)
	v_cmpx_gt_u64_e32 0x43e00001, v[14:15]
	s_xor_b32 s40, exec_lo, s7
	s_cbranch_execz .LBB4_5095
; %bb.5086:                             ;   in Loop: Header=BB4_4032 Depth=2
	v_mov_b32_e32 v75, 0
	s_mov_b32 s41, exec_lo
	v_cmpx_ne_u32_e32 0, v3
	s_cbranch_execz .LBB4_5094
; %bb.5087:                             ;   in Loop: Header=BB4_4032 Depth=2
	v_bfe_u32 v113, v3, 23, 8
	v_and_b32_e32 v3, 0x7fffff, v3
	s_delay_alu instid0(VALU_DEP_2) | instskip(SKIP_1) | instid1(VALU_DEP_3)
	v_dual_mov_b32 v21, v37 :: v_dual_sub_nc_u32 v14, 0x79, v113
	v_cmp_gt_u32_e32 vcc_lo, 0x7a, v113
	v_or_b32_e32 v20, 0x800000, v3
	s_delay_alu instid0(VALU_DEP_3) | instskip(SKIP_1) | instid1(VALU_DEP_2)
	v_cndmask_b32_e32 v14, 0, v14, vcc_lo
	v_cmp_eq_u32_e32 vcc_lo, 0, v113
	v_cndmask_b32_e64 v75, v14, 0x78, vcc_lo
	s_delay_alu instid0(VALU_DEP_4) | instskip(NEXT) | instid1(VALU_DEP_2)
	v_cndmask_b32_e32 v20, v20, v3, vcc_lo
	v_dual_add_nc_u32 v14, 20, v75 :: v_dual_add_nc_u32 v86, 19, v75
	s_delay_alu instid0(VALU_DEP_1) | instskip(NEXT) | instid1(VALU_DEP_2)
	v_lshlrev_b64_e64 v[14:15], v14, -1
	v_lshlrev_b64_e64 v[86:87], v86, 1
	s_delay_alu instid0(VALU_DEP_2) | instskip(NEXT) | instid1(VALU_DEP_3)
	v_bfi_b32 v79, v15, 0, 0
	v_bfi_b32 v78, v14, 0, v20
	v_lshrrev_b64 v[14:15], v75, v[20:21]
	s_delay_alu instid0(VALU_DEP_2) | instskip(NEXT) | instid1(VALU_DEP_2)
	v_cmp_eq_u64_e64 s7, v[78:79], v[86:87]
	v_mov_b64_e32 v[86:87], v[14:15]
	s_and_saveexec_b32 s42, s7
; %bb.5088:                             ;   in Loop: Header=BB4_4032 Depth=2
	v_bfe_u32 v20, v14, 20, 1
	v_mov_b32_e32 v21, v37
	s_delay_alu instid0(VALU_DEP_1) | instskip(NEXT) | instid1(VALU_DEP_1)
	v_add_nc_u64_e32 v[20:21], v[14:15], v[20:21]
	v_add_nc_u64_e32 v[86:87], -1, v[20:21]
; %bb.5089:                             ;   in Loop: Header=BB4_4032 Depth=2
	s_or_b32 exec_lo, exec_lo, s42
	v_add_nc_u32_e32 v3, 0xffffff81, v113
	v_lshrrev_b32_e32 v15, 23, v14
	s_mov_b32 s7, exec_lo
	s_delay_alu instid0(VALU_DEP_2) | instskip(NEXT) | instid1(VALU_DEP_1)
	v_cndmask_b32_e64 v3, v3, 0xffffff82, vcc_lo
	v_add3_u32 v87, v75, v3, v15
	v_and_b32_e32 v3, 0xfffff, v86
	s_delay_alu instid0(VALU_DEP_2) | instskip(NEXT) | instid1(VALU_DEP_2)
	v_dual_mov_b32 v15, v37 :: v_dual_add_nc_u32 v86, 6, v87
	v_add_nc_u32_e32 v14, v3, v14
                                        ; implicit-def: $vgpr3
	s_delay_alu instid0(VALU_DEP_2)
	v_cmpx_ne_u32_e32 0, v86
	s_xor_b32 s7, exec_lo, s7
; %bb.5090:                             ;   in Loop: Header=BB4_4032 Depth=2
	s_delay_alu instid0(VALU_DEP_2) | instskip(SKIP_2) | instid1(VALU_DEP_2)
	v_cmp_lt_u64_e32 vcc_lo, 0xffffff, v[14:15]
	v_add_nc_u32_e32 v3, 7, v87
	v_cndmask_b32_e64 v20, 0, 1, vcc_lo
	v_cndmask_b32_e32 v3, v86, v3, vcc_lo
	s_delay_alu instid0(VALU_DEP_2)
	v_lshrrev_b64 v[14:15], v20, v[14:15]
; %bb.5091:                             ;   in Loop: Header=BB4_4032 Depth=2
	s_and_not1_saveexec_b32 s7, s7
; %bb.5092:                             ;   in Loop: Header=BB4_4032 Depth=2
	s_delay_alu instid0(VALU_DEP_1)
	v_bfe_u32 v3, v14, 23, 1
; %bb.5093:                             ;   in Loop: Header=BB4_4032 Depth=2
	s_or_b32 exec_lo, exec_lo, s7
	s_delay_alu instid0(VALU_DEP_2) | instskip(NEXT) | instid1(VALU_DEP_2)
	v_lshrrev_b64 v[14:15], 20, v[14:15]
	v_cmp_gt_i32_e32 vcc_lo, 16, v3
	v_min_i32_e32 v20, 15, v3
	v_cmp_eq_u32_e64 s7, 0, v3
	s_delay_alu instid0(VALU_DEP_2) | instskip(SKIP_1) | instid1(VALU_DEP_2)
	v_dual_cndmask_b32 v14, 7, v14, vcc_lo :: v_dual_lshlrev_b32 v20, 3, v20
	v_cndmask_b32_e32 v15, 0, v15, vcc_lo
	v_and_b32_e32 v20, 0xf8, v20
	s_delay_alu instid0(VALU_DEP_2) | instskip(NEXT) | instid1(VALU_DEP_2)
	v_cmp_eq_u64_e32 vcc_lo, 0, v[14:15]
	v_and_or_b32 v3, v14, 7, v20
	s_and_b32 s7, s7, vcc_lo
	s_delay_alu instid0(VALU_DEP_1) | instid1(SALU_CYCLE_1)
	v_cndmask_b32_e64 v3, v3, 0, s7
	s_delay_alu instid0(VALU_DEP_1)
	v_or_b32_e32 v75, v3, v2
.LBB4_5094:                             ;   in Loop: Header=BB4_4032 Depth=2
	s_or_b32 exec_lo, exec_lo, s41
                                        ; implicit-def: $vgpr2
.LBB4_5095:                             ;   in Loop: Header=BB4_4032 Depth=2
	s_and_not1_saveexec_b32 s7, s40
; %bb.5096:                             ;   in Loop: Header=BB4_4032 Depth=2
	v_or_b32_e32 v75, 0x7e, v2
; %bb.5097:                             ;   in Loop: Header=BB4_4032 Depth=2
	s_or_b32 exec_lo, exec_lo, s7
                                        ; implicit-def: $vgpr2
.LBB4_5098:                             ;   in Loop: Header=BB4_4032 Depth=2
	s_and_not1_saveexec_b32 s7, s29
; %bb.5099:                             ;   in Loop: Header=BB4_4032 Depth=2
	v_or_b32_e32 v75, 0x7f, v2
; %bb.5100:                             ;   in Loop: Header=BB4_4032 Depth=2
	s_or_b32 exec_lo, exec_lo, s7
	v_dual_lshrrev_b32 v86, 16, v36 :: v_dual_mov_b32 v2, 0
	v_mov_b32_e32 v3, 0
	s_mov_b32 s7, exec_lo
	s_delay_alu instid0(VALU_DEP_2) | instskip(NEXT) | instid1(VALU_DEP_1)
	v_and_b32_e32 v14, 0xff, v86
	v_cmpx_ne_u16_e32 0, v14
	s_cbranch_execz .LBB4_5108
; %bb.5101:                             ;   in Loop: Header=BB4_4032 Depth=2
	v_bfrev_b32_e32 v3, 1
	s_mov_b32 s29, exec_lo
	v_cmpx_ne_u16_e32 0x80, v14
	s_cbranch_execz .LBB4_5107
; %bb.5102:                             ;   in Loop: Header=BB4_4032 Depth=2
	v_bfe_u32 v87, v36, 16, 7
	v_mov_b32_e32 v3, 0x7f800001
	s_mov_b32 s40, exec_lo
	s_delay_alu instid0(VALU_DEP_2)
	v_cmpx_ne_u32_e32 0x7f, v87
	s_cbranch_execz .LBB4_5106
; %bb.5103:                             ;   in Loop: Header=BB4_4032 Depth=2
	v_dual_mov_b32 v15, v37 :: v_dual_bitop2_b32 v14, 7, v86 bitop3:0x40
	v_lshrrev_b32_e32 v3, 3, v87
	s_mov_b32 s41, exec_lo
	v_cmpx_gt_u32_e32 8, v87
; %bb.5104:                             ;   in Loop: Header=BB4_4032 Depth=2
	s_delay_alu instid0(VALU_DEP_3) | instskip(NEXT) | instid1(VALU_DEP_1)
	v_clz_i32_u32_e32 v3, v14
	v_min_u32_e32 v3, 32, v3
	s_delay_alu instid0(VALU_DEP_1) | instskip(NEXT) | instid1(VALU_DEP_1)
	v_subrev_nc_u32_e32 v20, 28, v3
	v_lshlrev_b64_e32 v[14:15], v20, v[14:15]
	s_delay_alu instid0(VALU_DEP_1)
	v_dual_sub_nc_u32 v3, 29, v3 :: v_dual_bitop2_b32 v14, 7, v14 bitop3:0x40
; %bb.5105:                             ;   in Loop: Header=BB4_4032 Depth=2
	s_or_b32 exec_lo, exec_lo, s41
	v_lshlrev_b32_e32 v15, 24, v86
	s_delay_alu instid0(VALU_DEP_2) | instskip(NEXT) | instid1(VALU_DEP_3)
	v_lshlrev_b32_e32 v14, 20, v14
	v_lshl_add_u32 v3, v3, 23, 0x3c000000
	s_delay_alu instid0(VALU_DEP_3) | instskip(NEXT) | instid1(VALU_DEP_1)
	v_and_b32_e32 v15, 0x80000000, v15
	v_or3_b32 v3, v14, v15, v3
.LBB4_5106:                             ;   in Loop: Header=BB4_4032 Depth=2
	s_or_b32 exec_lo, exec_lo, s40
.LBB4_5107:                             ;   in Loop: Header=BB4_4032 Depth=2
	s_delay_alu instid0(SALU_CYCLE_1)
	s_or_b32 exec_lo, exec_lo, s29
.LBB4_5108:                             ;   in Loop: Header=BB4_4032 Depth=2
	s_delay_alu instid0(SALU_CYCLE_1) | instskip(SKIP_2) | instid1(VALU_DEP_1)
	s_or_b32 exec_lo, exec_lo, s7
	v_lshrrev_b32_e32 v14, 16, v16
	s_mov_b32 s7, exec_lo
	v_and_b32_e32 v15, 0xff, v14
	s_delay_alu instid0(VALU_DEP_1)
	v_cmpx_ne_u16_e32 0, v15
	s_cbranch_execz .LBB4_5116
; %bb.5109:                             ;   in Loop: Header=BB4_4032 Depth=2
	v_bfrev_b32_e32 v2, 1
	s_mov_b32 s29, exec_lo
	v_cmpx_ne_u16_e32 0x80, v15
	s_cbranch_execz .LBB4_5115
; %bb.5110:                             ;   in Loop: Header=BB4_4032 Depth=2
	v_bfe_u32 v86, v16, 16, 7
	v_mov_b32_e32 v2, 0x7f800001
	s_mov_b32 s40, exec_lo
	s_delay_alu instid0(VALU_DEP_2)
	v_cmpx_ne_u32_e32 0x7f, v86
	s_cbranch_execz .LBB4_5114
; %bb.5111:                             ;   in Loop: Header=BB4_4032 Depth=2
	v_dual_mov_b32 v15, v37 :: v_dual_bitop2_b32 v14, 7, v14 bitop3:0x40
	v_lshrrev_b32_e32 v2, 3, v86
	s_mov_b32 s41, exec_lo
	v_cmpx_gt_u32_e32 8, v86
; %bb.5112:                             ;   in Loop: Header=BB4_4032 Depth=2
	s_delay_alu instid0(VALU_DEP_3) | instskip(NEXT) | instid1(VALU_DEP_1)
	v_clz_i32_u32_e32 v2, v14
	v_min_u32_e32 v2, 32, v2
	s_delay_alu instid0(VALU_DEP_1) | instskip(SKIP_1) | instid1(VALU_DEP_2)
	v_subrev_nc_u32_e32 v20, 28, v2
	v_sub_nc_u32_e32 v2, 29, v2
	v_lshlrev_b64_e32 v[14:15], v20, v[14:15]
	s_delay_alu instid0(VALU_DEP_1)
	v_and_b32_e32 v14, 7, v14
; %bb.5113:                             ;   in Loop: Header=BB4_4032 Depth=2
	s_or_b32 exec_lo, exec_lo, s41
	s_delay_alu instid0(VALU_DEP_1) | instskip(SKIP_1) | instid1(VALU_DEP_2)
	v_dual_lshlrev_b32 v15, 8, v16 :: v_dual_lshlrev_b32 v14, 20, v14
	v_lshl_add_u32 v2, v2, 23, 0x3c000000
	v_and_b32_e32 v15, 0x80000000, v15
	s_delay_alu instid0(VALU_DEP_1)
	v_or3_b32 v2, v14, v15, v2
.LBB4_5114:                             ;   in Loop: Header=BB4_4032 Depth=2
	s_or_b32 exec_lo, exec_lo, s40
.LBB4_5115:                             ;   in Loop: Header=BB4_4032 Depth=2
	s_delay_alu instid0(SALU_CYCLE_1)
	s_or_b32 exec_lo, exec_lo, s29
.LBB4_5116:                             ;   in Loop: Header=BB4_4032 Depth=2
	s_delay_alu instid0(SALU_CYCLE_1) | instskip(NEXT) | instid1(VALU_DEP_1)
	s_or_b32 exec_lo, exec_lo, s7
	v_dual_add_f32 v3, v3, v2 :: v_dual_mov_b32 v15, v37
                                        ; implicit-def: $vgpr77
	s_mov_b32 s7, exec_lo
	s_delay_alu instid0(VALU_DEP_1) | instskip(SKIP_1) | instid1(VALU_DEP_2)
	v_and_b32_e32 v14, 0x7f800000, v3
	v_lshrrev_b32_e32 v2, 24, v3
	v_cmpx_ne_u64_e32 0x7f800000, v[14:15]
	s_xor_b32 s29, exec_lo, s7
	s_cbranch_execz .LBB4_5130
; %bb.5117:                             ;   in Loop: Header=BB4_4032 Depth=2
	v_and_b32_e32 v14, 0x7fffffff, v3
	v_mov_b32_e32 v15, v37
	v_and_b32_e32 v2, 0x80, v2
                                        ; implicit-def: $vgpr77
	s_mov_b32 s7, exec_lo
	s_delay_alu instid0(VALU_DEP_2)
	v_cmpx_gt_u64_e32 0x43e00001, v[14:15]
	s_xor_b32 s40, exec_lo, s7
	s_cbranch_execz .LBB4_5127
; %bb.5118:                             ;   in Loop: Header=BB4_4032 Depth=2
	v_mov_b32_e32 v77, 0
	s_mov_b32 s41, exec_lo
	v_cmpx_ne_u32_e32 0, v3
	s_cbranch_execz .LBB4_5126
; %bb.5119:                             ;   in Loop: Header=BB4_4032 Depth=2
	v_bfe_u32 v113, v3, 23, 8
	v_and_b32_e32 v3, 0x7fffff, v3
	s_delay_alu instid0(VALU_DEP_2) | instskip(SKIP_1) | instid1(VALU_DEP_3)
	v_dual_mov_b32 v21, v37 :: v_dual_sub_nc_u32 v14, 0x79, v113
	v_cmp_gt_u32_e32 vcc_lo, 0x7a, v113
	v_or_b32_e32 v20, 0x800000, v3
	s_delay_alu instid0(VALU_DEP_3) | instskip(SKIP_1) | instid1(VALU_DEP_2)
	v_cndmask_b32_e32 v14, 0, v14, vcc_lo
	v_cmp_eq_u32_e32 vcc_lo, 0, v113
	v_cndmask_b32_e64 v77, v14, 0x78, vcc_lo
	s_delay_alu instid0(VALU_DEP_1) | instskip(SKIP_1) | instid1(VALU_DEP_2)
	v_dual_cndmask_b32 v20, v20, v3, vcc_lo :: v_dual_add_nc_u32 v14, 20, v77
	v_add_nc_u32_e32 v86, 19, v77
	v_lshlrev_b64_e64 v[14:15], v14, -1
	s_delay_alu instid0(VALU_DEP_2) | instskip(NEXT) | instid1(VALU_DEP_2)
	v_lshlrev_b64_e64 v[86:87], v86, 1
	v_bfi_b32 v79, v15, 0, 0
	s_delay_alu instid0(VALU_DEP_3) | instskip(SKIP_1) | instid1(VALU_DEP_2)
	v_bfi_b32 v78, v14, 0, v20
	v_lshrrev_b64 v[14:15], v77, v[20:21]
	v_cmp_eq_u64_e64 s7, v[78:79], v[86:87]
	s_delay_alu instid0(VALU_DEP_2)
	v_mov_b64_e32 v[86:87], v[14:15]
	s_and_saveexec_b32 s42, s7
; %bb.5120:                             ;   in Loop: Header=BB4_4032 Depth=2
	v_bfe_u32 v20, v14, 20, 1
	v_mov_b32_e32 v21, v37
	s_delay_alu instid0(VALU_DEP_1) | instskip(NEXT) | instid1(VALU_DEP_1)
	v_add_nc_u64_e32 v[20:21], v[14:15], v[20:21]
	v_add_nc_u64_e32 v[86:87], -1, v[20:21]
; %bb.5121:                             ;   in Loop: Header=BB4_4032 Depth=2
	s_or_b32 exec_lo, exec_lo, s42
	v_add_nc_u32_e32 v3, 0xffffff81, v113
	v_lshrrev_b32_e32 v15, 23, v14
	s_mov_b32 s7, exec_lo
	s_delay_alu instid0(VALU_DEP_2) | instskip(NEXT) | instid1(VALU_DEP_1)
	v_cndmask_b32_e64 v3, v3, 0xffffff82, vcc_lo
	v_add3_u32 v87, v77, v3, v15
	v_and_b32_e32 v3, 0xfffff, v86
	s_delay_alu instid0(VALU_DEP_2) | instskip(NEXT) | instid1(VALU_DEP_2)
	v_dual_mov_b32 v15, v37 :: v_dual_add_nc_u32 v86, 6, v87
	v_add_nc_u32_e32 v14, v3, v14
                                        ; implicit-def: $vgpr3
	s_delay_alu instid0(VALU_DEP_2)
	v_cmpx_ne_u32_e32 0, v86
	s_xor_b32 s7, exec_lo, s7
; %bb.5122:                             ;   in Loop: Header=BB4_4032 Depth=2
	s_delay_alu instid0(VALU_DEP_2) | instskip(SKIP_2) | instid1(VALU_DEP_2)
	v_cmp_lt_u64_e32 vcc_lo, 0xffffff, v[14:15]
	v_add_nc_u32_e32 v3, 7, v87
	v_cndmask_b32_e64 v20, 0, 1, vcc_lo
	v_cndmask_b32_e32 v3, v86, v3, vcc_lo
	s_delay_alu instid0(VALU_DEP_2)
	v_lshrrev_b64 v[14:15], v20, v[14:15]
; %bb.5123:                             ;   in Loop: Header=BB4_4032 Depth=2
	s_and_not1_saveexec_b32 s7, s7
; %bb.5124:                             ;   in Loop: Header=BB4_4032 Depth=2
	s_delay_alu instid0(VALU_DEP_1)
	v_bfe_u32 v3, v14, 23, 1
; %bb.5125:                             ;   in Loop: Header=BB4_4032 Depth=2
	s_or_b32 exec_lo, exec_lo, s7
	s_delay_alu instid0(VALU_DEP_2) | instskip(NEXT) | instid1(VALU_DEP_2)
	v_lshrrev_b64 v[14:15], 20, v[14:15]
	v_cmp_gt_i32_e32 vcc_lo, 16, v3
	v_min_i32_e32 v20, 15, v3
	v_cmp_eq_u32_e64 s7, 0, v3
	s_delay_alu instid0(VALU_DEP_2) | instskip(SKIP_1) | instid1(VALU_DEP_2)
	v_dual_cndmask_b32 v14, 7, v14, vcc_lo :: v_dual_lshlrev_b32 v20, 3, v20
	v_cndmask_b32_e32 v15, 0, v15, vcc_lo
	v_and_b32_e32 v20, 0xf8, v20
	s_delay_alu instid0(VALU_DEP_2) | instskip(NEXT) | instid1(VALU_DEP_2)
	v_cmp_eq_u64_e32 vcc_lo, 0, v[14:15]
	v_and_or_b32 v3, v14, 7, v20
	s_and_b32 s7, s7, vcc_lo
	s_delay_alu instid0(VALU_DEP_1) | instid1(SALU_CYCLE_1)
	v_cndmask_b32_e64 v3, v3, 0, s7
	s_delay_alu instid0(VALU_DEP_1)
	v_or_b32_e32 v77, v3, v2
.LBB4_5126:                             ;   in Loop: Header=BB4_4032 Depth=2
	s_or_b32 exec_lo, exec_lo, s41
                                        ; implicit-def: $vgpr2
.LBB4_5127:                             ;   in Loop: Header=BB4_4032 Depth=2
	s_and_not1_saveexec_b32 s7, s40
; %bb.5128:                             ;   in Loop: Header=BB4_4032 Depth=2
	v_or_b32_e32 v77, 0x7e, v2
; %bb.5129:                             ;   in Loop: Header=BB4_4032 Depth=2
	s_or_b32 exec_lo, exec_lo, s7
                                        ; implicit-def: $vgpr2
.LBB4_5130:                             ;   in Loop: Header=BB4_4032 Depth=2
	s_and_not1_saveexec_b32 s7, s29
; %bb.5131:                             ;   in Loop: Header=BB4_4032 Depth=2
	v_or_b32_e32 v77, 0x7f, v2
; %bb.5132:                             ;   in Loop: Header=BB4_4032 Depth=2
	s_or_b32 exec_lo, exec_lo, s7
	v_dual_mov_b32 v2, 0 :: v_dual_mov_b32 v3, 0
	s_mov_b32 s7, exec_lo
	v_cmpx_lt_u32_e32 0xffffff, v36
	s_cbranch_execz .LBB4_5140
; %bb.5133:                             ;   in Loop: Header=BB4_4032 Depth=2
	v_lshrrev_b32_e32 v14, 24, v36
	v_bfrev_b32_e32 v3, 1
	s_mov_b32 s29, exec_lo
	s_delay_alu instid0(VALU_DEP_2)
	v_cmpx_ne_u32_e32 0x80, v14
	s_cbranch_execz .LBB4_5139
; %bb.5134:                             ;   in Loop: Header=BB4_4032 Depth=2
	v_bfe_u32 v15, v36, 24, 7
	v_mov_b32_e32 v3, 0x7f800001
	s_mov_b32 s40, exec_lo
	s_delay_alu instid0(VALU_DEP_2)
	v_cmpx_ne_u32_e32 0x7f, v15
	s_cbranch_execz .LBB4_5138
; %bb.5135:                             ;   in Loop: Header=BB4_4032 Depth=2
	v_dual_lshrrev_b32 v3, 3, v15 :: v_dual_bitop2_b32 v36, 7, v14 bitop3:0x40
	s_mov_b32 s41, exec_lo
	v_cmpx_gt_u32_e32 8, v15
; %bb.5136:                             ;   in Loop: Header=BB4_4032 Depth=2
	s_delay_alu instid0(VALU_DEP_2) | instskip(NEXT) | instid1(VALU_DEP_1)
	v_clz_i32_u32_e32 v3, v36
	v_min_u32_e32 v3, 32, v3
	s_delay_alu instid0(VALU_DEP_1) | instskip(NEXT) | instid1(VALU_DEP_1)
	v_subrev_nc_u32_e32 v15, 28, v3
	v_lshlrev_b64_e32 v[20:21], v15, v[36:37]
	s_delay_alu instid0(VALU_DEP_1)
	v_dual_sub_nc_u32 v3, 29, v3 :: v_dual_bitop2_b32 v36, 7, v20 bitop3:0x40
; %bb.5137:                             ;   in Loop: Header=BB4_4032 Depth=2
	s_or_b32 exec_lo, exec_lo, s41
	s_delay_alu instid0(VALU_DEP_1) | instskip(NEXT) | instid1(VALU_DEP_2)
	v_dual_lshlrev_b32 v14, 24, v14 :: v_dual_lshlrev_b32 v15, 20, v36
	v_lshl_add_u32 v3, v3, 23, 0x3c000000
	s_delay_alu instid0(VALU_DEP_2) | instskip(NEXT) | instid1(VALU_DEP_1)
	v_and_b32_e32 v14, 0x80000000, v14
	v_or3_b32 v3, v15, v14, v3
.LBB4_5138:                             ;   in Loop: Header=BB4_4032 Depth=2
	s_or_b32 exec_lo, exec_lo, s40
.LBB4_5139:                             ;   in Loop: Header=BB4_4032 Depth=2
	s_delay_alu instid0(SALU_CYCLE_1)
	s_or_b32 exec_lo, exec_lo, s29
.LBB4_5140:                             ;   in Loop: Header=BB4_4032 Depth=2
	s_delay_alu instid0(SALU_CYCLE_1) | instskip(NEXT) | instid1(SALU_CYCLE_1)
	s_or_b32 exec_lo, exec_lo, s7
	s_mov_b32 s7, exec_lo
	v_cmpx_lt_u32_e32 0xffffff, v16
	s_cbranch_execz .LBB4_5148
; %bb.5141:                             ;   in Loop: Header=BB4_4032 Depth=2
	v_lshrrev_b32_e32 v14, 24, v16
	v_bfrev_b32_e32 v2, 1
	s_mov_b32 s29, exec_lo
	s_delay_alu instid0(VALU_DEP_2)
	v_cmpx_ne_u32_e32 0x80, v14
	s_cbranch_execz .LBB4_5147
; %bb.5142:                             ;   in Loop: Header=BB4_4032 Depth=2
	v_bfe_u32 v15, v16, 24, 7
	v_mov_b32_e32 v2, 0x7f800001
	s_mov_b32 s40, exec_lo
	s_delay_alu instid0(VALU_DEP_2)
	v_cmpx_ne_u32_e32 0x7f, v15
	s_cbranch_execz .LBB4_5146
; %bb.5143:                             ;   in Loop: Header=BB4_4032 Depth=2
	v_dual_lshrrev_b32 v2, 3, v15 :: v_dual_bitop2_b32 v36, 7, v14 bitop3:0x40
	s_mov_b32 s41, exec_lo
	v_cmpx_gt_u32_e32 8, v15
; %bb.5144:                             ;   in Loop: Header=BB4_4032 Depth=2
	s_delay_alu instid0(VALU_DEP_2) | instskip(NEXT) | instid1(VALU_DEP_1)
	v_clz_i32_u32_e32 v2, v36
	v_min_u32_e32 v2, 32, v2
	s_delay_alu instid0(VALU_DEP_1) | instskip(NEXT) | instid1(VALU_DEP_1)
	v_subrev_nc_u32_e32 v15, 28, v2
	v_lshlrev_b64_e32 v[20:21], v15, v[36:37]
	s_delay_alu instid0(VALU_DEP_1)
	v_dual_sub_nc_u32 v2, 29, v2 :: v_dual_bitop2_b32 v36, 7, v20 bitop3:0x40
; %bb.5145:                             ;   in Loop: Header=BB4_4032 Depth=2
	s_or_b32 exec_lo, exec_lo, s41
	s_delay_alu instid0(VALU_DEP_1) | instskip(NEXT) | instid1(VALU_DEP_2)
	v_dual_lshlrev_b32 v14, 24, v14 :: v_dual_lshlrev_b32 v15, 20, v36
	v_lshl_add_u32 v2, v2, 23, 0x3c000000
	s_delay_alu instid0(VALU_DEP_2) | instskip(NEXT) | instid1(VALU_DEP_1)
	v_and_b32_e32 v14, 0x80000000, v14
	v_or3_b32 v2, v15, v14, v2
.LBB4_5146:                             ;   in Loop: Header=BB4_4032 Depth=2
	s_or_b32 exec_lo, exec_lo, s40
.LBB4_5147:                             ;   in Loop: Header=BB4_4032 Depth=2
	s_delay_alu instid0(SALU_CYCLE_1)
	s_or_b32 exec_lo, exec_lo, s29
.LBB4_5148:                             ;   in Loop: Header=BB4_4032 Depth=2
	s_delay_alu instid0(SALU_CYCLE_1) | instskip(NEXT) | instid1(VALU_DEP_1)
	s_or_b32 exec_lo, exec_lo, s7
	v_add_f32_e32 v3, v3, v2
                                        ; implicit-def: $vgpr78
	s_mov_b32 s7, exec_lo
	s_delay_alu instid0(VALU_DEP_1) | instskip(SKIP_1) | instid1(VALU_DEP_2)
	v_and_b32_e32 v36, 0x7f800000, v3
	v_lshrrev_b32_e32 v2, 24, v3
	v_cmpx_ne_u64_e32 0x7f800000, v[36:37]
	s_xor_b32 s29, exec_lo, s7
	s_cbranch_execz .LBB4_5162
; %bb.5149:                             ;   in Loop: Header=BB4_4032 Depth=2
	v_and_b32_e32 v36, 0x7fffffff, v3
	v_and_b32_e32 v2, 0x80, v2
                                        ; implicit-def: $vgpr78
	s_mov_b32 s7, exec_lo
	s_delay_alu instid0(VALU_DEP_2)
	v_cmpx_gt_u64_e32 0x43e00001, v[36:37]
	s_xor_b32 s40, exec_lo, s7
	s_cbranch_execz .LBB4_5159
; %bb.5150:                             ;   in Loop: Header=BB4_4032 Depth=2
	v_mov_b32_e32 v78, 0
	s_mov_b32 s41, exec_lo
	v_cmpx_ne_u32_e32 0, v3
	s_cbranch_execz .LBB4_5158
; %bb.5151:                             ;   in Loop: Header=BB4_4032 Depth=2
	v_bfe_u32 v113, v3, 23, 8
	v_and_b32_e32 v3, 0x7fffff, v3
	s_delay_alu instid0(VALU_DEP_2) | instskip(SKIP_1) | instid1(VALU_DEP_3)
	v_sub_nc_u32_e32 v14, 0x79, v113
	v_cmp_gt_u32_e32 vcc_lo, 0x7a, v113
	v_or_b32_e32 v20, 0x800000, v3
	s_delay_alu instid0(VALU_DEP_3) | instskip(SKIP_1) | instid1(VALU_DEP_3)
	v_cndmask_b32_e32 v14, 0, v14, vcc_lo
	v_cmp_eq_u32_e32 vcc_lo, 0, v113
	v_cndmask_b32_e32 v36, v20, v3, vcc_lo
	s_delay_alu instid0(VALU_DEP_3) | instskip(NEXT) | instid1(VALU_DEP_1)
	v_cndmask_b32_e64 v78, v14, 0x78, vcc_lo
	v_dual_add_nc_u32 v14, 20, v78 :: v_dual_add_nc_u32 v21, 19, v78
	s_delay_alu instid0(VALU_DEP_1) | instskip(NEXT) | instid1(VALU_DEP_2)
	v_lshlrev_b64_e64 v[14:15], v14, -1
	v_lshlrev_b64_e64 v[20:21], v21, 1
	s_delay_alu instid0(VALU_DEP_2) | instskip(NEXT) | instid1(VALU_DEP_3)
	v_bfi_b32 v87, v15, 0, 0
	v_bfi_b32 v86, v14, 0, v36
	v_lshrrev_b64 v[14:15], v78, v[36:37]
	s_delay_alu instid0(VALU_DEP_2) | instskip(NEXT) | instid1(VALU_DEP_2)
	v_cmp_eq_u64_e64 s7, v[86:87], v[20:21]
	v_mov_b64_e32 v[86:87], v[14:15]
	s_and_saveexec_b32 s42, s7
; %bb.5152:                             ;   in Loop: Header=BB4_4032 Depth=2
	v_bfe_u32 v36, v14, 20, 1
	s_delay_alu instid0(VALU_DEP_1) | instskip(NEXT) | instid1(VALU_DEP_1)
	v_add_nc_u64_e32 v[20:21], v[14:15], v[36:37]
	v_add_nc_u64_e32 v[86:87], -1, v[20:21]
; %bb.5153:                             ;   in Loop: Header=BB4_4032 Depth=2
	s_or_b32 exec_lo, exec_lo, s42
	v_add_nc_u32_e32 v3, 0xffffff81, v113
	v_lshrrev_b32_e32 v15, 23, v14
	s_mov_b32 s7, exec_lo
	s_delay_alu instid0(VALU_DEP_2) | instskip(NEXT) | instid1(VALU_DEP_1)
	v_cndmask_b32_e64 v3, v3, 0xffffff82, vcc_lo
	v_add3_u32 v87, v78, v3, v15
	v_and_b32_e32 v3, 0xfffff, v86
	s_delay_alu instid0(VALU_DEP_1) | instskip(NEXT) | instid1(VALU_DEP_1)
	v_dual_add_nc_u32 v86, 6, v87 :: v_dual_add_nc_u32 v36, v3, v14
                                        ; implicit-def: $vgpr14_vgpr15
                                        ; implicit-def: $vgpr3
	v_cmpx_ne_u32_e32 0, v86
	s_xor_b32 s7, exec_lo, s7
; %bb.5154:                             ;   in Loop: Header=BB4_4032 Depth=2
	s_delay_alu instid0(VALU_DEP_2) | instskip(SKIP_2) | instid1(VALU_DEP_2)
	v_cmp_lt_u64_e32 vcc_lo, 0xffffff, v[36:37]
	v_add_nc_u32_e32 v3, 7, v87
	v_cndmask_b32_e64 v14, 0, 1, vcc_lo
	v_cndmask_b32_e32 v3, v86, v3, vcc_lo
	s_delay_alu instid0(VALU_DEP_2)
	v_lshrrev_b64 v[14:15], v14, v[36:37]
; %bb.5155:                             ;   in Loop: Header=BB4_4032 Depth=2
	s_and_not1_saveexec_b32 s7, s7
; %bb.5156:                             ;   in Loop: Header=BB4_4032 Depth=2
	v_mov_b64_e32 v[14:15], v[36:37]
	v_bfe_u32 v3, v36, 23, 1
; %bb.5157:                             ;   in Loop: Header=BB4_4032 Depth=2
	s_or_b32 exec_lo, exec_lo, s7
	s_delay_alu instid0(VALU_DEP_2) | instskip(NEXT) | instid1(VALU_DEP_2)
	v_lshrrev_b64 v[14:15], 20, v[14:15]
	v_cmp_gt_i32_e32 vcc_lo, 16, v3
	v_min_i32_e32 v20, 15, v3
	v_cmp_eq_u32_e64 s7, 0, v3
	s_delay_alu instid0(VALU_DEP_2) | instskip(SKIP_1) | instid1(VALU_DEP_2)
	v_dual_cndmask_b32 v14, 7, v14, vcc_lo :: v_dual_lshlrev_b32 v20, 3, v20
	v_cndmask_b32_e32 v15, 0, v15, vcc_lo
	v_and_b32_e32 v20, 0xf8, v20
	s_delay_alu instid0(VALU_DEP_2) | instskip(NEXT) | instid1(VALU_DEP_2)
	v_cmp_eq_u64_e32 vcc_lo, 0, v[14:15]
	v_and_or_b32 v3, v14, 7, v20
	s_and_b32 s7, s7, vcc_lo
	s_delay_alu instid0(VALU_DEP_1) | instid1(SALU_CYCLE_1)
	v_cndmask_b32_e64 v3, v3, 0, s7
	s_delay_alu instid0(VALU_DEP_1)
	v_or_b32_e32 v78, v3, v2
.LBB4_5158:                             ;   in Loop: Header=BB4_4032 Depth=2
	s_or_b32 exec_lo, exec_lo, s41
                                        ; implicit-def: $vgpr2
.LBB4_5159:                             ;   in Loop: Header=BB4_4032 Depth=2
	s_and_not1_saveexec_b32 s7, s40
; %bb.5160:                             ;   in Loop: Header=BB4_4032 Depth=2
	v_or_b32_e32 v78, 0x7e, v2
; %bb.5161:                             ;   in Loop: Header=BB4_4032 Depth=2
	s_or_b32 exec_lo, exec_lo, s7
                                        ; implicit-def: $vgpr2
.LBB4_5162:                             ;   in Loop: Header=BB4_4032 Depth=2
	s_and_not1_saveexec_b32 s7, s29
; %bb.5163:                             ;   in Loop: Header=BB4_4032 Depth=2
	v_or_b32_e32 v78, 0x7f, v2
; %bb.5164:                             ;   in Loop: Header=BB4_4032 Depth=2
	s_or_b32 exec_lo, exec_lo, s7
	v_dual_lshlrev_b32 v3, 24, v76 :: v_dual_lshlrev_b32 v15, 16, v74
	v_lshl_or_b32 v2, v63, 8, v58
	v_mov_b32_e32 v14, 0
	s_mov_b32 s7, exec_lo
	s_delay_alu instid0(VALU_DEP_2)
	v_or3_b32 v36, v15, v3, v2
	v_mov_b32_e32 v3, 0
	v_cmpx_ne_u32_e32 0, v58
	s_cbranch_execz .LBB4_5170
; %bb.5165:                             ;   in Loop: Header=BB4_4032 Depth=2
	v_bfrev_b32_e32 v3, 1
	s_mov_b32 s29, exec_lo
	v_cmpx_ne_u32_e32 0x80, v58
	s_cbranch_execz .LBB4_5169
; %bb.5166:                             ;   in Loop: Header=BB4_4032 Depth=2
	v_and_b32_e32 v15, 0x7f, v58
	v_mov_b32_e32 v3, 0x7f800001
	s_mov_b32 s40, exec_lo
	s_delay_alu instid0(VALU_DEP_2)
	v_cmpx_ne_u32_e32 0x7f, v15
	s_cbranch_execz .LBB4_5168
; %bb.5167:                             ;   in Loop: Header=BB4_4032 Depth=2
	v_dual_lshrrev_b32 v20, 3, v15 :: v_dual_bitop2_b32 v3, 7, v58 bitop3:0x40
	v_cmp_gt_u32_e32 vcc_lo, 8, v15
	s_delay_alu instid0(VALU_DEP_2) | instskip(NEXT) | instid1(VALU_DEP_1)
	v_clz_i32_u32_e32 v3, v3
	v_min_u32_e32 v3, 32, v3
	s_delay_alu instid0(VALU_DEP_1) | instskip(NEXT) | instid1(VALU_DEP_1)
	v_subrev_nc_u32_e32 v21, 28, v3
	v_dual_sub_nc_u32 v3, 29, v3 :: v_dual_cndmask_b32 v15, 0, v21, vcc_lo
	s_delay_alu instid0(VALU_DEP_1) | instskip(NEXT) | instid1(VALU_DEP_2)
	v_cndmask_b32_e32 v3, v20, v3, vcc_lo
	v_lshlrev_b64_e32 v[20:21], v15, v[36:37]
	v_lshlrev_b32_e32 v15, 24, v36
	s_delay_alu instid0(VALU_DEP_3) | instskip(NEXT) | instid1(VALU_DEP_2)
	v_lshl_add_u32 v3, v3, 23, 0x3c000000
	v_and_b32_e32 v15, 0x80000000, v15
	s_delay_alu instid0(VALU_DEP_4) | instskip(NEXT) | instid1(VALU_DEP_1)
	v_lshlrev_b32_e32 v20, 20, v20
	v_and_b32_e32 v20, 0x700000, v20
	s_delay_alu instid0(VALU_DEP_1)
	v_or3_b32 v3, v20, v15, v3
.LBB4_5168:                             ;   in Loop: Header=BB4_4032 Depth=2
	s_or_b32 exec_lo, exec_lo, s40
.LBB4_5169:                             ;   in Loop: Header=BB4_4032 Depth=2
	s_delay_alu instid0(SALU_CYCLE_1)
	s_or_b32 exec_lo, exec_lo, s29
.LBB4_5170:                             ;   in Loop: Header=BB4_4032 Depth=2
	s_delay_alu instid0(SALU_CYCLE_1) | instskip(SKIP_2) | instid1(VALU_DEP_1)
	s_or_b32 exec_lo, exec_lo, s7
	v_and_b32_e32 v15, 0xff, v17
	s_mov_b32 s7, exec_lo
	v_cmpx_ne_u16_e32 0, v15
	s_cbranch_execz .LBB4_5176
; %bb.5171:                             ;   in Loop: Header=BB4_4032 Depth=2
	v_bfrev_b32_e32 v14, 1
	s_mov_b32 s29, exec_lo
	v_cmpx_ne_u16_e32 0x80, v15
	s_cbranch_execz .LBB4_5175
; %bb.5172:                             ;   in Loop: Header=BB4_4032 Depth=2
	v_and_b32_e32 v15, 0x7f, v17
	v_mov_b32_e32 v14, 0x7f800001
	s_mov_b32 s40, exec_lo
	s_delay_alu instid0(VALU_DEP_2)
	v_cmpx_ne_u32_e32 0x7f, v15
	s_cbranch_execz .LBB4_5174
; %bb.5173:                             ;   in Loop: Header=BB4_4032 Depth=2
	v_dual_lshrrev_b32 v20, 3, v15 :: v_dual_bitop2_b32 v14, 7, v17 bitop3:0x40
	v_cmp_gt_u32_e32 vcc_lo, 8, v15
	s_delay_alu instid0(VALU_DEP_2) | instskip(NEXT) | instid1(VALU_DEP_1)
	v_clz_i32_u32_e32 v14, v14
	v_min_u32_e32 v14, 32, v14
	s_delay_alu instid0(VALU_DEP_1) | instskip(SKIP_2) | instid1(VALU_DEP_2)
	v_sub_nc_u32_e32 v21, 29, v14
	v_subrev_nc_u32_e32 v86, 28, v14
	v_dual_mov_b32 v14, v17 :: v_dual_mov_b32 v15, v37
	v_dual_cndmask_b32 v87, v20, v21 :: v_dual_cndmask_b32 v20, 0, v86
	s_delay_alu instid0(VALU_DEP_1) | instskip(NEXT) | instid1(VALU_DEP_1)
	v_lshlrev_b64_e32 v[20:21], v20, v[14:15]
	v_dual_lshlrev_b32 v14, 24, v14 :: v_dual_lshlrev_b32 v15, 20, v20
	s_delay_alu instid0(VALU_DEP_1) | instskip(NEXT) | instid1(VALU_DEP_4)
	v_and_b32_e32 v14, 0x80000000, v14
	v_lshl_add_u32 v20, v87, 23, 0x3c000000
	s_delay_alu instid0(VALU_DEP_3) | instskip(NEXT) | instid1(VALU_DEP_1)
	v_and_b32_e32 v15, 0x700000, v15
	v_or3_b32 v14, v15, v14, v20
.LBB4_5174:                             ;   in Loop: Header=BB4_4032 Depth=2
	s_or_b32 exec_lo, exec_lo, s40
.LBB4_5175:                             ;   in Loop: Header=BB4_4032 Depth=2
	s_delay_alu instid0(SALU_CYCLE_1)
	s_or_b32 exec_lo, exec_lo, s29
.LBB4_5176:                             ;   in Loop: Header=BB4_4032 Depth=2
	s_delay_alu instid0(SALU_CYCLE_1) | instskip(NEXT) | instid1(VALU_DEP_1)
	s_or_b32 exec_lo, exec_lo, s7
	v_dual_add_f32 v14, v3, v14 :: v_dual_mov_b32 v21, v37
                                        ; implicit-def: $vgpr58
	s_mov_b32 s7, exec_lo
	s_delay_alu instid0(VALU_DEP_1) | instskip(SKIP_1) | instid1(VALU_DEP_2)
	v_and_b32_e32 v20, 0x7f800000, v14
	v_lshrrev_b32_e32 v3, 24, v14
	v_cmpx_ne_u64_e32 0x7f800000, v[20:21]
	s_xor_b32 s29, exec_lo, s7
	s_cbranch_execz .LBB4_5190
; %bb.5177:                             ;   in Loop: Header=BB4_4032 Depth=2
	v_and_b32_e32 v20, 0x7fffffff, v14
	v_mov_b32_e32 v21, v37
	v_and_b32_e32 v3, 0x80, v3
                                        ; implicit-def: $vgpr58
	s_mov_b32 s7, exec_lo
	s_delay_alu instid0(VALU_DEP_2)
	v_cmpx_gt_u64_e32 0x43e00001, v[20:21]
	s_xor_b32 s40, exec_lo, s7
	s_cbranch_execz .LBB4_5187
; %bb.5178:                             ;   in Loop: Header=BB4_4032 Depth=2
	v_mov_b32_e32 v58, 0
	s_mov_b32 s41, exec_lo
	v_cmpx_ne_u32_e32 0, v14
	s_cbranch_execz .LBB4_5186
; %bb.5179:                             ;   in Loop: Header=BB4_4032 Depth=2
	v_bfe_u32 v113, v14, 23, 8
	v_and_b32_e32 v20, 0x7fffff, v14
	s_delay_alu instid0(VALU_DEP_2) | instskip(NEXT) | instid1(VALU_DEP_2)
	v_cmp_gt_u32_e32 vcc_lo, 0x7a, v113
	v_or_b32_e32 v21, 0x800000, v20
	v_sub_nc_u32_e32 v15, 0x79, v113
	s_delay_alu instid0(VALU_DEP_1) | instskip(SKIP_1) | instid1(VALU_DEP_2)
	v_cndmask_b32_e32 v15, 0, v15, vcc_lo
	v_cmp_eq_u32_e32 vcc_lo, 0, v113
	v_cndmask_b32_e64 v58, v15, 0x78, vcc_lo
	v_cndmask_b32_e32 v20, v21, v20, vcc_lo
	s_delay_alu instid0(VALU_DEP_2) | instskip(SKIP_1) | instid1(VALU_DEP_2)
	v_dual_mov_b32 v21, v37 :: v_dual_add_nc_u32 v86, 19, v58
	v_add_nc_u32_e32 v14, 20, v58
	v_lshlrev_b64_e64 v[86:87], v86, 1
	s_delay_alu instid0(VALU_DEP_2) | instskip(NEXT) | instid1(VALU_DEP_1)
	v_lshlrev_b64_e64 v[14:15], v14, -1
	v_bfi_b32 v89, v15, 0, 0
	s_delay_alu instid0(VALU_DEP_2) | instskip(SKIP_1) | instid1(VALU_DEP_2)
	v_bfi_b32 v88, v14, 0, v20
	v_lshrrev_b64 v[14:15], v58, v[20:21]
	v_cmp_eq_u64_e64 s7, v[88:89], v[86:87]
	s_delay_alu instid0(VALU_DEP_2)
	v_mov_b64_e32 v[86:87], v[14:15]
	s_and_saveexec_b32 s42, s7
; %bb.5180:                             ;   in Loop: Header=BB4_4032 Depth=2
	v_bfe_u32 v20, v14, 20, 1
	v_mov_b32_e32 v21, v37
	s_delay_alu instid0(VALU_DEP_1) | instskip(NEXT) | instid1(VALU_DEP_1)
	v_add_nc_u64_e32 v[20:21], v[14:15], v[20:21]
	v_add_nc_u64_e32 v[86:87], -1, v[20:21]
; %bb.5181:                             ;   in Loop: Header=BB4_4032 Depth=2
	s_or_b32 exec_lo, exec_lo, s42
	v_add_nc_u32_e32 v15, 0xffffff81, v113
	v_lshrrev_b32_e32 v20, 23, v14
	s_mov_b32 s7, exec_lo
	s_delay_alu instid0(VALU_DEP_2) | instskip(NEXT) | instid1(VALU_DEP_1)
	v_cndmask_b32_e64 v15, v15, 0xffffff82, vcc_lo
	v_add3_u32 v87, v58, v15, v20
	v_and_b32_e32 v15, 0xfffff, v86
                                        ; implicit-def: $vgpr86
	s_delay_alu instid0(VALU_DEP_1) | instskip(SKIP_1) | instid1(VALU_DEP_2)
	v_dual_add_nc_u32 v113, 6, v87 :: v_dual_add_nc_u32 v14, v15, v14
	v_mov_b32_e32 v15, v37
	v_cmpx_ne_u32_e32 0, v113
	s_xor_b32 s7, exec_lo, s7
; %bb.5182:                             ;   in Loop: Header=BB4_4032 Depth=2
	s_delay_alu instid0(VALU_DEP_2) | instskip(SKIP_1) | instid1(VALU_DEP_1)
	v_cmp_lt_u64_e32 vcc_lo, 0xffffff, v[14:15]
	v_add_nc_u32_e32 v20, 7, v87
	v_cndmask_b32_e32 v86, v113, v20, vcc_lo
	v_cndmask_b32_e64 v20, 0, 1, vcc_lo
	s_delay_alu instid0(VALU_DEP_1)
	v_lshrrev_b64 v[14:15], v20, v[14:15]
; %bb.5183:                             ;   in Loop: Header=BB4_4032 Depth=2
	s_and_not1_saveexec_b32 s7, s7
; %bb.5184:                             ;   in Loop: Header=BB4_4032 Depth=2
	s_delay_alu instid0(VALU_DEP_1)
	v_bfe_u32 v86, v14, 23, 1
; %bb.5185:                             ;   in Loop: Header=BB4_4032 Depth=2
	s_or_b32 exec_lo, exec_lo, s7
	s_delay_alu instid0(VALU_DEP_2) | instskip(NEXT) | instid1(VALU_DEP_2)
	v_lshrrev_b64 v[14:15], 20, v[14:15]
	v_cmp_gt_i32_e32 vcc_lo, 16, v86
	v_min_i32_e32 v20, 15, v86
	v_cmp_eq_u32_e64 s7, 0, v86
	s_delay_alu instid0(VALU_DEP_2) | instskip(SKIP_1) | instid1(VALU_DEP_2)
	v_dual_cndmask_b32 v15, 0, v15 :: v_dual_lshlrev_b32 v20, 3, v20
	v_cndmask_b32_e32 v14, 7, v14, vcc_lo
	v_and_b32_e32 v20, 0xf8, v20
	s_delay_alu instid0(VALU_DEP_2) | instskip(NEXT) | instid1(VALU_DEP_2)
	v_cmp_eq_u64_e32 vcc_lo, 0, v[14:15]
	v_and_or_b32 v14, v14, 7, v20
	s_and_b32 s7, s7, vcc_lo
	s_delay_alu instid0(VALU_DEP_1) | instid1(SALU_CYCLE_1)
	v_cndmask_b32_e64 v14, v14, 0, s7
	s_delay_alu instid0(VALU_DEP_1)
	v_or_b32_e32 v58, v14, v3
.LBB4_5186:                             ;   in Loop: Header=BB4_4032 Depth=2
	s_or_b32 exec_lo, exec_lo, s41
                                        ; implicit-def: $vgpr3
.LBB4_5187:                             ;   in Loop: Header=BB4_4032 Depth=2
	s_and_not1_saveexec_b32 s7, s40
; %bb.5188:                             ;   in Loop: Header=BB4_4032 Depth=2
	v_or_b32_e32 v58, 0x7e, v3
; %bb.5189:                             ;   in Loop: Header=BB4_4032 Depth=2
	s_or_b32 exec_lo, exec_lo, s7
                                        ; implicit-def: $vgpr3
.LBB4_5190:                             ;   in Loop: Header=BB4_4032 Depth=2
	s_and_not1_saveexec_b32 s7, s29
; %bb.5191:                             ;   in Loop: Header=BB4_4032 Depth=2
	v_or_b32_e32 v58, 0x7f, v3
; %bb.5192:                             ;   in Loop: Header=BB4_4032 Depth=2
	s_or_b32 exec_lo, exec_lo, s7
	v_lshrrev_b16 v14, 8, v2
	v_dual_mov_b32 v3, 0 :: v_dual_mov_b32 v86, 0
	s_mov_b32 s7, exec_lo
	s_delay_alu instid0(VALU_DEP_2)
	v_cmpx_ne_u16_e32 0, v14
	s_cbranch_execz .LBB4_5200
; %bb.5193:                             ;   in Loop: Header=BB4_4032 Depth=2
	v_bfrev_b32_e32 v86, 1
	s_mov_b32 s29, exec_lo
	v_cmpx_ne_u16_e32 0x80, v14
	s_cbranch_execz .LBB4_5199
; %bb.5194:                             ;   in Loop: Header=BB4_4032 Depth=2
	v_and_b32_e32 v14, 0xffff, v14
	v_mov_b32_e32 v86, 0x7f800001
	s_mov_b32 s40, exec_lo
	s_delay_alu instid0(VALU_DEP_2) | instskip(NEXT) | instid1(VALU_DEP_1)
	v_and_b32_e32 v87, 0x7f, v14
	v_cmpx_ne_u32_e32 0x7f, v87
	s_cbranch_execz .LBB4_5198
; %bb.5195:                             ;   in Loop: Header=BB4_4032 Depth=2
	v_dual_mov_b32 v15, v37 :: v_dual_bitop2_b32 v14, 7, v14 bitop3:0x40
	v_lshrrev_b32_e32 v86, 3, v87
	s_mov_b32 s41, exec_lo
	v_cmpx_gt_u32_e32 8, v87
; %bb.5196:                             ;   in Loop: Header=BB4_4032 Depth=2
	s_delay_alu instid0(VALU_DEP_3) | instskip(NEXT) | instid1(VALU_DEP_1)
	v_clz_i32_u32_e32 v20, v14
	v_min_u32_e32 v20, 32, v20
	s_delay_alu instid0(VALU_DEP_1) | instskip(NEXT) | instid1(VALU_DEP_1)
	v_subrev_nc_u32_e32 v21, 28, v20
	v_lshlrev_b64_e32 v[14:15], v21, v[14:15]
	s_delay_alu instid0(VALU_DEP_1)
	v_dual_sub_nc_u32 v86, 29, v20 :: v_dual_bitop2_b32 v14, 7, v14 bitop3:0x40
; %bb.5197:                             ;   in Loop: Header=BB4_4032 Depth=2
	s_or_b32 exec_lo, exec_lo, s41
	v_lshlrev_b32_e32 v2, 16, v2
	s_delay_alu instid0(VALU_DEP_2) | instskip(NEXT) | instid1(VALU_DEP_3)
	v_lshlrev_b32_e32 v14, 20, v14
	v_lshl_add_u32 v15, v86, 23, 0x3c000000
	s_delay_alu instid0(VALU_DEP_3) | instskip(NEXT) | instid1(VALU_DEP_1)
	v_and_b32_e32 v2, 0x80000000, v2
	v_or3_b32 v86, v14, v2, v15
.LBB4_5198:                             ;   in Loop: Header=BB4_4032 Depth=2
	s_or_b32 exec_lo, exec_lo, s40
.LBB4_5199:                             ;   in Loop: Header=BB4_4032 Depth=2
	s_delay_alu instid0(SALU_CYCLE_1)
	s_or_b32 exec_lo, exec_lo, s29
.LBB4_5200:                             ;   in Loop: Header=BB4_4032 Depth=2
	s_delay_alu instid0(SALU_CYCLE_1) | instskip(SKIP_2) | instid1(VALU_DEP_1)
	s_or_b32 exec_lo, exec_lo, s7
	v_lshrrev_b16 v2, 8, v17
	s_mov_b32 s7, exec_lo
	v_cmpx_ne_u16_e32 0, v2
	s_cbranch_execz .LBB4_5208
; %bb.5201:                             ;   in Loop: Header=BB4_4032 Depth=2
	v_bfrev_b32_e32 v3, 1
	s_mov_b32 s29, exec_lo
	v_cmpx_ne_u16_e32 0x80, v2
	s_cbranch_execz .LBB4_5207
; %bb.5202:                             ;   in Loop: Header=BB4_4032 Depth=2
	v_and_b32_e32 v2, 0xffff, v2
	v_mov_b32_e32 v3, 0x7f800001
	s_mov_b32 s40, exec_lo
	s_delay_alu instid0(VALU_DEP_2) | instskip(NEXT) | instid1(VALU_DEP_1)
	v_and_b32_e32 v87, 0x7f, v2
	v_cmpx_ne_u32_e32 0x7f, v87
	s_cbranch_execz .LBB4_5206
; %bb.5203:                             ;   in Loop: Header=BB4_4032 Depth=2
	v_dual_mov_b32 v15, v37 :: v_dual_bitop2_b32 v14, 7, v2 bitop3:0x40
	v_lshrrev_b32_e32 v2, 3, v87
	s_mov_b32 s41, exec_lo
	v_cmpx_gt_u32_e32 8, v87
; %bb.5204:                             ;   in Loop: Header=BB4_4032 Depth=2
	s_delay_alu instid0(VALU_DEP_3) | instskip(NEXT) | instid1(VALU_DEP_1)
	v_clz_i32_u32_e32 v2, v14
	v_min_u32_e32 v2, 32, v2
	s_delay_alu instid0(VALU_DEP_1) | instskip(SKIP_1) | instid1(VALU_DEP_2)
	v_subrev_nc_u32_e32 v3, 28, v2
	v_sub_nc_u32_e32 v2, 29, v2
	v_lshlrev_b64_e32 v[14:15], v3, v[14:15]
	s_delay_alu instid0(VALU_DEP_1)
	v_and_b32_e32 v14, 7, v14
; %bb.5205:                             ;   in Loop: Header=BB4_4032 Depth=2
	s_or_b32 exec_lo, exec_lo, s41
	s_delay_alu instid0(VALU_DEP_1) | instskip(SKIP_1) | instid1(VALU_DEP_2)
	v_dual_lshlrev_b32 v3, 16, v17 :: v_dual_lshlrev_b32 v14, 20, v14
	v_lshl_add_u32 v2, v2, 23, 0x3c000000
	v_and_b32_e32 v3, 0x80000000, v3
	s_delay_alu instid0(VALU_DEP_1)
	v_or3_b32 v3, v14, v3, v2
.LBB4_5206:                             ;   in Loop: Header=BB4_4032 Depth=2
	s_or_b32 exec_lo, exec_lo, s40
.LBB4_5207:                             ;   in Loop: Header=BB4_4032 Depth=2
	s_delay_alu instid0(SALU_CYCLE_1)
	s_or_b32 exec_lo, exec_lo, s29
.LBB4_5208:                             ;   in Loop: Header=BB4_4032 Depth=2
	s_delay_alu instid0(SALU_CYCLE_1) | instskip(NEXT) | instid1(VALU_DEP_1)
	s_or_b32 exec_lo, exec_lo, s7
	v_dual_add_f32 v3, v86, v3 :: v_dual_mov_b32 v15, v37
                                        ; implicit-def: $vgpr63
	s_mov_b32 s7, exec_lo
	s_delay_alu instid0(VALU_DEP_1) | instskip(SKIP_1) | instid1(VALU_DEP_2)
	v_and_b32_e32 v14, 0x7f800000, v3
	v_lshrrev_b32_e32 v2, 24, v3
	v_cmpx_ne_u64_e32 0x7f800000, v[14:15]
	s_xor_b32 s29, exec_lo, s7
	s_cbranch_execz .LBB4_5222
; %bb.5209:                             ;   in Loop: Header=BB4_4032 Depth=2
	v_and_b32_e32 v14, 0x7fffffff, v3
	v_mov_b32_e32 v15, v37
	v_and_b32_e32 v2, 0x80, v2
                                        ; implicit-def: $vgpr63
	s_mov_b32 s7, exec_lo
	s_delay_alu instid0(VALU_DEP_2)
	v_cmpx_gt_u64_e32 0x43e00001, v[14:15]
	s_xor_b32 s40, exec_lo, s7
	s_cbranch_execz .LBB4_5219
; %bb.5210:                             ;   in Loop: Header=BB4_4032 Depth=2
	v_mov_b32_e32 v63, 0
	s_mov_b32 s41, exec_lo
	v_cmpx_ne_u32_e32 0, v3
	s_cbranch_execz .LBB4_5218
; %bb.5211:                             ;   in Loop: Header=BB4_4032 Depth=2
	v_bfe_u32 v113, v3, 23, 8
	v_and_b32_e32 v3, 0x7fffff, v3
	s_delay_alu instid0(VALU_DEP_2) | instskip(SKIP_1) | instid1(VALU_DEP_3)
	v_dual_mov_b32 v21, v37 :: v_dual_sub_nc_u32 v14, 0x79, v113
	v_cmp_gt_u32_e32 vcc_lo, 0x7a, v113
	v_or_b32_e32 v20, 0x800000, v3
	s_delay_alu instid0(VALU_DEP_3) | instskip(SKIP_1) | instid1(VALU_DEP_2)
	v_cndmask_b32_e32 v14, 0, v14, vcc_lo
	v_cmp_eq_u32_e32 vcc_lo, 0, v113
	v_cndmask_b32_e64 v63, v14, 0x78, vcc_lo
	s_delay_alu instid0(VALU_DEP_4) | instskip(NEXT) | instid1(VALU_DEP_2)
	v_cndmask_b32_e32 v20, v20, v3, vcc_lo
	v_dual_add_nc_u32 v14, 20, v63 :: v_dual_add_nc_u32 v86, 19, v63
	s_delay_alu instid0(VALU_DEP_1) | instskip(NEXT) | instid1(VALU_DEP_2)
	v_lshlrev_b64_e64 v[14:15], v14, -1
	v_lshlrev_b64_e64 v[86:87], v86, 1
	s_delay_alu instid0(VALU_DEP_2) | instskip(NEXT) | instid1(VALU_DEP_3)
	v_bfi_b32 v89, v15, 0, 0
	v_bfi_b32 v88, v14, 0, v20
	v_lshrrev_b64 v[14:15], v63, v[20:21]
	s_delay_alu instid0(VALU_DEP_2) | instskip(NEXT) | instid1(VALU_DEP_2)
	v_cmp_eq_u64_e64 s7, v[88:89], v[86:87]
	v_mov_b64_e32 v[86:87], v[14:15]
	s_and_saveexec_b32 s42, s7
; %bb.5212:                             ;   in Loop: Header=BB4_4032 Depth=2
	v_bfe_u32 v20, v14, 20, 1
	v_mov_b32_e32 v21, v37
	s_delay_alu instid0(VALU_DEP_1) | instskip(NEXT) | instid1(VALU_DEP_1)
	v_add_nc_u64_e32 v[20:21], v[14:15], v[20:21]
	v_add_nc_u64_e32 v[86:87], -1, v[20:21]
; %bb.5213:                             ;   in Loop: Header=BB4_4032 Depth=2
	s_or_b32 exec_lo, exec_lo, s42
	v_add_nc_u32_e32 v3, 0xffffff81, v113
	v_lshrrev_b32_e32 v15, 23, v14
	s_mov_b32 s7, exec_lo
	s_delay_alu instid0(VALU_DEP_2) | instskip(NEXT) | instid1(VALU_DEP_1)
	v_cndmask_b32_e64 v3, v3, 0xffffff82, vcc_lo
	v_add3_u32 v87, v63, v3, v15
	v_and_b32_e32 v3, 0xfffff, v86
	s_delay_alu instid0(VALU_DEP_2) | instskip(NEXT) | instid1(VALU_DEP_2)
	v_dual_mov_b32 v15, v37 :: v_dual_add_nc_u32 v86, 6, v87
	v_add_nc_u32_e32 v14, v3, v14
                                        ; implicit-def: $vgpr3
	s_delay_alu instid0(VALU_DEP_2)
	v_cmpx_ne_u32_e32 0, v86
	s_xor_b32 s7, exec_lo, s7
; %bb.5214:                             ;   in Loop: Header=BB4_4032 Depth=2
	s_delay_alu instid0(VALU_DEP_2) | instskip(SKIP_2) | instid1(VALU_DEP_2)
	v_cmp_lt_u64_e32 vcc_lo, 0xffffff, v[14:15]
	v_add_nc_u32_e32 v3, 7, v87
	v_cndmask_b32_e64 v20, 0, 1, vcc_lo
	v_cndmask_b32_e32 v3, v86, v3, vcc_lo
	s_delay_alu instid0(VALU_DEP_2)
	v_lshrrev_b64 v[14:15], v20, v[14:15]
; %bb.5215:                             ;   in Loop: Header=BB4_4032 Depth=2
	s_and_not1_saveexec_b32 s7, s7
; %bb.5216:                             ;   in Loop: Header=BB4_4032 Depth=2
	s_delay_alu instid0(VALU_DEP_1)
	v_bfe_u32 v3, v14, 23, 1
; %bb.5217:                             ;   in Loop: Header=BB4_4032 Depth=2
	s_or_b32 exec_lo, exec_lo, s7
	s_delay_alu instid0(VALU_DEP_2) | instskip(NEXT) | instid1(VALU_DEP_2)
	v_lshrrev_b64 v[14:15], 20, v[14:15]
	v_cmp_gt_i32_e32 vcc_lo, 16, v3
	v_min_i32_e32 v20, 15, v3
	v_cmp_eq_u32_e64 s7, 0, v3
	s_delay_alu instid0(VALU_DEP_2) | instskip(SKIP_1) | instid1(VALU_DEP_2)
	v_dual_cndmask_b32 v14, 7, v14, vcc_lo :: v_dual_lshlrev_b32 v20, 3, v20
	v_cndmask_b32_e32 v15, 0, v15, vcc_lo
	v_and_b32_e32 v20, 0xf8, v20
	s_delay_alu instid0(VALU_DEP_2) | instskip(NEXT) | instid1(VALU_DEP_2)
	v_cmp_eq_u64_e32 vcc_lo, 0, v[14:15]
	v_and_or_b32 v3, v14, 7, v20
	s_and_b32 s7, s7, vcc_lo
	s_delay_alu instid0(VALU_DEP_1) | instid1(SALU_CYCLE_1)
	v_cndmask_b32_e64 v3, v3, 0, s7
	s_delay_alu instid0(VALU_DEP_1)
	v_or_b32_e32 v63, v3, v2
.LBB4_5218:                             ;   in Loop: Header=BB4_4032 Depth=2
	s_or_b32 exec_lo, exec_lo, s41
                                        ; implicit-def: $vgpr2
.LBB4_5219:                             ;   in Loop: Header=BB4_4032 Depth=2
	s_and_not1_saveexec_b32 s7, s40
; %bb.5220:                             ;   in Loop: Header=BB4_4032 Depth=2
	v_or_b32_e32 v63, 0x7e, v2
; %bb.5221:                             ;   in Loop: Header=BB4_4032 Depth=2
	s_or_b32 exec_lo, exec_lo, s7
                                        ; implicit-def: $vgpr2
.LBB4_5222:                             ;   in Loop: Header=BB4_4032 Depth=2
	s_and_not1_saveexec_b32 s7, s29
; %bb.5223:                             ;   in Loop: Header=BB4_4032 Depth=2
	v_or_b32_e32 v63, 0x7f, v2
; %bb.5224:                             ;   in Loop: Header=BB4_4032 Depth=2
	s_or_b32 exec_lo, exec_lo, s7
	v_dual_lshrrev_b32 v86, 16, v36 :: v_dual_mov_b32 v2, 0
	v_mov_b32_e32 v3, 0
	s_mov_b32 s7, exec_lo
	s_delay_alu instid0(VALU_DEP_2) | instskip(NEXT) | instid1(VALU_DEP_1)
	v_and_b32_e32 v14, 0xff, v86
	v_cmpx_ne_u16_e32 0, v14
	s_cbranch_execz .LBB4_5232
; %bb.5225:                             ;   in Loop: Header=BB4_4032 Depth=2
	v_bfrev_b32_e32 v3, 1
	s_mov_b32 s29, exec_lo
	v_cmpx_ne_u16_e32 0x80, v14
	s_cbranch_execz .LBB4_5231
; %bb.5226:                             ;   in Loop: Header=BB4_4032 Depth=2
	v_bfe_u32 v87, v36, 16, 7
	v_mov_b32_e32 v3, 0x7f800001
	s_mov_b32 s40, exec_lo
	s_delay_alu instid0(VALU_DEP_2)
	v_cmpx_ne_u32_e32 0x7f, v87
	s_cbranch_execz .LBB4_5230
; %bb.5227:                             ;   in Loop: Header=BB4_4032 Depth=2
	v_dual_mov_b32 v15, v37 :: v_dual_bitop2_b32 v14, 7, v86 bitop3:0x40
	v_lshrrev_b32_e32 v3, 3, v87
	s_mov_b32 s41, exec_lo
	v_cmpx_gt_u32_e32 8, v87
; %bb.5228:                             ;   in Loop: Header=BB4_4032 Depth=2
	s_delay_alu instid0(VALU_DEP_3) | instskip(NEXT) | instid1(VALU_DEP_1)
	v_clz_i32_u32_e32 v3, v14
	v_min_u32_e32 v3, 32, v3
	s_delay_alu instid0(VALU_DEP_1) | instskip(NEXT) | instid1(VALU_DEP_1)
	v_subrev_nc_u32_e32 v20, 28, v3
	v_lshlrev_b64_e32 v[14:15], v20, v[14:15]
	s_delay_alu instid0(VALU_DEP_1)
	v_dual_sub_nc_u32 v3, 29, v3 :: v_dual_bitop2_b32 v14, 7, v14 bitop3:0x40
; %bb.5229:                             ;   in Loop: Header=BB4_4032 Depth=2
	s_or_b32 exec_lo, exec_lo, s41
	v_lshlrev_b32_e32 v15, 24, v86
	s_delay_alu instid0(VALU_DEP_2) | instskip(NEXT) | instid1(VALU_DEP_3)
	v_lshlrev_b32_e32 v14, 20, v14
	v_lshl_add_u32 v3, v3, 23, 0x3c000000
	s_delay_alu instid0(VALU_DEP_3) | instskip(NEXT) | instid1(VALU_DEP_1)
	v_and_b32_e32 v15, 0x80000000, v15
	v_or3_b32 v3, v14, v15, v3
.LBB4_5230:                             ;   in Loop: Header=BB4_4032 Depth=2
	s_or_b32 exec_lo, exec_lo, s40
.LBB4_5231:                             ;   in Loop: Header=BB4_4032 Depth=2
	s_delay_alu instid0(SALU_CYCLE_1)
	s_or_b32 exec_lo, exec_lo, s29
.LBB4_5232:                             ;   in Loop: Header=BB4_4032 Depth=2
	s_delay_alu instid0(SALU_CYCLE_1) | instskip(SKIP_2) | instid1(VALU_DEP_1)
	s_or_b32 exec_lo, exec_lo, s7
	v_lshrrev_b32_e32 v14, 16, v17
	s_mov_b32 s7, exec_lo
	v_and_b32_e32 v15, 0xff, v14
	s_delay_alu instid0(VALU_DEP_1)
	v_cmpx_ne_u16_e32 0, v15
	s_cbranch_execz .LBB4_5240
; %bb.5233:                             ;   in Loop: Header=BB4_4032 Depth=2
	v_bfrev_b32_e32 v2, 1
	s_mov_b32 s29, exec_lo
	v_cmpx_ne_u16_e32 0x80, v15
	s_cbranch_execz .LBB4_5239
; %bb.5234:                             ;   in Loop: Header=BB4_4032 Depth=2
	v_bfe_u32 v86, v17, 16, 7
	v_mov_b32_e32 v2, 0x7f800001
	s_mov_b32 s40, exec_lo
	s_delay_alu instid0(VALU_DEP_2)
	v_cmpx_ne_u32_e32 0x7f, v86
	s_cbranch_execz .LBB4_5238
; %bb.5235:                             ;   in Loop: Header=BB4_4032 Depth=2
	v_dual_mov_b32 v15, v37 :: v_dual_bitop2_b32 v14, 7, v14 bitop3:0x40
	v_lshrrev_b32_e32 v2, 3, v86
	s_mov_b32 s41, exec_lo
	v_cmpx_gt_u32_e32 8, v86
; %bb.5236:                             ;   in Loop: Header=BB4_4032 Depth=2
	s_delay_alu instid0(VALU_DEP_3) | instskip(NEXT) | instid1(VALU_DEP_1)
	v_clz_i32_u32_e32 v2, v14
	v_min_u32_e32 v2, 32, v2
	s_delay_alu instid0(VALU_DEP_1) | instskip(SKIP_1) | instid1(VALU_DEP_2)
	v_subrev_nc_u32_e32 v20, 28, v2
	v_sub_nc_u32_e32 v2, 29, v2
	v_lshlrev_b64_e32 v[14:15], v20, v[14:15]
	s_delay_alu instid0(VALU_DEP_1)
	v_and_b32_e32 v14, 7, v14
; %bb.5237:                             ;   in Loop: Header=BB4_4032 Depth=2
	s_or_b32 exec_lo, exec_lo, s41
	s_delay_alu instid0(VALU_DEP_1) | instskip(SKIP_1) | instid1(VALU_DEP_2)
	v_dual_lshlrev_b32 v15, 8, v17 :: v_dual_lshlrev_b32 v14, 20, v14
	v_lshl_add_u32 v2, v2, 23, 0x3c000000
	v_and_b32_e32 v15, 0x80000000, v15
	s_delay_alu instid0(VALU_DEP_1)
	v_or3_b32 v2, v14, v15, v2
.LBB4_5238:                             ;   in Loop: Header=BB4_4032 Depth=2
	s_or_b32 exec_lo, exec_lo, s40
.LBB4_5239:                             ;   in Loop: Header=BB4_4032 Depth=2
	s_delay_alu instid0(SALU_CYCLE_1)
	s_or_b32 exec_lo, exec_lo, s29
.LBB4_5240:                             ;   in Loop: Header=BB4_4032 Depth=2
	s_delay_alu instid0(SALU_CYCLE_1) | instskip(NEXT) | instid1(VALU_DEP_1)
	s_or_b32 exec_lo, exec_lo, s7
	v_dual_add_f32 v3, v3, v2 :: v_dual_mov_b32 v15, v37
                                        ; implicit-def: $vgpr86
	s_mov_b32 s7, exec_lo
	s_delay_alu instid0(VALU_DEP_1) | instskip(SKIP_1) | instid1(VALU_DEP_2)
	v_and_b32_e32 v14, 0x7f800000, v3
	v_lshrrev_b32_e32 v2, 24, v3
	v_cmpx_ne_u64_e32 0x7f800000, v[14:15]
	s_xor_b32 s29, exec_lo, s7
	s_cbranch_execz .LBB4_5254
; %bb.5241:                             ;   in Loop: Header=BB4_4032 Depth=2
	v_and_b32_e32 v14, 0x7fffffff, v3
	v_mov_b32_e32 v15, v37
	v_and_b32_e32 v2, 0x80, v2
                                        ; implicit-def: $vgpr86
	s_mov_b32 s7, exec_lo
	s_delay_alu instid0(VALU_DEP_2)
	v_cmpx_gt_u64_e32 0x43e00001, v[14:15]
	s_xor_b32 s40, exec_lo, s7
	s_cbranch_execz .LBB4_5251
; %bb.5242:                             ;   in Loop: Header=BB4_4032 Depth=2
	v_mov_b32_e32 v86, 0
	s_mov_b32 s41, exec_lo
	v_cmpx_ne_u32_e32 0, v3
	s_cbranch_execz .LBB4_5250
; %bb.5243:                             ;   in Loop: Header=BB4_4032 Depth=2
	v_bfe_u32 v113, v3, 23, 8
	v_and_b32_e32 v3, 0x7fffff, v3
	s_delay_alu instid0(VALU_DEP_2) | instskip(SKIP_1) | instid1(VALU_DEP_3)
	v_dual_mov_b32 v21, v37 :: v_dual_sub_nc_u32 v14, 0x79, v113
	v_cmp_gt_u32_e32 vcc_lo, 0x7a, v113
	v_or_b32_e32 v20, 0x800000, v3
	s_delay_alu instid0(VALU_DEP_3) | instskip(SKIP_1) | instid1(VALU_DEP_3)
	v_cndmask_b32_e32 v14, 0, v14, vcc_lo
	v_cmp_eq_u32_e32 vcc_lo, 0, v113
	v_cndmask_b32_e32 v20, v20, v3, vcc_lo
	s_delay_alu instid0(VALU_DEP_3) | instskip(NEXT) | instid1(VALU_DEP_1)
	v_cndmask_b32_e64 v74, v14, 0x78, vcc_lo
	v_dual_add_nc_u32 v14, 20, v74 :: v_dual_add_nc_u32 v86, 19, v74
	s_delay_alu instid0(VALU_DEP_1) | instskip(NEXT) | instid1(VALU_DEP_2)
	v_lshlrev_b64_e64 v[14:15], v14, -1
	v_lshlrev_b64_e64 v[86:87], v86, 1
	s_delay_alu instid0(VALU_DEP_2) | instskip(NEXT) | instid1(VALU_DEP_3)
	v_bfi_b32 v89, v15, 0, 0
	v_bfi_b32 v88, v14, 0, v20
	v_lshrrev_b64 v[14:15], v74, v[20:21]
	s_delay_alu instid0(VALU_DEP_2) | instskip(NEXT) | instid1(VALU_DEP_2)
	v_cmp_eq_u64_e64 s7, v[88:89], v[86:87]
	v_mov_b64_e32 v[86:87], v[14:15]
	s_and_saveexec_b32 s42, s7
; %bb.5244:                             ;   in Loop: Header=BB4_4032 Depth=2
	v_bfe_u32 v20, v14, 20, 1
	v_mov_b32_e32 v21, v37
	s_delay_alu instid0(VALU_DEP_1) | instskip(NEXT) | instid1(VALU_DEP_1)
	v_add_nc_u64_e32 v[20:21], v[14:15], v[20:21]
	v_add_nc_u64_e32 v[86:87], -1, v[20:21]
; %bb.5245:                             ;   in Loop: Header=BB4_4032 Depth=2
	s_or_b32 exec_lo, exec_lo, s42
	v_add_nc_u32_e32 v3, 0xffffff81, v113
	v_lshrrev_b32_e32 v15, 23, v14
	s_mov_b32 s7, exec_lo
	s_delay_alu instid0(VALU_DEP_2) | instskip(NEXT) | instid1(VALU_DEP_1)
	v_cndmask_b32_e64 v3, v3, 0xffffff82, vcc_lo
	v_add3_u32 v87, v74, v3, v15
	v_and_b32_e32 v3, 0xfffff, v86
	s_delay_alu instid0(VALU_DEP_2) | instskip(NEXT) | instid1(VALU_DEP_2)
	v_dual_mov_b32 v15, v37 :: v_dual_add_nc_u32 v86, 6, v87
	v_add_nc_u32_e32 v14, v3, v14
                                        ; implicit-def: $vgpr3
	s_delay_alu instid0(VALU_DEP_2)
	v_cmpx_ne_u32_e32 0, v86
	s_xor_b32 s7, exec_lo, s7
; %bb.5246:                             ;   in Loop: Header=BB4_4032 Depth=2
	s_delay_alu instid0(VALU_DEP_2) | instskip(SKIP_2) | instid1(VALU_DEP_2)
	v_cmp_lt_u64_e32 vcc_lo, 0xffffff, v[14:15]
	v_add_nc_u32_e32 v3, 7, v87
	v_cndmask_b32_e64 v20, 0, 1, vcc_lo
	v_cndmask_b32_e32 v3, v86, v3, vcc_lo
	s_delay_alu instid0(VALU_DEP_2)
	v_lshrrev_b64 v[14:15], v20, v[14:15]
; %bb.5247:                             ;   in Loop: Header=BB4_4032 Depth=2
	s_and_not1_saveexec_b32 s7, s7
; %bb.5248:                             ;   in Loop: Header=BB4_4032 Depth=2
	s_delay_alu instid0(VALU_DEP_1)
	v_bfe_u32 v3, v14, 23, 1
; %bb.5249:                             ;   in Loop: Header=BB4_4032 Depth=2
	s_or_b32 exec_lo, exec_lo, s7
	s_delay_alu instid0(VALU_DEP_2) | instskip(NEXT) | instid1(VALU_DEP_2)
	v_lshrrev_b64 v[14:15], 20, v[14:15]
	v_cmp_gt_i32_e32 vcc_lo, 16, v3
	v_min_i32_e32 v20, 15, v3
	v_cmp_eq_u32_e64 s7, 0, v3
	s_delay_alu instid0(VALU_DEP_2) | instskip(SKIP_1) | instid1(VALU_DEP_2)
	v_dual_cndmask_b32 v14, 7, v14, vcc_lo :: v_dual_lshlrev_b32 v20, 3, v20
	v_cndmask_b32_e32 v15, 0, v15, vcc_lo
	v_and_b32_e32 v20, 0xf8, v20
	s_delay_alu instid0(VALU_DEP_2) | instskip(NEXT) | instid1(VALU_DEP_2)
	v_cmp_eq_u64_e32 vcc_lo, 0, v[14:15]
	v_and_or_b32 v3, v14, 7, v20
	s_and_b32 s7, s7, vcc_lo
	s_delay_alu instid0(VALU_DEP_1) | instid1(SALU_CYCLE_1)
	v_cndmask_b32_e64 v3, v3, 0, s7
	s_delay_alu instid0(VALU_DEP_1)
	v_or_b32_e32 v86, v3, v2
.LBB4_5250:                             ;   in Loop: Header=BB4_4032 Depth=2
	s_or_b32 exec_lo, exec_lo, s41
                                        ; implicit-def: $vgpr2
.LBB4_5251:                             ;   in Loop: Header=BB4_4032 Depth=2
	s_and_not1_saveexec_b32 s7, s40
; %bb.5252:                             ;   in Loop: Header=BB4_4032 Depth=2
	v_or_b32_e32 v86, 0x7e, v2
; %bb.5253:                             ;   in Loop: Header=BB4_4032 Depth=2
	s_or_b32 exec_lo, exec_lo, s7
                                        ; implicit-def: $vgpr2
.LBB4_5254:                             ;   in Loop: Header=BB4_4032 Depth=2
	s_and_not1_saveexec_b32 s7, s29
; %bb.5255:                             ;   in Loop: Header=BB4_4032 Depth=2
	v_or_b32_e32 v86, 0x7f, v2
; %bb.5256:                             ;   in Loop: Header=BB4_4032 Depth=2
	s_or_b32 exec_lo, exec_lo, s7
	v_dual_mov_b32 v2, 0 :: v_dual_mov_b32 v3, 0
	s_mov_b32 s7, exec_lo
	v_cmpx_lt_u32_e32 0xffffff, v36
	s_cbranch_execz .LBB4_5264
; %bb.5257:                             ;   in Loop: Header=BB4_4032 Depth=2
	v_lshrrev_b32_e32 v14, 24, v36
	v_bfrev_b32_e32 v3, 1
	s_mov_b32 s29, exec_lo
	s_delay_alu instid0(VALU_DEP_2)
	v_cmpx_ne_u32_e32 0x80, v14
	s_cbranch_execz .LBB4_5263
; %bb.5258:                             ;   in Loop: Header=BB4_4032 Depth=2
	v_bfe_u32 v15, v36, 24, 7
	v_mov_b32_e32 v3, 0x7f800001
	s_mov_b32 s40, exec_lo
	s_delay_alu instid0(VALU_DEP_2)
	v_cmpx_ne_u32_e32 0x7f, v15
	s_cbranch_execz .LBB4_5262
; %bb.5259:                             ;   in Loop: Header=BB4_4032 Depth=2
	v_dual_lshrrev_b32 v3, 3, v15 :: v_dual_bitop2_b32 v36, 7, v14 bitop3:0x40
	s_mov_b32 s41, exec_lo
	v_cmpx_gt_u32_e32 8, v15
; %bb.5260:                             ;   in Loop: Header=BB4_4032 Depth=2
	s_delay_alu instid0(VALU_DEP_2) | instskip(NEXT) | instid1(VALU_DEP_1)
	v_clz_i32_u32_e32 v3, v36
	v_min_u32_e32 v3, 32, v3
	s_delay_alu instid0(VALU_DEP_1) | instskip(NEXT) | instid1(VALU_DEP_1)
	v_subrev_nc_u32_e32 v15, 28, v3
	v_lshlrev_b64_e32 v[20:21], v15, v[36:37]
	s_delay_alu instid0(VALU_DEP_1)
	v_dual_sub_nc_u32 v3, 29, v3 :: v_dual_bitop2_b32 v36, 7, v20 bitop3:0x40
; %bb.5261:                             ;   in Loop: Header=BB4_4032 Depth=2
	s_or_b32 exec_lo, exec_lo, s41
	s_delay_alu instid0(VALU_DEP_1) | instskip(NEXT) | instid1(VALU_DEP_2)
	v_dual_lshlrev_b32 v14, 24, v14 :: v_dual_lshlrev_b32 v15, 20, v36
	v_lshl_add_u32 v3, v3, 23, 0x3c000000
	s_delay_alu instid0(VALU_DEP_2) | instskip(NEXT) | instid1(VALU_DEP_1)
	v_and_b32_e32 v14, 0x80000000, v14
	v_or3_b32 v3, v15, v14, v3
.LBB4_5262:                             ;   in Loop: Header=BB4_4032 Depth=2
	s_or_b32 exec_lo, exec_lo, s40
.LBB4_5263:                             ;   in Loop: Header=BB4_4032 Depth=2
	s_delay_alu instid0(SALU_CYCLE_1)
	s_or_b32 exec_lo, exec_lo, s29
.LBB4_5264:                             ;   in Loop: Header=BB4_4032 Depth=2
	s_delay_alu instid0(SALU_CYCLE_1) | instskip(NEXT) | instid1(SALU_CYCLE_1)
	s_or_b32 exec_lo, exec_lo, s7
	s_mov_b32 s7, exec_lo
	v_cmpx_lt_u64_e64 s[12:13], v[16:17]
	s_cbranch_execz .LBB4_5272
; %bb.5265:                             ;   in Loop: Header=BB4_4032 Depth=2
	v_lshrrev_b32_e32 v14, 24, v17
	v_bfrev_b32_e32 v2, 1
	s_mov_b32 s29, exec_lo
	s_delay_alu instid0(VALU_DEP_2)
	v_cmpx_ne_u32_e32 0x80, v14
	s_cbranch_execz .LBB4_5271
; %bb.5266:                             ;   in Loop: Header=BB4_4032 Depth=2
	v_bfe_u32 v15, v17, 24, 7
	v_mov_b32_e32 v2, 0x7f800001
	s_mov_b32 s40, exec_lo
	s_delay_alu instid0(VALU_DEP_2)
	v_cmpx_ne_u32_e32 0x7f, v15
	s_cbranch_execz .LBB4_5270
; %bb.5267:                             ;   in Loop: Header=BB4_4032 Depth=2
	v_dual_lshrrev_b32 v2, 3, v15 :: v_dual_bitop2_b32 v36, 7, v14 bitop3:0x40
	s_mov_b32 s41, exec_lo
	v_cmpx_gt_u32_e32 8, v15
; %bb.5268:                             ;   in Loop: Header=BB4_4032 Depth=2
	s_delay_alu instid0(VALU_DEP_2) | instskip(NEXT) | instid1(VALU_DEP_1)
	v_clz_i32_u32_e32 v2, v36
	v_min_u32_e32 v2, 32, v2
	s_delay_alu instid0(VALU_DEP_1) | instskip(NEXT) | instid1(VALU_DEP_1)
	v_subrev_nc_u32_e32 v15, 28, v2
	v_lshlrev_b64_e32 v[16:17], v15, v[36:37]
	s_delay_alu instid0(VALU_DEP_1)
	v_dual_sub_nc_u32 v2, 29, v2 :: v_dual_bitop2_b32 v36, 7, v16 bitop3:0x40
; %bb.5269:                             ;   in Loop: Header=BB4_4032 Depth=2
	s_or_b32 exec_lo, exec_lo, s41
	s_delay_alu instid0(VALU_DEP_1) | instskip(NEXT) | instid1(VALU_DEP_2)
	v_dual_lshlrev_b32 v14, 24, v14 :: v_dual_lshlrev_b32 v15, 20, v36
	v_lshl_add_u32 v2, v2, 23, 0x3c000000
	s_delay_alu instid0(VALU_DEP_2) | instskip(NEXT) | instid1(VALU_DEP_1)
	v_and_b32_e32 v14, 0x80000000, v14
	v_or3_b32 v2, v15, v14, v2
.LBB4_5270:                             ;   in Loop: Header=BB4_4032 Depth=2
	s_or_b32 exec_lo, exec_lo, s40
.LBB4_5271:                             ;   in Loop: Header=BB4_4032 Depth=2
	s_delay_alu instid0(SALU_CYCLE_1)
	s_or_b32 exec_lo, exec_lo, s29
.LBB4_5272:                             ;   in Loop: Header=BB4_4032 Depth=2
	s_delay_alu instid0(SALU_CYCLE_1) | instskip(NEXT) | instid1(VALU_DEP_1)
	s_or_b32 exec_lo, exec_lo, s7
	v_add_f32_e32 v3, v3, v2
                                        ; implicit-def: $vgpr87
	s_mov_b32 s7, exec_lo
	s_delay_alu instid0(VALU_DEP_1) | instskip(SKIP_1) | instid1(VALU_DEP_2)
	v_and_b32_e32 v36, 0x7f800000, v3
	v_lshrrev_b32_e32 v2, 24, v3
	v_cmpx_ne_u64_e32 0x7f800000, v[36:37]
	s_xor_b32 s29, exec_lo, s7
	s_cbranch_execz .LBB4_5286
; %bb.5273:                             ;   in Loop: Header=BB4_4032 Depth=2
	v_and_b32_e32 v36, 0x7fffffff, v3
	v_and_b32_e32 v2, 0x80, v2
                                        ; implicit-def: $vgpr87
	s_mov_b32 s7, exec_lo
	s_delay_alu instid0(VALU_DEP_2)
	v_cmpx_gt_u64_e32 0x43e00001, v[36:37]
	s_xor_b32 s40, exec_lo, s7
	s_cbranch_execz .LBB4_5283
; %bb.5274:                             ;   in Loop: Header=BB4_4032 Depth=2
	v_mov_b32_e32 v87, 0
	s_mov_b32 s41, exec_lo
	v_cmpx_ne_u32_e32 0, v3
	s_cbranch_execz .LBB4_5282
; %bb.5275:                             ;   in Loop: Header=BB4_4032 Depth=2
	v_bfe_u32 v87, v3, 23, 8
	v_and_b32_e32 v3, 0x7fffff, v3
	s_delay_alu instid0(VALU_DEP_2) | instskip(SKIP_1) | instid1(VALU_DEP_3)
	v_sub_nc_u32_e32 v14, 0x79, v87
	v_cmp_gt_u32_e32 vcc_lo, 0x7a, v87
	v_or_b32_e32 v16, 0x800000, v3
	s_delay_alu instid0(VALU_DEP_3) | instskip(SKIP_1) | instid1(VALU_DEP_2)
	v_cndmask_b32_e32 v14, 0, v14, vcc_lo
	v_cmp_eq_u32_e32 vcc_lo, 0, v87
	v_cndmask_b32_e64 v113, v14, 0x78, vcc_lo
	s_delay_alu instid0(VALU_DEP_1) | instskip(SKIP_1) | instid1(VALU_DEP_2)
	v_dual_cndmask_b32 v36, v16, v3, vcc_lo :: v_dual_add_nc_u32 v14, 20, v113
	v_add_nc_u32_e32 v17, 19, v113
	v_lshlrev_b64_e64 v[14:15], v14, -1
	s_delay_alu instid0(VALU_DEP_2) | instskip(NEXT) | instid1(VALU_DEP_2)
	v_lshlrev_b64_e64 v[16:17], v17, 1
	v_bfi_b32 v21, v15, 0, 0
	s_delay_alu instid0(VALU_DEP_3) | instskip(SKIP_1) | instid1(VALU_DEP_2)
	v_bfi_b32 v20, v14, 0, v36
	v_lshrrev_b64 v[14:15], v113, v[36:37]
	v_cmp_eq_u64_e64 s7, v[20:21], v[16:17]
	s_delay_alu instid0(VALU_DEP_2)
	v_mov_b64_e32 v[16:17], v[14:15]
	s_and_saveexec_b32 s42, s7
; %bb.5276:                             ;   in Loop: Header=BB4_4032 Depth=2
	v_bfe_u32 v36, v14, 20, 1
	s_delay_alu instid0(VALU_DEP_1) | instskip(NEXT) | instid1(VALU_DEP_1)
	v_add_nc_u64_e32 v[16:17], v[14:15], v[36:37]
	v_add_nc_u64_e32 v[16:17], -1, v[16:17]
; %bb.5277:                             ;   in Loop: Header=BB4_4032 Depth=2
	s_or_b32 exec_lo, exec_lo, s42
	v_add_nc_u32_e32 v3, 0xffffff81, v87
	v_lshrrev_b32_e32 v15, 23, v14
	s_mov_b32 s7, exec_lo
	s_delay_alu instid0(VALU_DEP_2) | instskip(NEXT) | instid1(VALU_DEP_1)
	v_cndmask_b32_e64 v3, v3, 0xffffff82, vcc_lo
	v_add3_u32 v17, v113, v3, v15
	v_and_b32_e32 v3, 0xfffff, v16
	s_delay_alu instid0(VALU_DEP_1) | instskip(NEXT) | instid1(VALU_DEP_1)
	v_dual_add_nc_u32 v16, 6, v17 :: v_dual_add_nc_u32 v36, v3, v14
                                        ; implicit-def: $vgpr14_vgpr15
                                        ; implicit-def: $vgpr3
	v_cmpx_ne_u32_e32 0, v16
	s_xor_b32 s7, exec_lo, s7
; %bb.5278:                             ;   in Loop: Header=BB4_4032 Depth=2
	s_delay_alu instid0(VALU_DEP_2) | instskip(SKIP_2) | instid1(VALU_DEP_2)
	v_cmp_lt_u64_e32 vcc_lo, 0xffffff, v[36:37]
	v_add_nc_u32_e32 v3, 7, v17
	v_cndmask_b32_e64 v14, 0, 1, vcc_lo
	v_cndmask_b32_e32 v3, v16, v3, vcc_lo
	s_delay_alu instid0(VALU_DEP_2)
	v_lshrrev_b64 v[14:15], v14, v[36:37]
; %bb.5279:                             ;   in Loop: Header=BB4_4032 Depth=2
	s_and_not1_saveexec_b32 s7, s7
; %bb.5280:                             ;   in Loop: Header=BB4_4032 Depth=2
	v_mov_b64_e32 v[14:15], v[36:37]
	v_bfe_u32 v3, v36, 23, 1
; %bb.5281:                             ;   in Loop: Header=BB4_4032 Depth=2
	s_or_b32 exec_lo, exec_lo, s7
	s_delay_alu instid0(VALU_DEP_2) | instskip(NEXT) | instid1(VALU_DEP_2)
	v_lshrrev_b64 v[14:15], 20, v[14:15]
	v_cmp_gt_i32_e32 vcc_lo, 16, v3
	v_min_i32_e32 v16, 15, v3
	v_cmp_eq_u32_e64 s7, 0, v3
	s_delay_alu instid0(VALU_DEP_2) | instskip(SKIP_1) | instid1(VALU_DEP_2)
	v_dual_cndmask_b32 v14, 7, v14, vcc_lo :: v_dual_lshlrev_b32 v16, 3, v16
	v_cndmask_b32_e32 v15, 0, v15, vcc_lo
	v_and_b32_e32 v16, 0xf8, v16
	s_delay_alu instid0(VALU_DEP_2) | instskip(NEXT) | instid1(VALU_DEP_2)
	v_cmp_eq_u64_e32 vcc_lo, 0, v[14:15]
	v_and_or_b32 v3, v14, 7, v16
	s_and_b32 s7, s7, vcc_lo
	s_delay_alu instid0(VALU_DEP_1) | instid1(SALU_CYCLE_1)
	v_cndmask_b32_e64 v3, v3, 0, s7
	s_delay_alu instid0(VALU_DEP_1)
	v_or_b32_e32 v87, v3, v2
.LBB4_5282:                             ;   in Loop: Header=BB4_4032 Depth=2
	s_or_b32 exec_lo, exec_lo, s41
                                        ; implicit-def: $vgpr2
.LBB4_5283:                             ;   in Loop: Header=BB4_4032 Depth=2
	s_and_not1_saveexec_b32 s7, s40
; %bb.5284:                             ;   in Loop: Header=BB4_4032 Depth=2
	v_or_b32_e32 v87, 0x7e, v2
; %bb.5285:                             ;   in Loop: Header=BB4_4032 Depth=2
	s_or_b32 exec_lo, exec_lo, s7
                                        ; implicit-def: $vgpr2
.LBB4_5286:                             ;   in Loop: Header=BB4_4032 Depth=2
	s_and_not1_saveexec_b32 s7, s29
; %bb.5287:                             ;   in Loop: Header=BB4_4032 Depth=2
	v_or_b32_e32 v87, 0x7f, v2
; %bb.5288:                             ;   in Loop: Header=BB4_4032 Depth=2
	s_or_b32 exec_lo, exec_lo, s7
	v_lshl_or_b32 v2, v59, 8, v45
	v_dual_mov_b32 v3, 0 :: v_dual_lshlrev_b32 v14, 16, v61
	v_lshlrev_b32_e32 v15, 24, v73
	s_mov_b32 s7, exec_lo
	s_delay_alu instid0(VALU_DEP_1)
	v_or3_b32 v36, v14, v15, v2
	v_mov_b32_e32 v14, 0
	v_cmpx_ne_u32_e32 0, v45
	s_cbranch_execz .LBB4_5294
; %bb.5289:                             ;   in Loop: Header=BB4_4032 Depth=2
	v_bfrev_b32_e32 v14, 1
	s_mov_b32 s29, exec_lo
	v_cmpx_ne_u32_e32 0x80, v45
	s_cbranch_execz .LBB4_5293
; %bb.5290:                             ;   in Loop: Header=BB4_4032 Depth=2
	v_and_b32_e32 v15, 0x7f, v45
	v_mov_b32_e32 v14, 0x7f800001
	s_mov_b32 s40, exec_lo
	s_delay_alu instid0(VALU_DEP_2)
	v_cmpx_ne_u32_e32 0x7f, v15
	s_cbranch_execz .LBB4_5292
; %bb.5291:                             ;   in Loop: Header=BB4_4032 Depth=2
	v_dual_lshrrev_b32 v16, 3, v15 :: v_dual_bitop2_b32 v14, 7, v45 bitop3:0x40
	v_cmp_gt_u32_e32 vcc_lo, 8, v15
	s_delay_alu instid0(VALU_DEP_2) | instskip(NEXT) | instid1(VALU_DEP_1)
	v_clz_i32_u32_e32 v14, v14
	v_min_u32_e32 v14, 32, v14
	s_delay_alu instid0(VALU_DEP_1) | instskip(SKIP_1) | instid1(VALU_DEP_1)
	v_subrev_nc_u32_e32 v17, 28, v14
	v_sub_nc_u32_e32 v14, 29, v14
	v_dual_cndmask_b32 v16, v16, v14, vcc_lo :: v_dual_cndmask_b32 v14, 0, v17, vcc_lo
	s_delay_alu instid0(VALU_DEP_1) | instskip(NEXT) | instid1(VALU_DEP_2)
	v_lshl_add_u32 v16, v16, 23, 0x3c000000
	v_lshlrev_b64_e32 v[14:15], v14, v[36:37]
	v_lshlrev_b32_e32 v15, 24, v36
	s_delay_alu instid0(VALU_DEP_1) | instskip(NEXT) | instid1(VALU_DEP_3)
	v_and_b32_e32 v15, 0x80000000, v15
	v_lshlrev_b32_e32 v14, 20, v14
	s_delay_alu instid0(VALU_DEP_1) | instskip(NEXT) | instid1(VALU_DEP_1)
	v_and_b32_e32 v14, 0x700000, v14
	v_or3_b32 v14, v14, v15, v16
.LBB4_5292:                             ;   in Loop: Header=BB4_4032 Depth=2
	s_or_b32 exec_lo, exec_lo, s40
.LBB4_5293:                             ;   in Loop: Header=BB4_4032 Depth=2
	s_delay_alu instid0(SALU_CYCLE_1)
	s_or_b32 exec_lo, exec_lo, s29
.LBB4_5294:                             ;   in Loop: Header=BB4_4032 Depth=2
	s_delay_alu instid0(SALU_CYCLE_1) | instskip(SKIP_3) | instid1(VALU_DEP_1)
	s_or_b32 exec_lo, exec_lo, s7
	s_wait_loadcnt 0x0
	v_and_b32_e32 v15, 0xff, v10
	s_mov_b32 s7, exec_lo
	v_cmpx_ne_u16_e32 0, v15
	s_cbranch_execz .LBB4_5300
; %bb.5295:                             ;   in Loop: Header=BB4_4032 Depth=2
	v_bfrev_b32_e32 v3, 1
	s_mov_b32 s29, exec_lo
	v_cmpx_ne_u16_e32 0x80, v15
	s_cbranch_execz .LBB4_5299
; %bb.5296:                             ;   in Loop: Header=BB4_4032 Depth=2
	v_and_b32_e32 v15, 0x7f, v10
	v_mov_b32_e32 v3, 0x7f800001
	s_mov_b32 s40, exec_lo
	s_delay_alu instid0(VALU_DEP_2)
	v_cmpx_ne_u32_e32 0x7f, v15
	s_cbranch_execz .LBB4_5298
; %bb.5297:                             ;   in Loop: Header=BB4_4032 Depth=2
	v_dual_lshrrev_b32 v16, 3, v15 :: v_dual_bitop2_b32 v3, 7, v10 bitop3:0x40
	v_cmp_gt_u32_e32 vcc_lo, 8, v15
	s_delay_alu instid0(VALU_DEP_2) | instskip(NEXT) | instid1(VALU_DEP_1)
	v_clz_i32_u32_e32 v3, v3
	v_min_u32_e32 v3, 32, v3
	s_delay_alu instid0(VALU_DEP_1) | instskip(NEXT) | instid1(VALU_DEP_1)
	v_subrev_nc_u32_e32 v17, 28, v3
	v_dual_sub_nc_u32 v3, 29, v3 :: v_dual_cndmask_b32 v15, 0, v17, vcc_lo
	s_delay_alu instid0(VALU_DEP_1) | instskip(NEXT) | instid1(VALU_DEP_2)
	v_cndmask_b32_e32 v3, v16, v3, vcc_lo
	v_lshlrev_b64_e32 v[16:17], v15, v[10:11]
	v_lshlrev_b32_e32 v15, 24, v10
	s_delay_alu instid0(VALU_DEP_3) | instskip(NEXT) | instid1(VALU_DEP_2)
	v_lshl_add_u32 v3, v3, 23, 0x3c000000
	v_and_b32_e32 v15, 0x80000000, v15
	s_delay_alu instid0(VALU_DEP_4) | instskip(NEXT) | instid1(VALU_DEP_1)
	v_lshlrev_b32_e32 v16, 20, v16
	v_and_b32_e32 v16, 0x700000, v16
	s_delay_alu instid0(VALU_DEP_1)
	v_or3_b32 v3, v16, v15, v3
.LBB4_5298:                             ;   in Loop: Header=BB4_4032 Depth=2
	s_or_b32 exec_lo, exec_lo, s40
.LBB4_5299:                             ;   in Loop: Header=BB4_4032 Depth=2
	s_delay_alu instid0(SALU_CYCLE_1)
	s_or_b32 exec_lo, exec_lo, s29
.LBB4_5300:                             ;   in Loop: Header=BB4_4032 Depth=2
	s_delay_alu instid0(SALU_CYCLE_1) | instskip(NEXT) | instid1(VALU_DEP_1)
	s_or_b32 exec_lo, exec_lo, s7
	v_dual_add_f32 v14, v14, v3 :: v_dual_mov_b32 v17, v37
                                        ; implicit-def: $vgpr45
	s_mov_b32 s7, exec_lo
	s_delay_alu instid0(VALU_DEP_1) | instskip(SKIP_1) | instid1(VALU_DEP_2)
	v_and_b32_e32 v16, 0x7f800000, v14
	v_lshrrev_b32_e32 v3, 24, v14
	v_cmpx_ne_u64_e32 0x7f800000, v[16:17]
	s_xor_b32 s29, exec_lo, s7
	s_cbranch_execz .LBB4_5314
; %bb.5301:                             ;   in Loop: Header=BB4_4032 Depth=2
	v_and_b32_e32 v16, 0x7fffffff, v14
	v_mov_b32_e32 v17, v37
	v_and_b32_e32 v3, 0x80, v3
                                        ; implicit-def: $vgpr45
	s_mov_b32 s7, exec_lo
	s_delay_alu instid0(VALU_DEP_2)
	v_cmpx_gt_u64_e32 0x43e00001, v[16:17]
	s_xor_b32 s40, exec_lo, s7
	s_cbranch_execz .LBB4_5311
; %bb.5302:                             ;   in Loop: Header=BB4_4032 Depth=2
	v_mov_b32_e32 v45, 0
	s_mov_b32 s41, exec_lo
	v_cmpx_ne_u32_e32 0, v14
	s_cbranch_execz .LBB4_5310
; %bb.5303:                             ;   in Loop: Header=BB4_4032 Depth=2
	v_bfe_u32 v113, v14, 23, 8
	v_and_b32_e32 v16, 0x7fffff, v14
	s_mov_b32 s42, exec_lo
	s_delay_alu instid0(VALU_DEP_2) | instskip(NEXT) | instid1(VALU_DEP_2)
	v_cmp_gt_u32_e32 vcc_lo, 0x7a, v113
	v_or_b32_e32 v17, 0x800000, v16
	v_sub_nc_u32_e32 v15, 0x79, v113
	s_delay_alu instid0(VALU_DEP_1) | instskip(SKIP_1) | instid1(VALU_DEP_2)
	v_cndmask_b32_e32 v15, 0, v15, vcc_lo
	v_cmp_eq_u32_e32 vcc_lo, 0, v113
	v_cndmask_b32_e64 v45, v15, 0x78, vcc_lo
	v_cndmask_b32_e32 v16, v17, v16, vcc_lo
	s_delay_alu instid0(VALU_DEP_2) | instskip(SKIP_1) | instid1(VALU_DEP_2)
	v_dual_mov_b32 v17, v37 :: v_dual_add_nc_u32 v20, 19, v45
	v_add_nc_u32_e32 v14, 20, v45
	v_lshlrev_b64_e64 v[20:21], v20, 1
	s_delay_alu instid0(VALU_DEP_2) | instskip(NEXT) | instid1(VALU_DEP_1)
	v_lshlrev_b64_e64 v[14:15], v14, -1
	v_bfi_b32 v89, v15, 0, 0
	s_delay_alu instid0(VALU_DEP_2) | instskip(SKIP_1) | instid1(VALU_DEP_1)
	v_bfi_b32 v88, v14, 0, v16
	v_lshrrev_b64 v[14:15], v45, v[16:17]
	v_mov_b64_e32 v[16:17], v[14:15]
	s_delay_alu instid0(VALU_DEP_3)
	v_cmpx_eq_u64_e64 v[88:89], v[20:21]
; %bb.5304:                             ;   in Loop: Header=BB4_4032 Depth=2
	v_bfe_u32 v16, v14, 20, 1
	v_mov_b32_e32 v17, v37
	s_delay_alu instid0(VALU_DEP_1) | instskip(NEXT) | instid1(VALU_DEP_1)
	v_add_nc_u64_e32 v[16:17], v[14:15], v[16:17]
	v_add_nc_u64_e32 v[16:17], -1, v[16:17]
; %bb.5305:                             ;   in Loop: Header=BB4_4032 Depth=2
	s_or_b32 exec_lo, exec_lo, s42
	v_add_nc_u32_e32 v15, 0xffffff81, v113
	v_lshrrev_b32_e32 v17, 23, v14
	s_mov_b32 s7, exec_lo
	s_delay_alu instid0(VALU_DEP_2) | instskip(NEXT) | instid1(VALU_DEP_1)
	v_cndmask_b32_e64 v15, v15, 0xffffff82, vcc_lo
	v_add3_u32 v17, v45, v15, v17
	v_and_b32_e32 v15, 0xfffff, v16
                                        ; implicit-def: $vgpr16
	s_delay_alu instid0(VALU_DEP_1) | instskip(SKIP_1) | instid1(VALU_DEP_2)
	v_dual_add_nc_u32 v113, 6, v17 :: v_dual_add_nc_u32 v14, v15, v14
	v_mov_b32_e32 v15, v37
	v_cmpx_ne_u32_e32 0, v113
	s_xor_b32 s7, exec_lo, s7
; %bb.5306:                             ;   in Loop: Header=BB4_4032 Depth=2
	s_delay_alu instid0(VALU_DEP_2) | instskip(SKIP_2) | instid1(VALU_DEP_2)
	v_cmp_lt_u64_e32 vcc_lo, 0xffffff, v[14:15]
	v_add_nc_u32_e32 v16, 7, v17
	v_cndmask_b32_e64 v17, 0, 1, vcc_lo
	v_cndmask_b32_e32 v16, v113, v16, vcc_lo
	s_delay_alu instid0(VALU_DEP_2)
	v_lshrrev_b64 v[14:15], v17, v[14:15]
; %bb.5307:                             ;   in Loop: Header=BB4_4032 Depth=2
	s_and_not1_saveexec_b32 s7, s7
; %bb.5308:                             ;   in Loop: Header=BB4_4032 Depth=2
	s_delay_alu instid0(VALU_DEP_1)
	v_bfe_u32 v16, v14, 23, 1
; %bb.5309:                             ;   in Loop: Header=BB4_4032 Depth=2
	s_or_b32 exec_lo, exec_lo, s7
	s_delay_alu instid0(VALU_DEP_2) | instskip(NEXT) | instid1(VALU_DEP_2)
	v_lshrrev_b64 v[14:15], 20, v[14:15]
	v_cmp_gt_i32_e32 vcc_lo, 16, v16
	v_min_i32_e32 v17, 15, v16
	v_cmp_eq_u32_e64 s7, 0, v16
	s_delay_alu instid0(VALU_DEP_2) | instskip(SKIP_1) | instid1(VALU_DEP_2)
	v_dual_cndmask_b32 v15, 0, v15, vcc_lo :: v_dual_lshlrev_b32 v17, 3, v17
	v_cndmask_b32_e32 v14, 7, v14, vcc_lo
	v_and_b32_e32 v17, 0xf8, v17
	s_delay_alu instid0(VALU_DEP_2) | instskip(NEXT) | instid1(VALU_DEP_2)
	v_cmp_eq_u64_e32 vcc_lo, 0, v[14:15]
	v_and_or_b32 v14, v14, 7, v17
	s_and_b32 s7, s7, vcc_lo
	s_delay_alu instid0(VALU_DEP_1) | instid1(SALU_CYCLE_1)
	v_cndmask_b32_e64 v14, v14, 0, s7
	s_delay_alu instid0(VALU_DEP_1)
	v_or_b32_e32 v45, v14, v3
.LBB4_5310:                             ;   in Loop: Header=BB4_4032 Depth=2
	s_or_b32 exec_lo, exec_lo, s41
                                        ; implicit-def: $vgpr3
.LBB4_5311:                             ;   in Loop: Header=BB4_4032 Depth=2
	s_and_not1_saveexec_b32 s7, s40
; %bb.5312:                             ;   in Loop: Header=BB4_4032 Depth=2
	v_or_b32_e32 v45, 0x7e, v3
; %bb.5313:                             ;   in Loop: Header=BB4_4032 Depth=2
	s_or_b32 exec_lo, exec_lo, s7
                                        ; implicit-def: $vgpr3
.LBB4_5314:                             ;   in Loop: Header=BB4_4032 Depth=2
	s_and_not1_saveexec_b32 s7, s29
; %bb.5315:                             ;   in Loop: Header=BB4_4032 Depth=2
	v_or_b32_e32 v45, 0x7f, v3
; %bb.5316:                             ;   in Loop: Header=BB4_4032 Depth=2
	s_or_b32 exec_lo, exec_lo, s7
	v_lshrrev_b16 v14, 8, v2
	v_dual_mov_b32 v3, 0 :: v_dual_mov_b32 v16, 0
	s_mov_b32 s7, exec_lo
	s_delay_alu instid0(VALU_DEP_2)
	v_cmpx_ne_u16_e32 0, v14
	s_cbranch_execz .LBB4_5324
; %bb.5317:                             ;   in Loop: Header=BB4_4032 Depth=2
	v_bfrev_b32_e32 v16, 1
	s_mov_b32 s29, exec_lo
	v_cmpx_ne_u16_e32 0x80, v14
	s_cbranch_execz .LBB4_5323
; %bb.5318:                             ;   in Loop: Header=BB4_4032 Depth=2
	v_and_b32_e32 v14, 0xffff, v14
	v_mov_b32_e32 v16, 0x7f800001
	s_mov_b32 s40, exec_lo
	s_delay_alu instid0(VALU_DEP_2) | instskip(NEXT) | instid1(VALU_DEP_1)
	v_and_b32_e32 v17, 0x7f, v14
	v_cmpx_ne_u32_e32 0x7f, v17
	s_cbranch_execz .LBB4_5322
; %bb.5319:                             ;   in Loop: Header=BB4_4032 Depth=2
	v_dual_mov_b32 v15, v37 :: v_dual_bitop2_b32 v14, 7, v14 bitop3:0x40
	v_lshrrev_b32_e32 v16, 3, v17
	s_mov_b32 s41, exec_lo
	v_cmpx_gt_u32_e32 8, v17
; %bb.5320:                             ;   in Loop: Header=BB4_4032 Depth=2
	s_delay_alu instid0(VALU_DEP_3) | instskip(NEXT) | instid1(VALU_DEP_1)
	v_clz_i32_u32_e32 v16, v14
	v_min_u32_e32 v16, 32, v16
	s_delay_alu instid0(VALU_DEP_1) | instskip(NEXT) | instid1(VALU_DEP_1)
	v_subrev_nc_u32_e32 v17, 28, v16
	v_lshlrev_b64_e32 v[14:15], v17, v[14:15]
	s_delay_alu instid0(VALU_DEP_1)
	v_dual_sub_nc_u32 v16, 29, v16 :: v_dual_bitop2_b32 v14, 7, v14 bitop3:0x40
; %bb.5321:                             ;   in Loop: Header=BB4_4032 Depth=2
	s_or_b32 exec_lo, exec_lo, s41
	v_lshlrev_b32_e32 v2, 16, v2
	s_delay_alu instid0(VALU_DEP_2) | instskip(NEXT) | instid1(VALU_DEP_3)
	v_lshlrev_b32_e32 v14, 20, v14
	v_lshl_add_u32 v15, v16, 23, 0x3c000000
	s_delay_alu instid0(VALU_DEP_3) | instskip(NEXT) | instid1(VALU_DEP_1)
	v_and_b32_e32 v2, 0x80000000, v2
	v_or3_b32 v16, v14, v2, v15
.LBB4_5322:                             ;   in Loop: Header=BB4_4032 Depth=2
	s_or_b32 exec_lo, exec_lo, s40
.LBB4_5323:                             ;   in Loop: Header=BB4_4032 Depth=2
	s_delay_alu instid0(SALU_CYCLE_1)
	s_or_b32 exec_lo, exec_lo, s29
.LBB4_5324:                             ;   in Loop: Header=BB4_4032 Depth=2
	s_delay_alu instid0(SALU_CYCLE_1) | instskip(SKIP_2) | instid1(VALU_DEP_1)
	s_or_b32 exec_lo, exec_lo, s7
	v_lshrrev_b16 v2, 8, v10
	s_mov_b32 s7, exec_lo
	v_cmpx_ne_u16_e32 0, v2
	s_cbranch_execz .LBB4_5332
; %bb.5325:                             ;   in Loop: Header=BB4_4032 Depth=2
	v_bfrev_b32_e32 v3, 1
	s_mov_b32 s29, exec_lo
	v_cmpx_ne_u16_e32 0x80, v2
	s_cbranch_execz .LBB4_5331
; %bb.5326:                             ;   in Loop: Header=BB4_4032 Depth=2
	v_and_b32_e32 v2, 0xffff, v2
	v_mov_b32_e32 v3, 0x7f800001
	s_mov_b32 s40, exec_lo
	s_delay_alu instid0(VALU_DEP_2) | instskip(NEXT) | instid1(VALU_DEP_1)
	v_and_b32_e32 v17, 0x7f, v2
	v_cmpx_ne_u32_e32 0x7f, v17
	s_cbranch_execz .LBB4_5330
; %bb.5327:                             ;   in Loop: Header=BB4_4032 Depth=2
	v_dual_mov_b32 v15, v37 :: v_dual_bitop2_b32 v14, 7, v2 bitop3:0x40
	v_lshrrev_b32_e32 v2, 3, v17
	s_mov_b32 s41, exec_lo
	v_cmpx_gt_u32_e32 8, v17
; %bb.5328:                             ;   in Loop: Header=BB4_4032 Depth=2
	s_delay_alu instid0(VALU_DEP_3) | instskip(NEXT) | instid1(VALU_DEP_1)
	v_clz_i32_u32_e32 v2, v14
	v_min_u32_e32 v2, 32, v2
	s_delay_alu instid0(VALU_DEP_1) | instskip(SKIP_1) | instid1(VALU_DEP_2)
	v_subrev_nc_u32_e32 v3, 28, v2
	v_sub_nc_u32_e32 v2, 29, v2
	v_lshlrev_b64_e32 v[14:15], v3, v[14:15]
	s_delay_alu instid0(VALU_DEP_1)
	v_and_b32_e32 v14, 7, v14
; %bb.5329:                             ;   in Loop: Header=BB4_4032 Depth=2
	s_or_b32 exec_lo, exec_lo, s41
	v_lshlrev_b32_e32 v3, 16, v10
	s_delay_alu instid0(VALU_DEP_2) | instskip(SKIP_1) | instid1(VALU_DEP_3)
	v_lshlrev_b32_e32 v14, 20, v14
	v_lshl_add_u32 v2, v2, 23, 0x3c000000
	v_and_b32_e32 v3, 0x80000000, v3
	s_delay_alu instid0(VALU_DEP_1)
	v_or3_b32 v3, v14, v3, v2
.LBB4_5330:                             ;   in Loop: Header=BB4_4032 Depth=2
	s_or_b32 exec_lo, exec_lo, s40
.LBB4_5331:                             ;   in Loop: Header=BB4_4032 Depth=2
	s_delay_alu instid0(SALU_CYCLE_1)
	s_or_b32 exec_lo, exec_lo, s29
.LBB4_5332:                             ;   in Loop: Header=BB4_4032 Depth=2
	s_delay_alu instid0(SALU_CYCLE_1) | instskip(NEXT) | instid1(VALU_DEP_1)
	s_or_b32 exec_lo, exec_lo, s7
	v_dual_add_f32 v3, v16, v3 :: v_dual_mov_b32 v15, v37
                                        ; implicit-def: $vgpr59
	s_mov_b32 s7, exec_lo
	s_delay_alu instid0(VALU_DEP_1) | instskip(SKIP_1) | instid1(VALU_DEP_2)
	v_and_b32_e32 v14, 0x7f800000, v3
	v_lshrrev_b32_e32 v2, 24, v3
	v_cmpx_ne_u64_e32 0x7f800000, v[14:15]
	s_xor_b32 s29, exec_lo, s7
	s_cbranch_execz .LBB4_5346
; %bb.5333:                             ;   in Loop: Header=BB4_4032 Depth=2
	v_and_b32_e32 v14, 0x7fffffff, v3
	v_mov_b32_e32 v15, v37
	v_and_b32_e32 v2, 0x80, v2
                                        ; implicit-def: $vgpr59
	s_mov_b32 s7, exec_lo
	s_delay_alu instid0(VALU_DEP_2)
	v_cmpx_gt_u64_e32 0x43e00001, v[14:15]
	s_xor_b32 s40, exec_lo, s7
	s_cbranch_execz .LBB4_5343
; %bb.5334:                             ;   in Loop: Header=BB4_4032 Depth=2
	v_mov_b32_e32 v59, 0
	s_mov_b32 s41, exec_lo
	v_cmpx_ne_u32_e32 0, v3
	s_cbranch_execz .LBB4_5342
; %bb.5335:                             ;   in Loop: Header=BB4_4032 Depth=2
	v_bfe_u32 v113, v3, 23, 8
	v_and_b32_e32 v3, 0x7fffff, v3
	s_mov_b32 s42, exec_lo
	s_delay_alu instid0(VALU_DEP_2) | instskip(SKIP_1) | instid1(VALU_DEP_3)
	v_dual_mov_b32 v17, v37 :: v_dual_sub_nc_u32 v14, 0x79, v113
	v_cmp_gt_u32_e32 vcc_lo, 0x7a, v113
	v_or_b32_e32 v16, 0x800000, v3
	s_delay_alu instid0(VALU_DEP_3) | instskip(SKIP_1) | instid1(VALU_DEP_2)
	v_cndmask_b32_e32 v14, 0, v14, vcc_lo
	v_cmp_eq_u32_e32 vcc_lo, 0, v113
	v_cndmask_b32_e64 v59, v14, 0x78, vcc_lo
	s_delay_alu instid0(VALU_DEP_4) | instskip(NEXT) | instid1(VALU_DEP_2)
	v_cndmask_b32_e32 v16, v16, v3, vcc_lo
	v_dual_add_nc_u32 v14, 20, v59 :: v_dual_add_nc_u32 v20, 19, v59
	s_delay_alu instid0(VALU_DEP_1) | instskip(NEXT) | instid1(VALU_DEP_2)
	v_lshlrev_b64_e64 v[14:15], v14, -1
	v_lshlrev_b64_e64 v[20:21], v20, 1
	s_delay_alu instid0(VALU_DEP_2) | instskip(NEXT) | instid1(VALU_DEP_3)
	v_bfi_b32 v89, v15, 0, 0
	v_bfi_b32 v88, v14, 0, v16
	v_lshrrev_b64 v[14:15], v59, v[16:17]
	s_delay_alu instid0(VALU_DEP_1) | instskip(NEXT) | instid1(VALU_DEP_3)
	v_mov_b64_e32 v[16:17], v[14:15]
	v_cmpx_eq_u64_e64 v[88:89], v[20:21]
; %bb.5336:                             ;   in Loop: Header=BB4_4032 Depth=2
	v_bfe_u32 v16, v14, 20, 1
	v_mov_b32_e32 v17, v37
	s_delay_alu instid0(VALU_DEP_1) | instskip(NEXT) | instid1(VALU_DEP_1)
	v_add_nc_u64_e32 v[16:17], v[14:15], v[16:17]
	v_add_nc_u64_e32 v[16:17], -1, v[16:17]
; %bb.5337:                             ;   in Loop: Header=BB4_4032 Depth=2
	s_or_b32 exec_lo, exec_lo, s42
	v_add_nc_u32_e32 v3, 0xffffff81, v113
	v_lshrrev_b32_e32 v15, 23, v14
	s_mov_b32 s7, exec_lo
	s_delay_alu instid0(VALU_DEP_2) | instskip(NEXT) | instid1(VALU_DEP_1)
	v_cndmask_b32_e64 v3, v3, 0xffffff82, vcc_lo
	v_add3_u32 v17, v59, v3, v15
	v_and_b32_e32 v3, 0xfffff, v16
	s_delay_alu instid0(VALU_DEP_2) | instskip(NEXT) | instid1(VALU_DEP_2)
	v_dual_mov_b32 v15, v37 :: v_dual_add_nc_u32 v16, 6, v17
	v_add_nc_u32_e32 v14, v3, v14
                                        ; implicit-def: $vgpr3
	s_delay_alu instid0(VALU_DEP_2)
	v_cmpx_ne_u32_e32 0, v16
	s_xor_b32 s7, exec_lo, s7
; %bb.5338:                             ;   in Loop: Header=BB4_4032 Depth=2
	s_delay_alu instid0(VALU_DEP_2) | instskip(SKIP_1) | instid1(VALU_DEP_1)
	v_cmp_lt_u64_e32 vcc_lo, 0xffffff, v[14:15]
	v_add_nc_u32_e32 v3, 7, v17
	v_cndmask_b32_e32 v3, v16, v3, vcc_lo
	v_cndmask_b32_e64 v16, 0, 1, vcc_lo
	s_delay_alu instid0(VALU_DEP_1)
	v_lshrrev_b64 v[14:15], v16, v[14:15]
; %bb.5339:                             ;   in Loop: Header=BB4_4032 Depth=2
	s_and_not1_saveexec_b32 s7, s7
; %bb.5340:                             ;   in Loop: Header=BB4_4032 Depth=2
	s_delay_alu instid0(VALU_DEP_1)
	v_bfe_u32 v3, v14, 23, 1
; %bb.5341:                             ;   in Loop: Header=BB4_4032 Depth=2
	s_or_b32 exec_lo, exec_lo, s7
	s_delay_alu instid0(VALU_DEP_2) | instskip(NEXT) | instid1(VALU_DEP_2)
	v_lshrrev_b64 v[14:15], 20, v[14:15]
	v_cmp_gt_i32_e32 vcc_lo, 16, v3
	v_min_i32_e32 v16, 15, v3
	v_cmp_eq_u32_e64 s7, 0, v3
	s_delay_alu instid0(VALU_DEP_2) | instskip(SKIP_1) | instid1(VALU_DEP_2)
	v_dual_cndmask_b32 v14, 7, v14, vcc_lo :: v_dual_lshlrev_b32 v16, 3, v16
	v_cndmask_b32_e32 v15, 0, v15, vcc_lo
	v_and_b32_e32 v16, 0xf8, v16
	s_delay_alu instid0(VALU_DEP_2) | instskip(NEXT) | instid1(VALU_DEP_2)
	v_cmp_eq_u64_e32 vcc_lo, 0, v[14:15]
	v_and_or_b32 v3, v14, 7, v16
	s_and_b32 s7, s7, vcc_lo
	s_delay_alu instid0(VALU_DEP_1) | instid1(SALU_CYCLE_1)
	v_cndmask_b32_e64 v3, v3, 0, s7
	s_delay_alu instid0(VALU_DEP_1)
	v_or_b32_e32 v59, v3, v2
.LBB4_5342:                             ;   in Loop: Header=BB4_4032 Depth=2
	s_or_b32 exec_lo, exec_lo, s41
                                        ; implicit-def: $vgpr2
.LBB4_5343:                             ;   in Loop: Header=BB4_4032 Depth=2
	s_and_not1_saveexec_b32 s7, s40
; %bb.5344:                             ;   in Loop: Header=BB4_4032 Depth=2
	v_or_b32_e32 v59, 0x7e, v2
; %bb.5345:                             ;   in Loop: Header=BB4_4032 Depth=2
	s_or_b32 exec_lo, exec_lo, s7
                                        ; implicit-def: $vgpr2
.LBB4_5346:                             ;   in Loop: Header=BB4_4032 Depth=2
	s_and_not1_saveexec_b32 s7, s29
; %bb.5347:                             ;   in Loop: Header=BB4_4032 Depth=2
	v_or_b32_e32 v59, 0x7f, v2
; %bb.5348:                             ;   in Loop: Header=BB4_4032 Depth=2
	s_or_b32 exec_lo, exec_lo, s7
	v_dual_lshrrev_b32 v16, 16, v36 :: v_dual_mov_b32 v2, 0
	v_mov_b32_e32 v3, 0
	s_mov_b32 s7, exec_lo
	s_delay_alu instid0(VALU_DEP_2) | instskip(NEXT) | instid1(VALU_DEP_1)
	v_and_b32_e32 v14, 0xff, v16
	v_cmpx_ne_u16_e32 0, v14
	s_cbranch_execz .LBB4_5356
; %bb.5349:                             ;   in Loop: Header=BB4_4032 Depth=2
	v_bfrev_b32_e32 v3, 1
	s_mov_b32 s29, exec_lo
	v_cmpx_ne_u16_e32 0x80, v14
	s_cbranch_execz .LBB4_5355
; %bb.5350:                             ;   in Loop: Header=BB4_4032 Depth=2
	v_bfe_u32 v17, v36, 16, 7
	v_mov_b32_e32 v3, 0x7f800001
	s_mov_b32 s40, exec_lo
	s_delay_alu instid0(VALU_DEP_2)
	v_cmpx_ne_u32_e32 0x7f, v17
	s_cbranch_execz .LBB4_5354
; %bb.5351:                             ;   in Loop: Header=BB4_4032 Depth=2
	v_dual_mov_b32 v15, v37 :: v_dual_bitop2_b32 v14, 7, v16 bitop3:0x40
	v_lshrrev_b32_e32 v3, 3, v17
	s_mov_b32 s41, exec_lo
	v_cmpx_gt_u32_e32 8, v17
; %bb.5352:                             ;   in Loop: Header=BB4_4032 Depth=2
	s_delay_alu instid0(VALU_DEP_3) | instskip(NEXT) | instid1(VALU_DEP_1)
	v_clz_i32_u32_e32 v3, v14
	v_min_u32_e32 v3, 32, v3
	s_delay_alu instid0(VALU_DEP_1) | instskip(NEXT) | instid1(VALU_DEP_1)
	v_subrev_nc_u32_e32 v17, 28, v3
	v_lshlrev_b64_e32 v[14:15], v17, v[14:15]
	s_delay_alu instid0(VALU_DEP_1)
	v_dual_sub_nc_u32 v3, 29, v3 :: v_dual_bitop2_b32 v14, 7, v14 bitop3:0x40
; %bb.5353:                             ;   in Loop: Header=BB4_4032 Depth=2
	s_or_b32 exec_lo, exec_lo, s41
	s_delay_alu instid0(VALU_DEP_1) | instskip(NEXT) | instid1(VALU_DEP_2)
	v_dual_lshlrev_b32 v15, 24, v16 :: v_dual_lshlrev_b32 v14, 20, v14
	v_lshl_add_u32 v3, v3, 23, 0x3c000000
	s_delay_alu instid0(VALU_DEP_2) | instskip(NEXT) | instid1(VALU_DEP_1)
	v_and_b32_e32 v15, 0x80000000, v15
	v_or3_b32 v3, v14, v15, v3
.LBB4_5354:                             ;   in Loop: Header=BB4_4032 Depth=2
	s_or_b32 exec_lo, exec_lo, s40
.LBB4_5355:                             ;   in Loop: Header=BB4_4032 Depth=2
	s_delay_alu instid0(SALU_CYCLE_1)
	s_or_b32 exec_lo, exec_lo, s29
.LBB4_5356:                             ;   in Loop: Header=BB4_4032 Depth=2
	s_delay_alu instid0(SALU_CYCLE_1) | instskip(SKIP_2) | instid1(VALU_DEP_1)
	s_or_b32 exec_lo, exec_lo, s7
	v_lshrrev_b32_e32 v14, 16, v10
	s_mov_b32 s7, exec_lo
	v_and_b32_e32 v15, 0xff, v14
	s_delay_alu instid0(VALU_DEP_1)
	v_cmpx_ne_u16_e32 0, v15
	s_cbranch_execz .LBB4_5364
; %bb.5357:                             ;   in Loop: Header=BB4_4032 Depth=2
	v_bfrev_b32_e32 v2, 1
	s_mov_b32 s29, exec_lo
	v_cmpx_ne_u16_e32 0x80, v15
	s_cbranch_execz .LBB4_5363
; %bb.5358:                             ;   in Loop: Header=BB4_4032 Depth=2
	v_bfe_u32 v16, v10, 16, 7
	v_mov_b32_e32 v2, 0x7f800001
	s_mov_b32 s40, exec_lo
	s_delay_alu instid0(VALU_DEP_2)
	v_cmpx_ne_u32_e32 0x7f, v16
	s_cbranch_execz .LBB4_5362
; %bb.5359:                             ;   in Loop: Header=BB4_4032 Depth=2
	v_dual_mov_b32 v15, v37 :: v_dual_bitop2_b32 v14, 7, v14 bitop3:0x40
	v_lshrrev_b32_e32 v2, 3, v16
	s_mov_b32 s41, exec_lo
	v_cmpx_gt_u32_e32 8, v16
; %bb.5360:                             ;   in Loop: Header=BB4_4032 Depth=2
	s_delay_alu instid0(VALU_DEP_3) | instskip(NEXT) | instid1(VALU_DEP_1)
	v_clz_i32_u32_e32 v2, v14
	v_min_u32_e32 v2, 32, v2
	s_delay_alu instid0(VALU_DEP_1) | instskip(SKIP_1) | instid1(VALU_DEP_2)
	v_subrev_nc_u32_e32 v16, 28, v2
	v_sub_nc_u32_e32 v2, 29, v2
	v_lshlrev_b64_e32 v[14:15], v16, v[14:15]
	s_delay_alu instid0(VALU_DEP_1)
	v_and_b32_e32 v14, 7, v14
; %bb.5361:                             ;   in Loop: Header=BB4_4032 Depth=2
	s_or_b32 exec_lo, exec_lo, s41
	v_lshlrev_b32_e32 v15, 8, v10
	s_delay_alu instid0(VALU_DEP_2) | instskip(SKIP_1) | instid1(VALU_DEP_3)
	v_lshlrev_b32_e32 v14, 20, v14
	v_lshl_add_u32 v2, v2, 23, 0x3c000000
	v_and_b32_e32 v15, 0x80000000, v15
	s_delay_alu instid0(VALU_DEP_1)
	v_or3_b32 v2, v14, v15, v2
.LBB4_5362:                             ;   in Loop: Header=BB4_4032 Depth=2
	s_or_b32 exec_lo, exec_lo, s40
.LBB4_5363:                             ;   in Loop: Header=BB4_4032 Depth=2
	s_delay_alu instid0(SALU_CYCLE_1)
	s_or_b32 exec_lo, exec_lo, s29
.LBB4_5364:                             ;   in Loop: Header=BB4_4032 Depth=2
	s_delay_alu instid0(SALU_CYCLE_1) | instskip(NEXT) | instid1(VALU_DEP_1)
	s_or_b32 exec_lo, exec_lo, s7
	v_dual_add_f32 v3, v3, v2 :: v_dual_mov_b32 v15, v37
                                        ; implicit-def: $vgpr61
	s_mov_b32 s7, exec_lo
	s_delay_alu instid0(VALU_DEP_1) | instskip(SKIP_1) | instid1(VALU_DEP_2)
	v_and_b32_e32 v14, 0x7f800000, v3
	v_lshrrev_b32_e32 v2, 24, v3
	v_cmpx_ne_u64_e32 0x7f800000, v[14:15]
	s_xor_b32 s29, exec_lo, s7
	s_cbranch_execz .LBB4_5378
; %bb.5365:                             ;   in Loop: Header=BB4_4032 Depth=2
	v_and_b32_e32 v14, 0x7fffffff, v3
	v_mov_b32_e32 v15, v37
	v_and_b32_e32 v2, 0x80, v2
                                        ; implicit-def: $vgpr61
	s_mov_b32 s7, exec_lo
	s_delay_alu instid0(VALU_DEP_2)
	v_cmpx_gt_u64_e32 0x43e00001, v[14:15]
	s_xor_b32 s40, exec_lo, s7
	s_cbranch_execz .LBB4_5375
; %bb.5366:                             ;   in Loop: Header=BB4_4032 Depth=2
	v_mov_b32_e32 v61, 0
	s_mov_b32 s41, exec_lo
	v_cmpx_ne_u32_e32 0, v3
	s_cbranch_execz .LBB4_5374
; %bb.5367:                             ;   in Loop: Header=BB4_4032 Depth=2
	v_bfe_u32 v113, v3, 23, 8
	v_and_b32_e32 v3, 0x7fffff, v3
	s_mov_b32 s42, exec_lo
	s_delay_alu instid0(VALU_DEP_2) | instskip(SKIP_1) | instid1(VALU_DEP_3)
	v_dual_mov_b32 v17, v37 :: v_dual_sub_nc_u32 v14, 0x79, v113
	v_cmp_gt_u32_e32 vcc_lo, 0x7a, v113
	v_or_b32_e32 v16, 0x800000, v3
	s_delay_alu instid0(VALU_DEP_3) | instskip(SKIP_1) | instid1(VALU_DEP_2)
	v_cndmask_b32_e32 v14, 0, v14, vcc_lo
	v_cmp_eq_u32_e32 vcc_lo, 0, v113
	v_cndmask_b32_e64 v61, v14, 0x78, vcc_lo
	s_delay_alu instid0(VALU_DEP_1) | instskip(SKIP_1) | instid1(VALU_DEP_2)
	v_dual_cndmask_b32 v16, v16, v3, vcc_lo :: v_dual_add_nc_u32 v14, 20, v61
	v_add_nc_u32_e32 v20, 19, v61
	v_lshlrev_b64_e64 v[14:15], v14, -1
	s_delay_alu instid0(VALU_DEP_2) | instskip(NEXT) | instid1(VALU_DEP_2)
	v_lshlrev_b64_e64 v[20:21], v20, 1
	v_bfi_b32 v89, v15, 0, 0
	s_delay_alu instid0(VALU_DEP_3) | instskip(SKIP_1) | instid1(VALU_DEP_1)
	v_bfi_b32 v88, v14, 0, v16
	v_lshrrev_b64 v[14:15], v61, v[16:17]
	v_mov_b64_e32 v[16:17], v[14:15]
	s_delay_alu instid0(VALU_DEP_3)
	v_cmpx_eq_u64_e64 v[88:89], v[20:21]
; %bb.5368:                             ;   in Loop: Header=BB4_4032 Depth=2
	v_bfe_u32 v16, v14, 20, 1
	v_mov_b32_e32 v17, v37
	s_delay_alu instid0(VALU_DEP_1) | instskip(NEXT) | instid1(VALU_DEP_1)
	v_add_nc_u64_e32 v[16:17], v[14:15], v[16:17]
	v_add_nc_u64_e32 v[16:17], -1, v[16:17]
; %bb.5369:                             ;   in Loop: Header=BB4_4032 Depth=2
	s_or_b32 exec_lo, exec_lo, s42
	v_add_nc_u32_e32 v3, 0xffffff81, v113
	v_lshrrev_b32_e32 v15, 23, v14
	s_mov_b32 s7, exec_lo
	s_delay_alu instid0(VALU_DEP_2) | instskip(NEXT) | instid1(VALU_DEP_1)
	v_cndmask_b32_e64 v3, v3, 0xffffff82, vcc_lo
	v_add3_u32 v17, v61, v3, v15
	v_and_b32_e32 v3, 0xfffff, v16
	s_delay_alu instid0(VALU_DEP_2) | instskip(NEXT) | instid1(VALU_DEP_2)
	v_dual_mov_b32 v15, v37 :: v_dual_add_nc_u32 v16, 6, v17
	v_add_nc_u32_e32 v14, v3, v14
                                        ; implicit-def: $vgpr3
	s_delay_alu instid0(VALU_DEP_2)
	v_cmpx_ne_u32_e32 0, v16
	s_xor_b32 s7, exec_lo, s7
; %bb.5370:                             ;   in Loop: Header=BB4_4032 Depth=2
	s_delay_alu instid0(VALU_DEP_2) | instskip(SKIP_1) | instid1(VALU_DEP_1)
	v_cmp_lt_u64_e32 vcc_lo, 0xffffff, v[14:15]
	v_add_nc_u32_e32 v3, 7, v17
	v_cndmask_b32_e32 v3, v16, v3, vcc_lo
	v_cndmask_b32_e64 v16, 0, 1, vcc_lo
	s_delay_alu instid0(VALU_DEP_1)
	v_lshrrev_b64 v[14:15], v16, v[14:15]
; %bb.5371:                             ;   in Loop: Header=BB4_4032 Depth=2
	s_and_not1_saveexec_b32 s7, s7
; %bb.5372:                             ;   in Loop: Header=BB4_4032 Depth=2
	s_delay_alu instid0(VALU_DEP_1)
	v_bfe_u32 v3, v14, 23, 1
; %bb.5373:                             ;   in Loop: Header=BB4_4032 Depth=2
	s_or_b32 exec_lo, exec_lo, s7
	s_delay_alu instid0(VALU_DEP_2) | instskip(NEXT) | instid1(VALU_DEP_2)
	v_lshrrev_b64 v[14:15], 20, v[14:15]
	v_cmp_gt_i32_e32 vcc_lo, 16, v3
	v_min_i32_e32 v16, 15, v3
	v_cmp_eq_u32_e64 s7, 0, v3
	s_delay_alu instid0(VALU_DEP_2) | instskip(SKIP_1) | instid1(VALU_DEP_2)
	v_dual_cndmask_b32 v14, 7, v14, vcc_lo :: v_dual_lshlrev_b32 v16, 3, v16
	v_cndmask_b32_e32 v15, 0, v15, vcc_lo
	v_and_b32_e32 v16, 0xf8, v16
	s_delay_alu instid0(VALU_DEP_2) | instskip(NEXT) | instid1(VALU_DEP_2)
	v_cmp_eq_u64_e32 vcc_lo, 0, v[14:15]
	v_and_or_b32 v3, v14, 7, v16
	s_and_b32 s7, s7, vcc_lo
	s_delay_alu instid0(VALU_DEP_1) | instid1(SALU_CYCLE_1)
	v_cndmask_b32_e64 v3, v3, 0, s7
	s_delay_alu instid0(VALU_DEP_1)
	v_or_b32_e32 v61, v3, v2
.LBB4_5374:                             ;   in Loop: Header=BB4_4032 Depth=2
	s_or_b32 exec_lo, exec_lo, s41
                                        ; implicit-def: $vgpr2
.LBB4_5375:                             ;   in Loop: Header=BB4_4032 Depth=2
	s_and_not1_saveexec_b32 s7, s40
; %bb.5376:                             ;   in Loop: Header=BB4_4032 Depth=2
	v_or_b32_e32 v61, 0x7e, v2
; %bb.5377:                             ;   in Loop: Header=BB4_4032 Depth=2
	s_or_b32 exec_lo, exec_lo, s7
                                        ; implicit-def: $vgpr2
.LBB4_5378:                             ;   in Loop: Header=BB4_4032 Depth=2
	s_and_not1_saveexec_b32 s7, s29
; %bb.5379:                             ;   in Loop: Header=BB4_4032 Depth=2
	v_or_b32_e32 v61, 0x7f, v2
; %bb.5380:                             ;   in Loop: Header=BB4_4032 Depth=2
	s_or_b32 exec_lo, exec_lo, s7
	v_dual_mov_b32 v2, 0 :: v_dual_mov_b32 v3, 0
	s_mov_b32 s7, exec_lo
	v_cmpx_lt_u32_e32 0xffffff, v36
	s_cbranch_execz .LBB4_5388
; %bb.5381:                             ;   in Loop: Header=BB4_4032 Depth=2
	v_lshrrev_b32_e32 v14, 24, v36
	v_bfrev_b32_e32 v3, 1
	s_mov_b32 s29, exec_lo
	s_delay_alu instid0(VALU_DEP_2)
	v_cmpx_ne_u32_e32 0x80, v14
	s_cbranch_execz .LBB4_5387
; %bb.5382:                             ;   in Loop: Header=BB4_4032 Depth=2
	v_bfe_u32 v15, v36, 24, 7
	v_mov_b32_e32 v3, 0x7f800001
	s_mov_b32 s40, exec_lo
	s_delay_alu instid0(VALU_DEP_2)
	v_cmpx_ne_u32_e32 0x7f, v15
	s_cbranch_execz .LBB4_5386
; %bb.5383:                             ;   in Loop: Header=BB4_4032 Depth=2
	v_dual_lshrrev_b32 v3, 3, v15 :: v_dual_bitop2_b32 v36, 7, v14 bitop3:0x40
	s_mov_b32 s41, exec_lo
	v_cmpx_gt_u32_e32 8, v15
; %bb.5384:                             ;   in Loop: Header=BB4_4032 Depth=2
	s_delay_alu instid0(VALU_DEP_2) | instskip(NEXT) | instid1(VALU_DEP_1)
	v_clz_i32_u32_e32 v3, v36
	v_min_u32_e32 v3, 32, v3
	s_delay_alu instid0(VALU_DEP_1) | instskip(NEXT) | instid1(VALU_DEP_1)
	v_subrev_nc_u32_e32 v15, 28, v3
	v_lshlrev_b64_e32 v[16:17], v15, v[36:37]
	s_delay_alu instid0(VALU_DEP_1)
	v_dual_sub_nc_u32 v3, 29, v3 :: v_dual_bitop2_b32 v36, 7, v16 bitop3:0x40
; %bb.5385:                             ;   in Loop: Header=BB4_4032 Depth=2
	s_or_b32 exec_lo, exec_lo, s41
	s_delay_alu instid0(VALU_DEP_1) | instskip(NEXT) | instid1(VALU_DEP_2)
	v_dual_lshlrev_b32 v14, 24, v14 :: v_dual_lshlrev_b32 v15, 20, v36
	v_lshl_add_u32 v3, v3, 23, 0x3c000000
	s_delay_alu instid0(VALU_DEP_2) | instskip(NEXT) | instid1(VALU_DEP_1)
	v_and_b32_e32 v14, 0x80000000, v14
	v_or3_b32 v3, v15, v14, v3
.LBB4_5386:                             ;   in Loop: Header=BB4_4032 Depth=2
	s_or_b32 exec_lo, exec_lo, s40
.LBB4_5387:                             ;   in Loop: Header=BB4_4032 Depth=2
	s_delay_alu instid0(SALU_CYCLE_1)
	s_or_b32 exec_lo, exec_lo, s29
.LBB4_5388:                             ;   in Loop: Header=BB4_4032 Depth=2
	s_delay_alu instid0(SALU_CYCLE_1) | instskip(NEXT) | instid1(SALU_CYCLE_1)
	s_or_b32 exec_lo, exec_lo, s7
	s_mov_b32 s7, exec_lo
	v_cmpx_lt_u32_e32 0xffffff, v10
	s_cbranch_execz .LBB4_5396
; %bb.5389:                             ;   in Loop: Header=BB4_4032 Depth=2
	v_lshrrev_b32_e32 v14, 24, v10
	v_bfrev_b32_e32 v2, 1
	s_mov_b32 s29, exec_lo
	s_delay_alu instid0(VALU_DEP_2)
	v_cmpx_ne_u32_e32 0x80, v14
	s_cbranch_execz .LBB4_5395
; %bb.5390:                             ;   in Loop: Header=BB4_4032 Depth=2
	v_bfe_u32 v15, v10, 24, 7
	v_mov_b32_e32 v2, 0x7f800001
	s_mov_b32 s40, exec_lo
	s_delay_alu instid0(VALU_DEP_2)
	v_cmpx_ne_u32_e32 0x7f, v15
	s_cbranch_execz .LBB4_5394
; %bb.5391:                             ;   in Loop: Header=BB4_4032 Depth=2
	v_dual_lshrrev_b32 v2, 3, v15 :: v_dual_bitop2_b32 v36, 7, v14 bitop3:0x40
	s_mov_b32 s41, exec_lo
	v_cmpx_gt_u32_e32 8, v15
; %bb.5392:                             ;   in Loop: Header=BB4_4032 Depth=2
	s_delay_alu instid0(VALU_DEP_2) | instskip(NEXT) | instid1(VALU_DEP_1)
	v_clz_i32_u32_e32 v2, v36
	v_min_u32_e32 v2, 32, v2
	s_delay_alu instid0(VALU_DEP_1) | instskip(NEXT) | instid1(VALU_DEP_1)
	v_subrev_nc_u32_e32 v15, 28, v2
	v_lshlrev_b64_e32 v[16:17], v15, v[36:37]
	s_delay_alu instid0(VALU_DEP_1)
	v_dual_sub_nc_u32 v2, 29, v2 :: v_dual_bitop2_b32 v36, 7, v16 bitop3:0x40
; %bb.5393:                             ;   in Loop: Header=BB4_4032 Depth=2
	s_or_b32 exec_lo, exec_lo, s41
	s_delay_alu instid0(VALU_DEP_1) | instskip(NEXT) | instid1(VALU_DEP_2)
	v_dual_lshlrev_b32 v14, 24, v14 :: v_dual_lshlrev_b32 v15, 20, v36
	v_lshl_add_u32 v2, v2, 23, 0x3c000000
	s_delay_alu instid0(VALU_DEP_2) | instskip(NEXT) | instid1(VALU_DEP_1)
	v_and_b32_e32 v14, 0x80000000, v14
	v_or3_b32 v2, v15, v14, v2
.LBB4_5394:                             ;   in Loop: Header=BB4_4032 Depth=2
	s_or_b32 exec_lo, exec_lo, s40
.LBB4_5395:                             ;   in Loop: Header=BB4_4032 Depth=2
	s_delay_alu instid0(SALU_CYCLE_1)
	s_or_b32 exec_lo, exec_lo, s29
.LBB4_5396:                             ;   in Loop: Header=BB4_4032 Depth=2
	s_delay_alu instid0(SALU_CYCLE_1) | instskip(NEXT) | instid1(VALU_DEP_1)
	s_or_b32 exec_lo, exec_lo, s7
	v_add_f32_e32 v3, v3, v2
                                        ; implicit-def: $vgpr73
	s_mov_b32 s7, exec_lo
	s_delay_alu instid0(VALU_DEP_1) | instskip(SKIP_1) | instid1(VALU_DEP_2)
	v_and_b32_e32 v36, 0x7f800000, v3
	v_lshrrev_b32_e32 v2, 24, v3
	v_cmpx_ne_u64_e32 0x7f800000, v[36:37]
	s_xor_b32 s29, exec_lo, s7
	s_cbranch_execz .LBB4_5410
; %bb.5397:                             ;   in Loop: Header=BB4_4032 Depth=2
	v_and_b32_e32 v36, 0x7fffffff, v3
	v_and_b32_e32 v2, 0x80, v2
                                        ; implicit-def: $vgpr73
	s_mov_b32 s7, exec_lo
	s_delay_alu instid0(VALU_DEP_2)
	v_cmpx_gt_u64_e32 0x43e00001, v[36:37]
	s_xor_b32 s40, exec_lo, s7
	s_cbranch_execz .LBB4_5407
; %bb.5398:                             ;   in Loop: Header=BB4_4032 Depth=2
	v_mov_b32_e32 v73, 0
	s_mov_b32 s41, exec_lo
	v_cmpx_ne_u32_e32 0, v3
	s_cbranch_execz .LBB4_5406
; %bb.5399:                             ;   in Loop: Header=BB4_4032 Depth=2
	v_bfe_u32 v113, v3, 23, 8
	v_and_b32_e32 v3, 0x7fffff, v3
	s_delay_alu instid0(VALU_DEP_2) | instskip(SKIP_1) | instid1(VALU_DEP_3)
	v_sub_nc_u32_e32 v14, 0x79, v113
	v_cmp_gt_u32_e32 vcc_lo, 0x7a, v113
	v_or_b32_e32 v16, 0x800000, v3
	s_delay_alu instid0(VALU_DEP_3) | instskip(SKIP_1) | instid1(VALU_DEP_2)
	v_cndmask_b32_e32 v14, 0, v14, vcc_lo
	v_cmp_eq_u32_e32 vcc_lo, 0, v113
	v_cndmask_b32_e64 v73, v14, 0x78, vcc_lo
	s_delay_alu instid0(VALU_DEP_1) | instskip(SKIP_1) | instid1(VALU_DEP_2)
	v_dual_cndmask_b32 v36, v16, v3, vcc_lo :: v_dual_add_nc_u32 v14, 20, v73
	v_add_nc_u32_e32 v17, 19, v73
	v_lshlrev_b64_e64 v[14:15], v14, -1
	s_delay_alu instid0(VALU_DEP_2) | instskip(NEXT) | instid1(VALU_DEP_2)
	v_lshlrev_b64_e64 v[16:17], v17, 1
	v_bfi_b32 v21, v15, 0, 0
	s_delay_alu instid0(VALU_DEP_3) | instskip(SKIP_1) | instid1(VALU_DEP_2)
	v_bfi_b32 v20, v14, 0, v36
	v_lshrrev_b64 v[14:15], v73, v[36:37]
	v_cmp_eq_u64_e64 s7, v[20:21], v[16:17]
	s_delay_alu instid0(VALU_DEP_2)
	v_mov_b64_e32 v[16:17], v[14:15]
	s_and_saveexec_b32 s42, s7
; %bb.5400:                             ;   in Loop: Header=BB4_4032 Depth=2
	v_bfe_u32 v36, v14, 20, 1
	s_delay_alu instid0(VALU_DEP_1) | instskip(NEXT) | instid1(VALU_DEP_1)
	v_add_nc_u64_e32 v[16:17], v[14:15], v[36:37]
	v_add_nc_u64_e32 v[16:17], -1, v[16:17]
; %bb.5401:                             ;   in Loop: Header=BB4_4032 Depth=2
	s_or_b32 exec_lo, exec_lo, s42
	v_add_nc_u32_e32 v3, 0xffffff81, v113
	v_lshrrev_b32_e32 v15, 23, v14
	s_mov_b32 s7, exec_lo
	s_delay_alu instid0(VALU_DEP_2) | instskip(NEXT) | instid1(VALU_DEP_1)
	v_cndmask_b32_e64 v3, v3, 0xffffff82, vcc_lo
	v_add3_u32 v17, v73, v3, v15
	v_and_b32_e32 v3, 0xfffff, v16
	s_delay_alu instid0(VALU_DEP_1) | instskip(NEXT) | instid1(VALU_DEP_1)
	v_dual_add_nc_u32 v16, 6, v17 :: v_dual_add_nc_u32 v36, v3, v14
                                        ; implicit-def: $vgpr14_vgpr15
                                        ; implicit-def: $vgpr3
	v_cmpx_ne_u32_e32 0, v16
	s_xor_b32 s7, exec_lo, s7
; %bb.5402:                             ;   in Loop: Header=BB4_4032 Depth=2
	s_delay_alu instid0(VALU_DEP_2) | instskip(SKIP_2) | instid1(VALU_DEP_2)
	v_cmp_lt_u64_e32 vcc_lo, 0xffffff, v[36:37]
	v_add_nc_u32_e32 v3, 7, v17
	v_cndmask_b32_e64 v14, 0, 1, vcc_lo
	v_cndmask_b32_e32 v3, v16, v3, vcc_lo
	s_delay_alu instid0(VALU_DEP_2)
	v_lshrrev_b64 v[14:15], v14, v[36:37]
; %bb.5403:                             ;   in Loop: Header=BB4_4032 Depth=2
	s_and_not1_saveexec_b32 s7, s7
; %bb.5404:                             ;   in Loop: Header=BB4_4032 Depth=2
	v_mov_b64_e32 v[14:15], v[36:37]
	v_bfe_u32 v3, v36, 23, 1
; %bb.5405:                             ;   in Loop: Header=BB4_4032 Depth=2
	s_or_b32 exec_lo, exec_lo, s7
	s_delay_alu instid0(VALU_DEP_2) | instskip(NEXT) | instid1(VALU_DEP_2)
	v_lshrrev_b64 v[14:15], 20, v[14:15]
	v_cmp_gt_i32_e32 vcc_lo, 16, v3
	v_min_i32_e32 v16, 15, v3
	v_cmp_eq_u32_e64 s7, 0, v3
	s_delay_alu instid0(VALU_DEP_2) | instskip(SKIP_1) | instid1(VALU_DEP_2)
	v_dual_cndmask_b32 v14, 7, v14, vcc_lo :: v_dual_lshlrev_b32 v16, 3, v16
	v_cndmask_b32_e32 v15, 0, v15, vcc_lo
	v_and_b32_e32 v16, 0xf8, v16
	s_delay_alu instid0(VALU_DEP_2) | instskip(NEXT) | instid1(VALU_DEP_2)
	v_cmp_eq_u64_e32 vcc_lo, 0, v[14:15]
	v_and_or_b32 v3, v14, 7, v16
	s_and_b32 s7, s7, vcc_lo
	s_delay_alu instid0(VALU_DEP_1) | instid1(SALU_CYCLE_1)
	v_cndmask_b32_e64 v3, v3, 0, s7
	s_delay_alu instid0(VALU_DEP_1)
	v_or_b32_e32 v73, v3, v2
.LBB4_5406:                             ;   in Loop: Header=BB4_4032 Depth=2
	s_or_b32 exec_lo, exec_lo, s41
                                        ; implicit-def: $vgpr2
.LBB4_5407:                             ;   in Loop: Header=BB4_4032 Depth=2
	s_and_not1_saveexec_b32 s7, s40
; %bb.5408:                             ;   in Loop: Header=BB4_4032 Depth=2
	v_or_b32_e32 v73, 0x7e, v2
; %bb.5409:                             ;   in Loop: Header=BB4_4032 Depth=2
	s_or_b32 exec_lo, exec_lo, s7
                                        ; implicit-def: $vgpr2
.LBB4_5410:                             ;   in Loop: Header=BB4_4032 Depth=2
	s_and_not1_saveexec_b32 s7, s29
; %bb.5411:                             ;   in Loop: Header=BB4_4032 Depth=2
	v_or_b32_e32 v73, 0x7f, v2
; %bb.5412:                             ;   in Loop: Header=BB4_4032 Depth=2
	s_or_b32 exec_lo, exec_lo, s7
	v_lshl_or_b32 v2, v46, 8, v40
	v_dual_mov_b32 v14, 0 :: v_dual_lshlrev_b32 v3, 16, v56
	v_lshlrev_b32_e32 v15, 24, v60
	s_mov_b32 s7, exec_lo
	s_delay_alu instid0(VALU_DEP_1)
	v_or3_b32 v36, v3, v15, v2
	v_mov_b32_e32 v3, 0
	v_cmpx_ne_u32_e32 0, v40
	s_cbranch_execz .LBB4_5418
; %bb.5413:                             ;   in Loop: Header=BB4_4032 Depth=2
	v_bfrev_b32_e32 v3, 1
	s_mov_b32 s29, exec_lo
	v_cmpx_ne_u32_e32 0x80, v40
	s_cbranch_execz .LBB4_5417
; %bb.5414:                             ;   in Loop: Header=BB4_4032 Depth=2
	v_and_b32_e32 v15, 0x7f, v40
	v_mov_b32_e32 v3, 0x7f800001
	s_mov_b32 s40, exec_lo
	s_delay_alu instid0(VALU_DEP_2)
	v_cmpx_ne_u32_e32 0x7f, v15
	s_cbranch_execz .LBB4_5416
; %bb.5415:                             ;   in Loop: Header=BB4_4032 Depth=2
	v_dual_lshrrev_b32 v16, 3, v15 :: v_dual_bitop2_b32 v3, 7, v40 bitop3:0x40
	v_cmp_gt_u32_e32 vcc_lo, 8, v15
	s_delay_alu instid0(VALU_DEP_2) | instskip(NEXT) | instid1(VALU_DEP_1)
	v_clz_i32_u32_e32 v3, v3
	v_min_u32_e32 v3, 32, v3
	s_delay_alu instid0(VALU_DEP_1) | instskip(NEXT) | instid1(VALU_DEP_1)
	v_subrev_nc_u32_e32 v17, 28, v3
	v_dual_sub_nc_u32 v3, 29, v3 :: v_dual_cndmask_b32 v15, 0, v17, vcc_lo
	s_delay_alu instid0(VALU_DEP_1) | instskip(NEXT) | instid1(VALU_DEP_2)
	v_cndmask_b32_e32 v3, v16, v3, vcc_lo
	v_lshlrev_b64_e32 v[16:17], v15, v[36:37]
	v_lshlrev_b32_e32 v15, 24, v36
	s_delay_alu instid0(VALU_DEP_3) | instskip(NEXT) | instid1(VALU_DEP_2)
	v_lshl_add_u32 v3, v3, 23, 0x3c000000
	v_and_b32_e32 v15, 0x80000000, v15
	s_delay_alu instid0(VALU_DEP_4) | instskip(NEXT) | instid1(VALU_DEP_1)
	v_lshlrev_b32_e32 v16, 20, v16
	v_and_b32_e32 v16, 0x700000, v16
	s_delay_alu instid0(VALU_DEP_1)
	v_or3_b32 v3, v16, v15, v3
.LBB4_5416:                             ;   in Loop: Header=BB4_4032 Depth=2
	s_or_b32 exec_lo, exec_lo, s40
.LBB4_5417:                             ;   in Loop: Header=BB4_4032 Depth=2
	s_delay_alu instid0(SALU_CYCLE_1)
	s_or_b32 exec_lo, exec_lo, s29
.LBB4_5418:                             ;   in Loop: Header=BB4_4032 Depth=2
	s_delay_alu instid0(SALU_CYCLE_1) | instskip(SKIP_2) | instid1(VALU_DEP_1)
	s_or_b32 exec_lo, exec_lo, s7
	v_and_b32_e32 v15, 0xff, v11
	s_mov_b32 s7, exec_lo
	v_cmpx_ne_u16_e32 0, v15
	s_cbranch_execz .LBB4_5424
; %bb.5419:                             ;   in Loop: Header=BB4_4032 Depth=2
	v_bfrev_b32_e32 v14, 1
	s_mov_b32 s29, exec_lo
	v_cmpx_ne_u16_e32 0x80, v15
	s_cbranch_execz .LBB4_5423
; %bb.5420:                             ;   in Loop: Header=BB4_4032 Depth=2
	v_and_b32_e32 v15, 0x7f, v11
	v_mov_b32_e32 v14, 0x7f800001
	s_mov_b32 s40, exec_lo
	s_delay_alu instid0(VALU_DEP_2)
	v_cmpx_ne_u32_e32 0x7f, v15
	s_cbranch_execz .LBB4_5422
; %bb.5421:                             ;   in Loop: Header=BB4_4032 Depth=2
	v_and_b32_e32 v14, 7, v11
	v_lshrrev_b32_e32 v16, 3, v15
	v_cmp_gt_u32_e32 vcc_lo, 8, v15
	v_mov_b32_e32 v15, v37
	s_delay_alu instid0(VALU_DEP_4) | instskip(NEXT) | instid1(VALU_DEP_1)
	v_clz_i32_u32_e32 v14, v14
	v_min_u32_e32 v14, 32, v14
	s_delay_alu instid0(VALU_DEP_1) | instskip(SKIP_1) | instid1(VALU_DEP_2)
	v_sub_nc_u32_e32 v17, 29, v14
	v_subrev_nc_u32_e32 v20, 28, v14
	v_dual_mov_b32 v14, v11 :: v_dual_cndmask_b32 v21, v16, v17
	s_delay_alu instid0(VALU_DEP_2) | instskip(NEXT) | instid1(VALU_DEP_1)
	v_cndmask_b32_e32 v16, 0, v20, vcc_lo
	v_lshlrev_b64_e32 v[16:17], v16, v[14:15]
	v_lshlrev_b32_e32 v14, 24, v14
	s_delay_alu instid0(VALU_DEP_1) | instskip(NEXT) | instid1(VALU_DEP_3)
	v_and_b32_e32 v14, 0x80000000, v14
	v_lshlrev_b32_e32 v15, 20, v16
	v_lshl_add_u32 v16, v21, 23, 0x3c000000
	s_delay_alu instid0(VALU_DEP_2) | instskip(NEXT) | instid1(VALU_DEP_1)
	v_and_b32_e32 v15, 0x700000, v15
	v_or3_b32 v14, v15, v14, v16
.LBB4_5422:                             ;   in Loop: Header=BB4_4032 Depth=2
	s_or_b32 exec_lo, exec_lo, s40
.LBB4_5423:                             ;   in Loop: Header=BB4_4032 Depth=2
	s_delay_alu instid0(SALU_CYCLE_1)
	s_or_b32 exec_lo, exec_lo, s29
.LBB4_5424:                             ;   in Loop: Header=BB4_4032 Depth=2
	s_delay_alu instid0(SALU_CYCLE_1) | instskip(NEXT) | instid1(VALU_DEP_1)
	s_or_b32 exec_lo, exec_lo, s7
	v_dual_add_f32 v14, v3, v14 :: v_dual_mov_b32 v17, v37
                                        ; implicit-def: $vgpr40
	s_mov_b32 s7, exec_lo
	s_delay_alu instid0(VALU_DEP_1) | instskip(SKIP_1) | instid1(VALU_DEP_2)
	v_and_b32_e32 v16, 0x7f800000, v14
	v_lshrrev_b32_e32 v3, 24, v14
	v_cmpx_ne_u64_e32 0x7f800000, v[16:17]
	s_xor_b32 s29, exec_lo, s7
	s_cbranch_execz .LBB4_5438
; %bb.5425:                             ;   in Loop: Header=BB4_4032 Depth=2
	v_and_b32_e32 v16, 0x7fffffff, v14
	v_mov_b32_e32 v17, v37
	v_and_b32_e32 v3, 0x80, v3
                                        ; implicit-def: $vgpr40
	s_mov_b32 s7, exec_lo
	s_delay_alu instid0(VALU_DEP_2)
	v_cmpx_gt_u64_e32 0x43e00001, v[16:17]
	s_xor_b32 s40, exec_lo, s7
	s_cbranch_execz .LBB4_5435
; %bb.5426:                             ;   in Loop: Header=BB4_4032 Depth=2
	v_mov_b32_e32 v40, 0
	s_mov_b32 s41, exec_lo
	v_cmpx_ne_u32_e32 0, v14
	s_cbranch_execz .LBB4_5434
; %bb.5427:                             ;   in Loop: Header=BB4_4032 Depth=2
	v_bfe_u32 v113, v14, 23, 8
	v_and_b32_e32 v16, 0x7fffff, v14
	s_mov_b32 s42, exec_lo
	s_delay_alu instid0(VALU_DEP_2) | instskip(NEXT) | instid1(VALU_DEP_2)
	v_cmp_gt_u32_e32 vcc_lo, 0x7a, v113
	v_or_b32_e32 v17, 0x800000, v16
	v_sub_nc_u32_e32 v15, 0x79, v113
	s_delay_alu instid0(VALU_DEP_1) | instskip(SKIP_1) | instid1(VALU_DEP_2)
	v_cndmask_b32_e32 v15, 0, v15, vcc_lo
	v_cmp_eq_u32_e32 vcc_lo, 0, v113
	v_cndmask_b32_e64 v40, v15, 0x78, vcc_lo
	v_cndmask_b32_e32 v16, v17, v16, vcc_lo
	s_delay_alu instid0(VALU_DEP_2) | instskip(SKIP_1) | instid1(VALU_DEP_2)
	v_dual_mov_b32 v17, v37 :: v_dual_add_nc_u32 v20, 19, v40
	v_add_nc_u32_e32 v14, 20, v40
	v_lshlrev_b64_e64 v[20:21], v20, 1
	s_delay_alu instid0(VALU_DEP_2) | instskip(NEXT) | instid1(VALU_DEP_1)
	v_lshlrev_b64_e64 v[14:15], v14, -1
	v_bfi_b32 v89, v15, 0, 0
	s_delay_alu instid0(VALU_DEP_2) | instskip(SKIP_1) | instid1(VALU_DEP_1)
	v_bfi_b32 v88, v14, 0, v16
	v_lshrrev_b64 v[14:15], v40, v[16:17]
	v_mov_b64_e32 v[16:17], v[14:15]
	s_delay_alu instid0(VALU_DEP_3)
	v_cmpx_eq_u64_e64 v[88:89], v[20:21]
; %bb.5428:                             ;   in Loop: Header=BB4_4032 Depth=2
	v_bfe_u32 v16, v14, 20, 1
	v_mov_b32_e32 v17, v37
	s_delay_alu instid0(VALU_DEP_1) | instskip(NEXT) | instid1(VALU_DEP_1)
	v_add_nc_u64_e32 v[16:17], v[14:15], v[16:17]
	v_add_nc_u64_e32 v[16:17], -1, v[16:17]
; %bb.5429:                             ;   in Loop: Header=BB4_4032 Depth=2
	s_or_b32 exec_lo, exec_lo, s42
	v_add_nc_u32_e32 v15, 0xffffff81, v113
	v_lshrrev_b32_e32 v17, 23, v14
	s_mov_b32 s7, exec_lo
	s_delay_alu instid0(VALU_DEP_2) | instskip(NEXT) | instid1(VALU_DEP_1)
	v_cndmask_b32_e64 v15, v15, 0xffffff82, vcc_lo
	v_add3_u32 v17, v40, v15, v17
	v_and_b32_e32 v15, 0xfffff, v16
                                        ; implicit-def: $vgpr16
	s_delay_alu instid0(VALU_DEP_1) | instskip(SKIP_1) | instid1(VALU_DEP_2)
	v_dual_add_nc_u32 v113, 6, v17 :: v_dual_add_nc_u32 v14, v15, v14
	v_mov_b32_e32 v15, v37
	v_cmpx_ne_u32_e32 0, v113
	s_xor_b32 s7, exec_lo, s7
; %bb.5430:                             ;   in Loop: Header=BB4_4032 Depth=2
	s_delay_alu instid0(VALU_DEP_2) | instskip(SKIP_2) | instid1(VALU_DEP_2)
	v_cmp_lt_u64_e32 vcc_lo, 0xffffff, v[14:15]
	v_add_nc_u32_e32 v16, 7, v17
	v_cndmask_b32_e64 v17, 0, 1, vcc_lo
	v_cndmask_b32_e32 v16, v113, v16, vcc_lo
	s_delay_alu instid0(VALU_DEP_2)
	v_lshrrev_b64 v[14:15], v17, v[14:15]
; %bb.5431:                             ;   in Loop: Header=BB4_4032 Depth=2
	s_and_not1_saveexec_b32 s7, s7
; %bb.5432:                             ;   in Loop: Header=BB4_4032 Depth=2
	s_delay_alu instid0(VALU_DEP_1)
	v_bfe_u32 v16, v14, 23, 1
; %bb.5433:                             ;   in Loop: Header=BB4_4032 Depth=2
	s_or_b32 exec_lo, exec_lo, s7
	s_delay_alu instid0(VALU_DEP_2) | instskip(NEXT) | instid1(VALU_DEP_2)
	v_lshrrev_b64 v[14:15], 20, v[14:15]
	v_cmp_gt_i32_e32 vcc_lo, 16, v16
	v_min_i32_e32 v17, 15, v16
	v_cmp_eq_u32_e64 s7, 0, v16
	s_delay_alu instid0(VALU_DEP_2) | instskip(SKIP_1) | instid1(VALU_DEP_2)
	v_dual_cndmask_b32 v15, 0, v15, vcc_lo :: v_dual_lshlrev_b32 v17, 3, v17
	v_cndmask_b32_e32 v14, 7, v14, vcc_lo
	v_and_b32_e32 v17, 0xf8, v17
	s_delay_alu instid0(VALU_DEP_2) | instskip(NEXT) | instid1(VALU_DEP_2)
	v_cmp_eq_u64_e32 vcc_lo, 0, v[14:15]
	v_and_or_b32 v14, v14, 7, v17
	s_and_b32 s7, s7, vcc_lo
	s_delay_alu instid0(VALU_DEP_1) | instid1(SALU_CYCLE_1)
	v_cndmask_b32_e64 v14, v14, 0, s7
	s_delay_alu instid0(VALU_DEP_1)
	v_or_b32_e32 v40, v14, v3
.LBB4_5434:                             ;   in Loop: Header=BB4_4032 Depth=2
	s_or_b32 exec_lo, exec_lo, s41
                                        ; implicit-def: $vgpr3
.LBB4_5435:                             ;   in Loop: Header=BB4_4032 Depth=2
	s_and_not1_saveexec_b32 s7, s40
; %bb.5436:                             ;   in Loop: Header=BB4_4032 Depth=2
	v_or_b32_e32 v40, 0x7e, v3
; %bb.5437:                             ;   in Loop: Header=BB4_4032 Depth=2
	s_or_b32 exec_lo, exec_lo, s7
                                        ; implicit-def: $vgpr3
.LBB4_5438:                             ;   in Loop: Header=BB4_4032 Depth=2
	s_and_not1_saveexec_b32 s7, s29
; %bb.5439:                             ;   in Loop: Header=BB4_4032 Depth=2
	v_or_b32_e32 v40, 0x7f, v3
; %bb.5440:                             ;   in Loop: Header=BB4_4032 Depth=2
	s_or_b32 exec_lo, exec_lo, s7
	v_lshrrev_b16 v14, 8, v2
	v_dual_mov_b32 v3, 0 :: v_dual_mov_b32 v16, 0
	s_mov_b32 s7, exec_lo
	s_delay_alu instid0(VALU_DEP_2)
	v_cmpx_ne_u16_e32 0, v14
	s_cbranch_execz .LBB4_5448
; %bb.5441:                             ;   in Loop: Header=BB4_4032 Depth=2
	v_bfrev_b32_e32 v16, 1
	s_mov_b32 s29, exec_lo
	v_cmpx_ne_u16_e32 0x80, v14
	s_cbranch_execz .LBB4_5447
; %bb.5442:                             ;   in Loop: Header=BB4_4032 Depth=2
	v_and_b32_e32 v14, 0xffff, v14
	v_mov_b32_e32 v16, 0x7f800001
	s_mov_b32 s40, exec_lo
	s_delay_alu instid0(VALU_DEP_2) | instskip(NEXT) | instid1(VALU_DEP_1)
	v_and_b32_e32 v17, 0x7f, v14
	v_cmpx_ne_u32_e32 0x7f, v17
	s_cbranch_execz .LBB4_5446
; %bb.5443:                             ;   in Loop: Header=BB4_4032 Depth=2
	v_dual_mov_b32 v15, v37 :: v_dual_bitop2_b32 v14, 7, v14 bitop3:0x40
	v_lshrrev_b32_e32 v16, 3, v17
	s_mov_b32 s41, exec_lo
	v_cmpx_gt_u32_e32 8, v17
; %bb.5444:                             ;   in Loop: Header=BB4_4032 Depth=2
	s_delay_alu instid0(VALU_DEP_3) | instskip(NEXT) | instid1(VALU_DEP_1)
	v_clz_i32_u32_e32 v16, v14
	v_min_u32_e32 v16, 32, v16
	s_delay_alu instid0(VALU_DEP_1) | instskip(NEXT) | instid1(VALU_DEP_1)
	v_subrev_nc_u32_e32 v17, 28, v16
	v_lshlrev_b64_e32 v[14:15], v17, v[14:15]
	s_delay_alu instid0(VALU_DEP_1)
	v_dual_sub_nc_u32 v16, 29, v16 :: v_dual_bitop2_b32 v14, 7, v14 bitop3:0x40
; %bb.5445:                             ;   in Loop: Header=BB4_4032 Depth=2
	s_or_b32 exec_lo, exec_lo, s41
	v_lshlrev_b32_e32 v2, 16, v2
	s_delay_alu instid0(VALU_DEP_2) | instskip(NEXT) | instid1(VALU_DEP_3)
	v_lshlrev_b32_e32 v14, 20, v14
	v_lshl_add_u32 v15, v16, 23, 0x3c000000
	s_delay_alu instid0(VALU_DEP_3) | instskip(NEXT) | instid1(VALU_DEP_1)
	v_and_b32_e32 v2, 0x80000000, v2
	v_or3_b32 v16, v14, v2, v15
.LBB4_5446:                             ;   in Loop: Header=BB4_4032 Depth=2
	s_or_b32 exec_lo, exec_lo, s40
.LBB4_5447:                             ;   in Loop: Header=BB4_4032 Depth=2
	s_delay_alu instid0(SALU_CYCLE_1)
	s_or_b32 exec_lo, exec_lo, s29
.LBB4_5448:                             ;   in Loop: Header=BB4_4032 Depth=2
	s_delay_alu instid0(SALU_CYCLE_1) | instskip(SKIP_2) | instid1(VALU_DEP_1)
	s_or_b32 exec_lo, exec_lo, s7
	v_lshrrev_b16 v2, 8, v11
	s_mov_b32 s7, exec_lo
	v_cmpx_ne_u16_e32 0, v2
	s_cbranch_execz .LBB4_5456
; %bb.5449:                             ;   in Loop: Header=BB4_4032 Depth=2
	v_bfrev_b32_e32 v3, 1
	s_mov_b32 s29, exec_lo
	v_cmpx_ne_u16_e32 0x80, v2
	s_cbranch_execz .LBB4_5455
; %bb.5450:                             ;   in Loop: Header=BB4_4032 Depth=2
	v_and_b32_e32 v2, 0xffff, v2
	v_mov_b32_e32 v3, 0x7f800001
	s_mov_b32 s40, exec_lo
	s_delay_alu instid0(VALU_DEP_2) | instskip(NEXT) | instid1(VALU_DEP_1)
	v_and_b32_e32 v17, 0x7f, v2
	v_cmpx_ne_u32_e32 0x7f, v17
	s_cbranch_execz .LBB4_5454
; %bb.5451:                             ;   in Loop: Header=BB4_4032 Depth=2
	v_dual_mov_b32 v15, v37 :: v_dual_bitop2_b32 v14, 7, v2 bitop3:0x40
	v_lshrrev_b32_e32 v2, 3, v17
	s_mov_b32 s41, exec_lo
	v_cmpx_gt_u32_e32 8, v17
; %bb.5452:                             ;   in Loop: Header=BB4_4032 Depth=2
	s_delay_alu instid0(VALU_DEP_3) | instskip(NEXT) | instid1(VALU_DEP_1)
	v_clz_i32_u32_e32 v2, v14
	v_min_u32_e32 v2, 32, v2
	s_delay_alu instid0(VALU_DEP_1) | instskip(SKIP_1) | instid1(VALU_DEP_2)
	v_subrev_nc_u32_e32 v3, 28, v2
	v_sub_nc_u32_e32 v2, 29, v2
	v_lshlrev_b64_e32 v[14:15], v3, v[14:15]
	s_delay_alu instid0(VALU_DEP_1)
	v_and_b32_e32 v14, 7, v14
; %bb.5453:                             ;   in Loop: Header=BB4_4032 Depth=2
	s_or_b32 exec_lo, exec_lo, s41
	s_delay_alu instid0(VALU_DEP_1) | instskip(SKIP_1) | instid1(VALU_DEP_2)
	v_dual_lshlrev_b32 v3, 16, v11 :: v_dual_lshlrev_b32 v14, 20, v14
	v_lshl_add_u32 v2, v2, 23, 0x3c000000
	v_and_b32_e32 v3, 0x80000000, v3
	s_delay_alu instid0(VALU_DEP_1)
	v_or3_b32 v3, v14, v3, v2
.LBB4_5454:                             ;   in Loop: Header=BB4_4032 Depth=2
	s_or_b32 exec_lo, exec_lo, s40
.LBB4_5455:                             ;   in Loop: Header=BB4_4032 Depth=2
	s_delay_alu instid0(SALU_CYCLE_1)
	s_or_b32 exec_lo, exec_lo, s29
.LBB4_5456:                             ;   in Loop: Header=BB4_4032 Depth=2
	s_delay_alu instid0(SALU_CYCLE_1) | instskip(NEXT) | instid1(VALU_DEP_1)
	s_or_b32 exec_lo, exec_lo, s7
	v_dual_add_f32 v3, v16, v3 :: v_dual_mov_b32 v15, v37
                                        ; implicit-def: $vgpr46
	s_mov_b32 s7, exec_lo
	s_delay_alu instid0(VALU_DEP_1) | instskip(SKIP_1) | instid1(VALU_DEP_2)
	v_and_b32_e32 v14, 0x7f800000, v3
	v_lshrrev_b32_e32 v2, 24, v3
	v_cmpx_ne_u64_e32 0x7f800000, v[14:15]
	s_xor_b32 s29, exec_lo, s7
	s_cbranch_execz .LBB4_5470
; %bb.5457:                             ;   in Loop: Header=BB4_4032 Depth=2
	v_and_b32_e32 v14, 0x7fffffff, v3
	v_mov_b32_e32 v15, v37
	v_and_b32_e32 v2, 0x80, v2
                                        ; implicit-def: $vgpr46
	s_mov_b32 s7, exec_lo
	s_delay_alu instid0(VALU_DEP_2)
	v_cmpx_gt_u64_e32 0x43e00001, v[14:15]
	s_xor_b32 s40, exec_lo, s7
	s_cbranch_execz .LBB4_5467
; %bb.5458:                             ;   in Loop: Header=BB4_4032 Depth=2
	v_mov_b32_e32 v46, 0
	s_mov_b32 s41, exec_lo
	v_cmpx_ne_u32_e32 0, v3
	s_cbranch_execz .LBB4_5466
; %bb.5459:                             ;   in Loop: Header=BB4_4032 Depth=2
	v_bfe_u32 v113, v3, 23, 8
	v_and_b32_e32 v3, 0x7fffff, v3
	s_mov_b32 s42, exec_lo
	s_delay_alu instid0(VALU_DEP_2) | instskip(SKIP_1) | instid1(VALU_DEP_3)
	v_dual_mov_b32 v17, v37 :: v_dual_sub_nc_u32 v14, 0x79, v113
	v_cmp_gt_u32_e32 vcc_lo, 0x7a, v113
	v_or_b32_e32 v16, 0x800000, v3
	s_delay_alu instid0(VALU_DEP_3) | instskip(SKIP_1) | instid1(VALU_DEP_3)
	v_cndmask_b32_e32 v14, 0, v14, vcc_lo
	v_cmp_eq_u32_e32 vcc_lo, 0, v113
	v_cndmask_b32_e32 v16, v16, v3, vcc_lo
	s_delay_alu instid0(VALU_DEP_3) | instskip(NEXT) | instid1(VALU_DEP_1)
	v_cndmask_b32_e64 v46, v14, 0x78, vcc_lo
	v_dual_add_nc_u32 v14, 20, v46 :: v_dual_add_nc_u32 v20, 19, v46
	s_delay_alu instid0(VALU_DEP_1) | instskip(NEXT) | instid1(VALU_DEP_2)
	v_lshlrev_b64_e64 v[14:15], v14, -1
	v_lshlrev_b64_e64 v[20:21], v20, 1
	s_delay_alu instid0(VALU_DEP_2) | instskip(NEXT) | instid1(VALU_DEP_3)
	v_bfi_b32 v89, v15, 0, 0
	v_bfi_b32 v88, v14, 0, v16
	v_lshrrev_b64 v[14:15], v46, v[16:17]
	s_delay_alu instid0(VALU_DEP_1) | instskip(NEXT) | instid1(VALU_DEP_3)
	v_mov_b64_e32 v[16:17], v[14:15]
	v_cmpx_eq_u64_e64 v[88:89], v[20:21]
; %bb.5460:                             ;   in Loop: Header=BB4_4032 Depth=2
	v_bfe_u32 v16, v14, 20, 1
	v_mov_b32_e32 v17, v37
	s_delay_alu instid0(VALU_DEP_1) | instskip(NEXT) | instid1(VALU_DEP_1)
	v_add_nc_u64_e32 v[16:17], v[14:15], v[16:17]
	v_add_nc_u64_e32 v[16:17], -1, v[16:17]
; %bb.5461:                             ;   in Loop: Header=BB4_4032 Depth=2
	s_or_b32 exec_lo, exec_lo, s42
	v_add_nc_u32_e32 v3, 0xffffff81, v113
	v_lshrrev_b32_e32 v15, 23, v14
	s_mov_b32 s7, exec_lo
	s_delay_alu instid0(VALU_DEP_2) | instskip(NEXT) | instid1(VALU_DEP_1)
	v_cndmask_b32_e64 v3, v3, 0xffffff82, vcc_lo
	v_add3_u32 v17, v46, v3, v15
	v_and_b32_e32 v3, 0xfffff, v16
	s_delay_alu instid0(VALU_DEP_2) | instskip(NEXT) | instid1(VALU_DEP_2)
	v_dual_mov_b32 v15, v37 :: v_dual_add_nc_u32 v16, 6, v17
	v_add_nc_u32_e32 v14, v3, v14
                                        ; implicit-def: $vgpr3
	s_delay_alu instid0(VALU_DEP_2)
	v_cmpx_ne_u32_e32 0, v16
	s_xor_b32 s7, exec_lo, s7
; %bb.5462:                             ;   in Loop: Header=BB4_4032 Depth=2
	s_delay_alu instid0(VALU_DEP_2) | instskip(SKIP_1) | instid1(VALU_DEP_1)
	v_cmp_lt_u64_e32 vcc_lo, 0xffffff, v[14:15]
	v_add_nc_u32_e32 v3, 7, v17
	v_cndmask_b32_e32 v3, v16, v3, vcc_lo
	v_cndmask_b32_e64 v16, 0, 1, vcc_lo
	s_delay_alu instid0(VALU_DEP_1)
	v_lshrrev_b64 v[14:15], v16, v[14:15]
; %bb.5463:                             ;   in Loop: Header=BB4_4032 Depth=2
	s_and_not1_saveexec_b32 s7, s7
; %bb.5464:                             ;   in Loop: Header=BB4_4032 Depth=2
	s_delay_alu instid0(VALU_DEP_1)
	v_bfe_u32 v3, v14, 23, 1
; %bb.5465:                             ;   in Loop: Header=BB4_4032 Depth=2
	s_or_b32 exec_lo, exec_lo, s7
	s_delay_alu instid0(VALU_DEP_2) | instskip(NEXT) | instid1(VALU_DEP_2)
	v_lshrrev_b64 v[14:15], 20, v[14:15]
	v_cmp_gt_i32_e32 vcc_lo, 16, v3
	v_min_i32_e32 v16, 15, v3
	v_cmp_eq_u32_e64 s7, 0, v3
	s_delay_alu instid0(VALU_DEP_2) | instskip(SKIP_1) | instid1(VALU_DEP_2)
	v_dual_cndmask_b32 v14, 7, v14, vcc_lo :: v_dual_lshlrev_b32 v16, 3, v16
	v_cndmask_b32_e32 v15, 0, v15, vcc_lo
	v_and_b32_e32 v16, 0xf8, v16
	s_delay_alu instid0(VALU_DEP_2) | instskip(NEXT) | instid1(VALU_DEP_2)
	v_cmp_eq_u64_e32 vcc_lo, 0, v[14:15]
	v_and_or_b32 v3, v14, 7, v16
	s_and_b32 s7, s7, vcc_lo
	s_delay_alu instid0(VALU_DEP_1) | instid1(SALU_CYCLE_1)
	v_cndmask_b32_e64 v3, v3, 0, s7
	s_delay_alu instid0(VALU_DEP_1)
	v_or_b32_e32 v46, v3, v2
.LBB4_5466:                             ;   in Loop: Header=BB4_4032 Depth=2
	s_or_b32 exec_lo, exec_lo, s41
                                        ; implicit-def: $vgpr2
.LBB4_5467:                             ;   in Loop: Header=BB4_4032 Depth=2
	s_and_not1_saveexec_b32 s7, s40
; %bb.5468:                             ;   in Loop: Header=BB4_4032 Depth=2
	v_or_b32_e32 v46, 0x7e, v2
; %bb.5469:                             ;   in Loop: Header=BB4_4032 Depth=2
	s_or_b32 exec_lo, exec_lo, s7
                                        ; implicit-def: $vgpr2
.LBB4_5470:                             ;   in Loop: Header=BB4_4032 Depth=2
	s_and_not1_saveexec_b32 s7, s29
; %bb.5471:                             ;   in Loop: Header=BB4_4032 Depth=2
	v_or_b32_e32 v46, 0x7f, v2
; %bb.5472:                             ;   in Loop: Header=BB4_4032 Depth=2
	s_or_b32 exec_lo, exec_lo, s7
	v_dual_lshrrev_b32 v16, 16, v36 :: v_dual_mov_b32 v2, 0
	v_mov_b32_e32 v3, 0
	s_mov_b32 s7, exec_lo
	s_delay_alu instid0(VALU_DEP_2) | instskip(NEXT) | instid1(VALU_DEP_1)
	v_and_b32_e32 v14, 0xff, v16
	v_cmpx_ne_u16_e32 0, v14
	s_cbranch_execz .LBB4_5480
; %bb.5473:                             ;   in Loop: Header=BB4_4032 Depth=2
	v_bfrev_b32_e32 v3, 1
	s_mov_b32 s29, exec_lo
	v_cmpx_ne_u16_e32 0x80, v14
	s_cbranch_execz .LBB4_5479
; %bb.5474:                             ;   in Loop: Header=BB4_4032 Depth=2
	v_bfe_u32 v17, v36, 16, 7
	v_mov_b32_e32 v3, 0x7f800001
	s_mov_b32 s40, exec_lo
	s_delay_alu instid0(VALU_DEP_2)
	v_cmpx_ne_u32_e32 0x7f, v17
	s_cbranch_execz .LBB4_5478
; %bb.5475:                             ;   in Loop: Header=BB4_4032 Depth=2
	v_dual_mov_b32 v15, v37 :: v_dual_bitop2_b32 v14, 7, v16 bitop3:0x40
	v_lshrrev_b32_e32 v3, 3, v17
	s_mov_b32 s41, exec_lo
	v_cmpx_gt_u32_e32 8, v17
; %bb.5476:                             ;   in Loop: Header=BB4_4032 Depth=2
	s_delay_alu instid0(VALU_DEP_3) | instskip(NEXT) | instid1(VALU_DEP_1)
	v_clz_i32_u32_e32 v3, v14
	v_min_u32_e32 v3, 32, v3
	s_delay_alu instid0(VALU_DEP_1) | instskip(NEXT) | instid1(VALU_DEP_1)
	v_subrev_nc_u32_e32 v17, 28, v3
	v_lshlrev_b64_e32 v[14:15], v17, v[14:15]
	s_delay_alu instid0(VALU_DEP_1)
	v_dual_sub_nc_u32 v3, 29, v3 :: v_dual_bitop2_b32 v14, 7, v14 bitop3:0x40
; %bb.5477:                             ;   in Loop: Header=BB4_4032 Depth=2
	s_or_b32 exec_lo, exec_lo, s41
	s_delay_alu instid0(VALU_DEP_1) | instskip(NEXT) | instid1(VALU_DEP_2)
	v_dual_lshlrev_b32 v15, 24, v16 :: v_dual_lshlrev_b32 v14, 20, v14
	v_lshl_add_u32 v3, v3, 23, 0x3c000000
	s_delay_alu instid0(VALU_DEP_2) | instskip(NEXT) | instid1(VALU_DEP_1)
	v_and_b32_e32 v15, 0x80000000, v15
	v_or3_b32 v3, v14, v15, v3
.LBB4_5478:                             ;   in Loop: Header=BB4_4032 Depth=2
	s_or_b32 exec_lo, exec_lo, s40
.LBB4_5479:                             ;   in Loop: Header=BB4_4032 Depth=2
	s_delay_alu instid0(SALU_CYCLE_1)
	s_or_b32 exec_lo, exec_lo, s29
.LBB4_5480:                             ;   in Loop: Header=BB4_4032 Depth=2
	s_delay_alu instid0(SALU_CYCLE_1) | instskip(SKIP_2) | instid1(VALU_DEP_1)
	s_or_b32 exec_lo, exec_lo, s7
	v_lshrrev_b32_e32 v14, 16, v11
	s_mov_b32 s7, exec_lo
	v_and_b32_e32 v15, 0xff, v14
	s_delay_alu instid0(VALU_DEP_1)
	v_cmpx_ne_u16_e32 0, v15
	s_cbranch_execz .LBB4_5488
; %bb.5481:                             ;   in Loop: Header=BB4_4032 Depth=2
	v_bfrev_b32_e32 v2, 1
	s_mov_b32 s29, exec_lo
	v_cmpx_ne_u16_e32 0x80, v15
	s_cbranch_execz .LBB4_5487
; %bb.5482:                             ;   in Loop: Header=BB4_4032 Depth=2
	v_bfe_u32 v16, v11, 16, 7
	v_mov_b32_e32 v2, 0x7f800001
	s_mov_b32 s40, exec_lo
	s_delay_alu instid0(VALU_DEP_2)
	v_cmpx_ne_u32_e32 0x7f, v16
	s_cbranch_execz .LBB4_5486
; %bb.5483:                             ;   in Loop: Header=BB4_4032 Depth=2
	v_dual_mov_b32 v15, v37 :: v_dual_bitop2_b32 v14, 7, v14 bitop3:0x40
	v_lshrrev_b32_e32 v2, 3, v16
	s_mov_b32 s41, exec_lo
	v_cmpx_gt_u32_e32 8, v16
; %bb.5484:                             ;   in Loop: Header=BB4_4032 Depth=2
	s_delay_alu instid0(VALU_DEP_3) | instskip(NEXT) | instid1(VALU_DEP_1)
	v_clz_i32_u32_e32 v2, v14
	v_min_u32_e32 v2, 32, v2
	s_delay_alu instid0(VALU_DEP_1) | instskip(SKIP_1) | instid1(VALU_DEP_2)
	v_subrev_nc_u32_e32 v16, 28, v2
	v_sub_nc_u32_e32 v2, 29, v2
	v_lshlrev_b64_e32 v[14:15], v16, v[14:15]
	s_delay_alu instid0(VALU_DEP_1)
	v_and_b32_e32 v14, 7, v14
; %bb.5485:                             ;   in Loop: Header=BB4_4032 Depth=2
	s_or_b32 exec_lo, exec_lo, s41
	s_delay_alu instid0(VALU_DEP_1) | instskip(SKIP_1) | instid1(VALU_DEP_2)
	v_dual_lshlrev_b32 v15, 8, v11 :: v_dual_lshlrev_b32 v14, 20, v14
	v_lshl_add_u32 v2, v2, 23, 0x3c000000
	v_and_b32_e32 v15, 0x80000000, v15
	s_delay_alu instid0(VALU_DEP_1)
	v_or3_b32 v2, v14, v15, v2
.LBB4_5486:                             ;   in Loop: Header=BB4_4032 Depth=2
	s_or_b32 exec_lo, exec_lo, s40
.LBB4_5487:                             ;   in Loop: Header=BB4_4032 Depth=2
	s_delay_alu instid0(SALU_CYCLE_1)
	s_or_b32 exec_lo, exec_lo, s29
.LBB4_5488:                             ;   in Loop: Header=BB4_4032 Depth=2
	s_delay_alu instid0(SALU_CYCLE_1) | instskip(NEXT) | instid1(VALU_DEP_1)
	s_or_b32 exec_lo, exec_lo, s7
	v_dual_add_f32 v3, v3, v2 :: v_dual_mov_b32 v15, v37
                                        ; implicit-def: $vgpr16
	s_mov_b32 s7, exec_lo
	s_delay_alu instid0(VALU_DEP_1) | instskip(SKIP_1) | instid1(VALU_DEP_2)
	v_and_b32_e32 v14, 0x7f800000, v3
	v_lshrrev_b32_e32 v2, 24, v3
	v_cmpx_ne_u64_e32 0x7f800000, v[14:15]
	s_xor_b32 s29, exec_lo, s7
	s_cbranch_execz .LBB4_5502
; %bb.5489:                             ;   in Loop: Header=BB4_4032 Depth=2
	v_and_b32_e32 v14, 0x7fffffff, v3
	v_mov_b32_e32 v15, v37
	v_and_b32_e32 v2, 0x80, v2
                                        ; implicit-def: $vgpr16
	s_mov_b32 s7, exec_lo
	s_delay_alu instid0(VALU_DEP_2)
	v_cmpx_gt_u64_e32 0x43e00001, v[14:15]
	s_xor_b32 s40, exec_lo, s7
	s_cbranch_execz .LBB4_5499
; %bb.5490:                             ;   in Loop: Header=BB4_4032 Depth=2
	v_mov_b32_e32 v16, 0
	s_mov_b32 s41, exec_lo
	v_cmpx_ne_u32_e32 0, v3
	s_cbranch_execz .LBB4_5498
; %bb.5491:                             ;   in Loop: Header=BB4_4032 Depth=2
	v_bfe_u32 v113, v3, 23, 8
	v_and_b32_e32 v3, 0x7fffff, v3
	s_mov_b32 s42, exec_lo
	s_delay_alu instid0(VALU_DEP_2) | instskip(SKIP_1) | instid1(VALU_DEP_3)
	v_dual_mov_b32 v17, v37 :: v_dual_sub_nc_u32 v14, 0x79, v113
	v_cmp_gt_u32_e32 vcc_lo, 0x7a, v113
	v_or_b32_e32 v16, 0x800000, v3
	s_delay_alu instid0(VALU_DEP_3) | instskip(SKIP_1) | instid1(VALU_DEP_2)
	v_cndmask_b32_e32 v14, 0, v14, vcc_lo
	v_cmp_eq_u32_e32 vcc_lo, 0, v113
	v_cndmask_b32_e64 v56, v14, 0x78, vcc_lo
	s_delay_alu instid0(VALU_DEP_1) | instskip(SKIP_1) | instid1(VALU_DEP_2)
	v_dual_cndmask_b32 v16, v16, v3, vcc_lo :: v_dual_add_nc_u32 v14, 20, v56
	v_add_nc_u32_e32 v20, 19, v56
	v_lshlrev_b64_e64 v[14:15], v14, -1
	s_delay_alu instid0(VALU_DEP_2) | instskip(NEXT) | instid1(VALU_DEP_2)
	v_lshlrev_b64_e64 v[20:21], v20, 1
	v_bfi_b32 v89, v15, 0, 0
	s_delay_alu instid0(VALU_DEP_3) | instskip(SKIP_1) | instid1(VALU_DEP_1)
	v_bfi_b32 v88, v14, 0, v16
	v_lshrrev_b64 v[14:15], v56, v[16:17]
	v_mov_b64_e32 v[16:17], v[14:15]
	s_delay_alu instid0(VALU_DEP_3)
	v_cmpx_eq_u64_e64 v[88:89], v[20:21]
; %bb.5492:                             ;   in Loop: Header=BB4_4032 Depth=2
	v_bfe_u32 v16, v14, 20, 1
	v_mov_b32_e32 v17, v37
	s_delay_alu instid0(VALU_DEP_1) | instskip(NEXT) | instid1(VALU_DEP_1)
	v_add_nc_u64_e32 v[16:17], v[14:15], v[16:17]
	v_add_nc_u64_e32 v[16:17], -1, v[16:17]
; %bb.5493:                             ;   in Loop: Header=BB4_4032 Depth=2
	s_or_b32 exec_lo, exec_lo, s42
	v_add_nc_u32_e32 v3, 0xffffff81, v113
	v_lshrrev_b32_e32 v15, 23, v14
	s_mov_b32 s7, exec_lo
	s_delay_alu instid0(VALU_DEP_2) | instskip(NEXT) | instid1(VALU_DEP_1)
	v_cndmask_b32_e64 v3, v3, 0xffffff82, vcc_lo
	v_add3_u32 v17, v56, v3, v15
	v_and_b32_e32 v3, 0xfffff, v16
	s_delay_alu instid0(VALU_DEP_2) | instskip(NEXT) | instid1(VALU_DEP_2)
	v_dual_mov_b32 v15, v37 :: v_dual_add_nc_u32 v16, 6, v17
	v_add_nc_u32_e32 v14, v3, v14
                                        ; implicit-def: $vgpr3
	s_delay_alu instid0(VALU_DEP_2)
	v_cmpx_ne_u32_e32 0, v16
	s_xor_b32 s7, exec_lo, s7
; %bb.5494:                             ;   in Loop: Header=BB4_4032 Depth=2
	s_delay_alu instid0(VALU_DEP_2) | instskip(SKIP_1) | instid1(VALU_DEP_1)
	v_cmp_lt_u64_e32 vcc_lo, 0xffffff, v[14:15]
	v_add_nc_u32_e32 v3, 7, v17
	v_cndmask_b32_e32 v3, v16, v3, vcc_lo
	v_cndmask_b32_e64 v16, 0, 1, vcc_lo
	s_delay_alu instid0(VALU_DEP_1)
	v_lshrrev_b64 v[14:15], v16, v[14:15]
; %bb.5495:                             ;   in Loop: Header=BB4_4032 Depth=2
	s_and_not1_saveexec_b32 s7, s7
; %bb.5496:                             ;   in Loop: Header=BB4_4032 Depth=2
	s_delay_alu instid0(VALU_DEP_1)
	v_bfe_u32 v3, v14, 23, 1
; %bb.5497:                             ;   in Loop: Header=BB4_4032 Depth=2
	s_or_b32 exec_lo, exec_lo, s7
	s_delay_alu instid0(VALU_DEP_2) | instskip(NEXT) | instid1(VALU_DEP_2)
	v_lshrrev_b64 v[14:15], 20, v[14:15]
	v_cmp_gt_i32_e32 vcc_lo, 16, v3
	v_min_i32_e32 v16, 15, v3
	v_cmp_eq_u32_e64 s7, 0, v3
	s_delay_alu instid0(VALU_DEP_2) | instskip(SKIP_1) | instid1(VALU_DEP_2)
	v_dual_cndmask_b32 v14, 7, v14, vcc_lo :: v_dual_lshlrev_b32 v16, 3, v16
	v_cndmask_b32_e32 v15, 0, v15, vcc_lo
	v_and_b32_e32 v16, 0xf8, v16
	s_delay_alu instid0(VALU_DEP_2) | instskip(NEXT) | instid1(VALU_DEP_2)
	v_cmp_eq_u64_e32 vcc_lo, 0, v[14:15]
	v_and_or_b32 v3, v14, 7, v16
	s_and_b32 s7, s7, vcc_lo
	s_delay_alu instid0(VALU_DEP_1) | instid1(SALU_CYCLE_1)
	v_cndmask_b32_e64 v3, v3, 0, s7
	s_delay_alu instid0(VALU_DEP_1)
	v_or_b32_e32 v16, v3, v2
.LBB4_5498:                             ;   in Loop: Header=BB4_4032 Depth=2
	s_or_b32 exec_lo, exec_lo, s41
                                        ; implicit-def: $vgpr2
.LBB4_5499:                             ;   in Loop: Header=BB4_4032 Depth=2
	s_and_not1_saveexec_b32 s7, s40
; %bb.5500:                             ;   in Loop: Header=BB4_4032 Depth=2
	v_or_b32_e32 v16, 0x7e, v2
; %bb.5501:                             ;   in Loop: Header=BB4_4032 Depth=2
	s_or_b32 exec_lo, exec_lo, s7
                                        ; implicit-def: $vgpr2
.LBB4_5502:                             ;   in Loop: Header=BB4_4032 Depth=2
	s_and_not1_saveexec_b32 s7, s29
; %bb.5503:                             ;   in Loop: Header=BB4_4032 Depth=2
	v_or_b32_e32 v16, 0x7f, v2
; %bb.5504:                             ;   in Loop: Header=BB4_4032 Depth=2
	s_or_b32 exec_lo, exec_lo, s7
	v_dual_mov_b32 v2, 0 :: v_dual_mov_b32 v3, 0
	s_mov_b32 s7, exec_lo
	v_cmpx_lt_u32_e32 0xffffff, v36
	s_cbranch_execz .LBB4_5512
; %bb.5505:                             ;   in Loop: Header=BB4_4032 Depth=2
	v_lshrrev_b32_e32 v14, 24, v36
	v_bfrev_b32_e32 v3, 1
	s_mov_b32 s29, exec_lo
	s_delay_alu instid0(VALU_DEP_2)
	v_cmpx_ne_u32_e32 0x80, v14
	s_cbranch_execz .LBB4_5511
; %bb.5506:                             ;   in Loop: Header=BB4_4032 Depth=2
	v_bfe_u32 v15, v36, 24, 7
	v_mov_b32_e32 v3, 0x7f800001
	s_mov_b32 s40, exec_lo
	s_delay_alu instid0(VALU_DEP_2)
	v_cmpx_ne_u32_e32 0x7f, v15
	s_cbranch_execz .LBB4_5510
; %bb.5507:                             ;   in Loop: Header=BB4_4032 Depth=2
	v_dual_lshrrev_b32 v3, 3, v15 :: v_dual_bitop2_b32 v36, 7, v14 bitop3:0x40
	s_mov_b32 s41, exec_lo
	v_cmpx_gt_u32_e32 8, v15
; %bb.5508:                             ;   in Loop: Header=BB4_4032 Depth=2
	s_delay_alu instid0(VALU_DEP_2) | instskip(NEXT) | instid1(VALU_DEP_1)
	v_clz_i32_u32_e32 v3, v36
	v_min_u32_e32 v3, 32, v3
	s_delay_alu instid0(VALU_DEP_1) | instskip(NEXT) | instid1(VALU_DEP_1)
	v_subrev_nc_u32_e32 v15, 28, v3
	v_lshlrev_b64_e32 v[20:21], v15, v[36:37]
	s_delay_alu instid0(VALU_DEP_1)
	v_dual_sub_nc_u32 v3, 29, v3 :: v_dual_bitop2_b32 v36, 7, v20 bitop3:0x40
; %bb.5509:                             ;   in Loop: Header=BB4_4032 Depth=2
	s_or_b32 exec_lo, exec_lo, s41
	s_delay_alu instid0(VALU_DEP_1) | instskip(NEXT) | instid1(VALU_DEP_2)
	v_dual_lshlrev_b32 v14, 24, v14 :: v_dual_lshlrev_b32 v15, 20, v36
	v_lshl_add_u32 v3, v3, 23, 0x3c000000
	s_delay_alu instid0(VALU_DEP_2) | instskip(NEXT) | instid1(VALU_DEP_1)
	v_and_b32_e32 v14, 0x80000000, v14
	v_or3_b32 v3, v15, v14, v3
.LBB4_5510:                             ;   in Loop: Header=BB4_4032 Depth=2
	s_or_b32 exec_lo, exec_lo, s40
.LBB4_5511:                             ;   in Loop: Header=BB4_4032 Depth=2
	s_delay_alu instid0(SALU_CYCLE_1)
	s_or_b32 exec_lo, exec_lo, s29
.LBB4_5512:                             ;   in Loop: Header=BB4_4032 Depth=2
	s_delay_alu instid0(SALU_CYCLE_1) | instskip(NEXT) | instid1(SALU_CYCLE_1)
	s_or_b32 exec_lo, exec_lo, s7
	s_mov_b32 s7, exec_lo
	v_cmpx_lt_u64_e64 s[12:13], v[10:11]
	s_cbranch_execz .LBB4_5520
; %bb.5513:                             ;   in Loop: Header=BB4_4032 Depth=2
	v_lshrrev_b32_e32 v10, 24, v11
	v_bfrev_b32_e32 v2, 1
	s_mov_b32 s29, exec_lo
	s_delay_alu instid0(VALU_DEP_2)
	v_cmpx_ne_u32_e32 0x80, v10
	s_cbranch_execz .LBB4_5519
; %bb.5514:                             ;   in Loop: Header=BB4_4032 Depth=2
	v_bfe_u32 v11, v11, 24, 7
	v_mov_b32_e32 v2, 0x7f800001
	s_mov_b32 s40, exec_lo
	s_delay_alu instid0(VALU_DEP_2)
	v_cmpx_ne_u32_e32 0x7f, v11
	s_cbranch_execz .LBB4_5518
; %bb.5515:                             ;   in Loop: Header=BB4_4032 Depth=2
	v_dual_lshrrev_b32 v2, 3, v11 :: v_dual_bitop2_b32 v36, 7, v10 bitop3:0x40
	s_mov_b32 s41, exec_lo
	v_cmpx_gt_u32_e32 8, v11
; %bb.5516:                             ;   in Loop: Header=BB4_4032 Depth=2
	s_delay_alu instid0(VALU_DEP_2) | instskip(NEXT) | instid1(VALU_DEP_1)
	v_clz_i32_u32_e32 v2, v36
	v_min_u32_e32 v2, 32, v2
	s_delay_alu instid0(VALU_DEP_1) | instskip(SKIP_1) | instid1(VALU_DEP_2)
	v_subrev_nc_u32_e32 v11, 28, v2
	v_sub_nc_u32_e32 v2, 29, v2
	v_lshlrev_b64_e32 v[14:15], v11, v[36:37]
	s_delay_alu instid0(VALU_DEP_1)
	v_and_b32_e32 v36, 7, v14
; %bb.5517:                             ;   in Loop: Header=BB4_4032 Depth=2
	s_or_b32 exec_lo, exec_lo, s41
	s_delay_alu instid0(VALU_DEP_1) | instskip(SKIP_1) | instid1(VALU_DEP_2)
	v_dual_lshlrev_b32 v10, 24, v10 :: v_dual_lshlrev_b32 v11, 20, v36
	v_lshl_add_u32 v2, v2, 23, 0x3c000000
	v_and_b32_e32 v10, 0x80000000, v10
	s_delay_alu instid0(VALU_DEP_1)
	v_or3_b32 v2, v11, v10, v2
.LBB4_5518:                             ;   in Loop: Header=BB4_4032 Depth=2
	s_or_b32 exec_lo, exec_lo, s40
.LBB4_5519:                             ;   in Loop: Header=BB4_4032 Depth=2
	s_delay_alu instid0(SALU_CYCLE_1)
	s_or_b32 exec_lo, exec_lo, s29
.LBB4_5520:                             ;   in Loop: Header=BB4_4032 Depth=2
	s_delay_alu instid0(SALU_CYCLE_1) | instskip(NEXT) | instid1(VALU_DEP_1)
	s_or_b32 exec_lo, exec_lo, s7
	v_add_f32_e32 v3, v3, v2
                                        ; implicit-def: $vgpr17
	s_mov_b32 s7, exec_lo
	s_delay_alu instid0(VALU_DEP_1) | instskip(SKIP_1) | instid1(VALU_DEP_2)
	v_and_b32_e32 v36, 0x7f800000, v3
	v_lshrrev_b32_e32 v2, 24, v3
	v_cmpx_ne_u64_e32 0x7f800000, v[36:37]
	s_xor_b32 s29, exec_lo, s7
	s_cbranch_execz .LBB4_5534
; %bb.5521:                             ;   in Loop: Header=BB4_4032 Depth=2
	v_and_b32_e32 v36, 0x7fffffff, v3
	v_and_b32_e32 v2, 0x80, v2
                                        ; implicit-def: $vgpr17
	s_mov_b32 s7, exec_lo
	s_delay_alu instid0(VALU_DEP_2)
	v_cmpx_gt_u64_e32 0x43e00001, v[36:37]
	s_xor_b32 s40, exec_lo, s7
	s_cbranch_execz .LBB4_5531
; %bb.5522:                             ;   in Loop: Header=BB4_4032 Depth=2
	v_mov_b32_e32 v17, 0
	s_mov_b32 s41, exec_lo
	v_cmpx_ne_u32_e32 0, v3
	s_cbranch_execz .LBB4_5530
; %bb.5523:                             ;   in Loop: Header=BB4_4032 Depth=2
	v_bfe_u32 v17, v3, 23, 8
	v_and_b32_e32 v3, 0x7fffff, v3
	s_delay_alu instid0(VALU_DEP_2) | instskip(SKIP_1) | instid1(VALU_DEP_3)
	v_sub_nc_u32_e32 v10, 0x79, v17
	v_cmp_gt_u32_e32 vcc_lo, 0x7a, v17
	v_or_b32_e32 v14, 0x800000, v3
	s_delay_alu instid0(VALU_DEP_3) | instskip(SKIP_1) | instid1(VALU_DEP_2)
	v_cndmask_b32_e32 v10, 0, v10, vcc_lo
	v_cmp_eq_u32_e32 vcc_lo, 0, v17
	v_cndmask_b32_e64 v113, v10, 0x78, vcc_lo
	s_delay_alu instid0(VALU_DEP_1) | instskip(SKIP_1) | instid1(VALU_DEP_2)
	v_dual_cndmask_b32 v36, v14, v3, vcc_lo :: v_dual_add_nc_u32 v10, 20, v113
	v_add_nc_u32_e32 v15, 19, v113
	v_lshlrev_b64_e64 v[10:11], v10, -1
	s_delay_alu instid0(VALU_DEP_2) | instskip(NEXT) | instid1(VALU_DEP_2)
	v_lshlrev_b64_e64 v[14:15], v15, 1
	v_bfi_b32 v21, v11, 0, 0
	s_delay_alu instid0(VALU_DEP_3) | instskip(SKIP_1) | instid1(VALU_DEP_2)
	v_bfi_b32 v20, v10, 0, v36
	v_lshrrev_b64 v[10:11], v113, v[36:37]
	v_cmp_eq_u64_e64 s7, v[20:21], v[14:15]
	s_delay_alu instid0(VALU_DEP_2)
	v_mov_b64_e32 v[14:15], v[10:11]
	s_and_saveexec_b32 s42, s7
; %bb.5524:                             ;   in Loop: Header=BB4_4032 Depth=2
	v_bfe_u32 v36, v10, 20, 1
	s_delay_alu instid0(VALU_DEP_1) | instskip(NEXT) | instid1(VALU_DEP_1)
	v_add_nc_u64_e32 v[14:15], v[10:11], v[36:37]
	v_add_nc_u64_e32 v[14:15], -1, v[14:15]
; %bb.5525:                             ;   in Loop: Header=BB4_4032 Depth=2
	s_or_b32 exec_lo, exec_lo, s42
	v_add_nc_u32_e32 v3, 0xffffff81, v17
	v_lshrrev_b32_e32 v11, 23, v10
	s_mov_b32 s7, exec_lo
	s_delay_alu instid0(VALU_DEP_2) | instskip(NEXT) | instid1(VALU_DEP_1)
	v_cndmask_b32_e64 v3, v3, 0xffffff82, vcc_lo
	v_add3_u32 v15, v113, v3, v11
	v_and_b32_e32 v3, 0xfffff, v14
	s_delay_alu instid0(VALU_DEP_1) | instskip(NEXT) | instid1(VALU_DEP_1)
	v_dual_add_nc_u32 v14, 6, v15 :: v_dual_add_nc_u32 v36, v3, v10
                                        ; implicit-def: $vgpr10_vgpr11
                                        ; implicit-def: $vgpr3
	v_cmpx_ne_u32_e32 0, v14
	s_xor_b32 s7, exec_lo, s7
; %bb.5526:                             ;   in Loop: Header=BB4_4032 Depth=2
	s_delay_alu instid0(VALU_DEP_2) | instskip(SKIP_2) | instid1(VALU_DEP_2)
	v_cmp_lt_u64_e32 vcc_lo, 0xffffff, v[36:37]
	v_add_nc_u32_e32 v3, 7, v15
	v_cndmask_b32_e64 v10, 0, 1, vcc_lo
	v_cndmask_b32_e32 v3, v14, v3, vcc_lo
	s_delay_alu instid0(VALU_DEP_2)
	v_lshrrev_b64 v[10:11], v10, v[36:37]
; %bb.5527:                             ;   in Loop: Header=BB4_4032 Depth=2
	s_and_not1_saveexec_b32 s7, s7
; %bb.5528:                             ;   in Loop: Header=BB4_4032 Depth=2
	v_mov_b64_e32 v[10:11], v[36:37]
	v_bfe_u32 v3, v36, 23, 1
; %bb.5529:                             ;   in Loop: Header=BB4_4032 Depth=2
	s_or_b32 exec_lo, exec_lo, s7
	s_delay_alu instid0(VALU_DEP_2) | instskip(NEXT) | instid1(VALU_DEP_2)
	v_lshrrev_b64 v[10:11], 20, v[10:11]
	v_cmp_gt_i32_e32 vcc_lo, 16, v3
	v_min_i32_e32 v14, 15, v3
	v_cmp_eq_u32_e64 s7, 0, v3
	s_delay_alu instid0(VALU_DEP_4) | instskip(NEXT) | instid1(VALU_DEP_3)
	v_cndmask_b32_e32 v10, 7, v10, vcc_lo
	v_dual_cndmask_b32 v11, 0, v11 :: v_dual_lshlrev_b32 v14, 3, v14
	s_delay_alu instid0(VALU_DEP_1) | instskip(NEXT) | instid1(VALU_DEP_2)
	v_and_b32_e32 v14, 0xf8, v14
	v_cmp_eq_u64_e32 vcc_lo, 0, v[10:11]
	s_delay_alu instid0(VALU_DEP_2)
	v_and_or_b32 v3, v10, 7, v14
	s_and_b32 s7, s7, vcc_lo
	s_delay_alu instid0(VALU_DEP_1) | instid1(SALU_CYCLE_1)
	v_cndmask_b32_e64 v3, v3, 0, s7
	s_delay_alu instid0(VALU_DEP_1)
	v_or_b32_e32 v17, v3, v2
.LBB4_5530:                             ;   in Loop: Header=BB4_4032 Depth=2
	s_or_b32 exec_lo, exec_lo, s41
                                        ; implicit-def: $vgpr2
.LBB4_5531:                             ;   in Loop: Header=BB4_4032 Depth=2
	s_and_not1_saveexec_b32 s7, s40
; %bb.5532:                             ;   in Loop: Header=BB4_4032 Depth=2
	v_or_b32_e32 v17, 0x7e, v2
; %bb.5533:                             ;   in Loop: Header=BB4_4032 Depth=2
	s_or_b32 exec_lo, exec_lo, s7
                                        ; implicit-def: $vgpr2
.LBB4_5534:                             ;   in Loop: Header=BB4_4032 Depth=2
	s_and_not1_saveexec_b32 s7, s29
; %bb.5535:                             ;   in Loop: Header=BB4_4032 Depth=2
	v_or_b32_e32 v17, 0x7f, v2
; %bb.5536:                             ;   in Loop: Header=BB4_4032 Depth=2
	s_or_b32 exec_lo, exec_lo, s7
	v_lshl_or_b32 v2, v41, 8, v116
	v_dual_lshlrev_b32 v10, 16, v44 :: v_dual_lshlrev_b32 v11, 24, v47
	v_mov_b32_e32 v3, 0
	s_mov_b32 s7, exec_lo
	s_delay_alu instid0(VALU_DEP_2)
	v_or3_b32 v36, v10, v11, v2
	v_mov_b32_e32 v10, 0
	v_cmpx_ne_u32_e32 0, v116
	s_cbranch_execz .LBB4_5542
; %bb.5537:                             ;   in Loop: Header=BB4_4032 Depth=2
	v_bfrev_b32_e32 v10, 1
	s_mov_b32 s29, exec_lo
	v_cmpx_ne_u32_e32 0x80, v116
	s_cbranch_execz .LBB4_5541
; %bb.5538:                             ;   in Loop: Header=BB4_4032 Depth=2
	v_and_b32_e32 v11, 0x7f, v116
	v_mov_b32_e32 v10, 0x7f800001
	s_mov_b32 s40, exec_lo
	s_delay_alu instid0(VALU_DEP_2)
	v_cmpx_ne_u32_e32 0x7f, v11
	s_cbranch_execz .LBB4_5540
; %bb.5539:                             ;   in Loop: Header=BB4_4032 Depth=2
	v_dual_lshrrev_b32 v14, 3, v11 :: v_dual_bitop2_b32 v10, 7, v116 bitop3:0x40
	v_cmp_gt_u32_e32 vcc_lo, 8, v11
	s_delay_alu instid0(VALU_DEP_2) | instskip(NEXT) | instid1(VALU_DEP_1)
	v_clz_i32_u32_e32 v10, v10
	v_min_u32_e32 v10, 32, v10
	s_delay_alu instid0(VALU_DEP_1) | instskip(SKIP_1) | instid1(VALU_DEP_1)
	v_subrev_nc_u32_e32 v15, 28, v10
	v_sub_nc_u32_e32 v10, 29, v10
	v_dual_cndmask_b32 v14, v14, v10, vcc_lo :: v_dual_cndmask_b32 v10, 0, v15, vcc_lo
	s_delay_alu instid0(VALU_DEP_1) | instskip(NEXT) | instid1(VALU_DEP_2)
	v_lshl_add_u32 v14, v14, 23, 0x3c000000
	v_lshlrev_b64_e32 v[10:11], v10, v[36:37]
	v_lshlrev_b32_e32 v11, 24, v36
	s_delay_alu instid0(VALU_DEP_1) | instskip(NEXT) | instid1(VALU_DEP_3)
	v_and_b32_e32 v11, 0x80000000, v11
	v_lshlrev_b32_e32 v10, 20, v10
	s_delay_alu instid0(VALU_DEP_1) | instskip(NEXT) | instid1(VALU_DEP_1)
	v_and_b32_e32 v10, 0x700000, v10
	v_or3_b32 v10, v10, v11, v14
.LBB4_5540:                             ;   in Loop: Header=BB4_4032 Depth=2
	s_or_b32 exec_lo, exec_lo, s40
.LBB4_5541:                             ;   in Loop: Header=BB4_4032 Depth=2
	s_delay_alu instid0(SALU_CYCLE_1)
	s_or_b32 exec_lo, exec_lo, s29
.LBB4_5542:                             ;   in Loop: Header=BB4_4032 Depth=2
	s_delay_alu instid0(SALU_CYCLE_1) | instskip(SKIP_2) | instid1(VALU_DEP_1)
	s_or_b32 exec_lo, exec_lo, s7
	v_and_b32_e32 v11, 0xff, v12
	s_mov_b32 s7, exec_lo
	v_cmpx_ne_u16_e32 0, v11
	s_cbranch_execz .LBB4_5548
; %bb.5543:                             ;   in Loop: Header=BB4_4032 Depth=2
	v_bfrev_b32_e32 v3, 1
	s_mov_b32 s29, exec_lo
	v_cmpx_ne_u16_e32 0x80, v11
	s_cbranch_execz .LBB4_5547
; %bb.5544:                             ;   in Loop: Header=BB4_4032 Depth=2
	v_and_b32_e32 v11, 0x7f, v12
	v_mov_b32_e32 v3, 0x7f800001
	s_mov_b32 s40, exec_lo
	s_delay_alu instid0(VALU_DEP_2)
	v_cmpx_ne_u32_e32 0x7f, v11
	s_cbranch_execz .LBB4_5546
; %bb.5545:                             ;   in Loop: Header=BB4_4032 Depth=2
	v_dual_lshrrev_b32 v14, 3, v11 :: v_dual_bitop2_b32 v3, 7, v12 bitop3:0x40
	v_cmp_gt_u32_e32 vcc_lo, 8, v11
	s_delay_alu instid0(VALU_DEP_2) | instskip(NEXT) | instid1(VALU_DEP_1)
	v_clz_i32_u32_e32 v3, v3
	v_min_u32_e32 v3, 32, v3
	s_delay_alu instid0(VALU_DEP_1) | instskip(SKIP_1) | instid1(VALU_DEP_2)
	v_subrev_nc_u32_e32 v15, 28, v3
	v_sub_nc_u32_e32 v3, 29, v3
	v_cndmask_b32_e32 v11, 0, v15, vcc_lo
	s_delay_alu instid0(VALU_DEP_2) | instskip(NEXT) | instid1(VALU_DEP_2)
	v_cndmask_b32_e32 v3, v14, v3, vcc_lo
	v_lshlrev_b64_e32 v[14:15], v11, v[12:13]
	v_lshlrev_b32_e32 v11, 24, v12
	s_delay_alu instid0(VALU_DEP_1) | instskip(NEXT) | instid1(VALU_DEP_3)
	v_and_b32_e32 v11, 0x80000000, v11
	v_lshlrev_b32_e32 v14, 20, v14
	v_lshl_add_u32 v3, v3, 23, 0x3c000000
	s_delay_alu instid0(VALU_DEP_2) | instskip(NEXT) | instid1(VALU_DEP_1)
	v_and_b32_e32 v14, 0x700000, v14
	v_or3_b32 v3, v14, v11, v3
.LBB4_5546:                             ;   in Loop: Header=BB4_4032 Depth=2
	s_or_b32 exec_lo, exec_lo, s40
.LBB4_5547:                             ;   in Loop: Header=BB4_4032 Depth=2
	s_delay_alu instid0(SALU_CYCLE_1)
	s_or_b32 exec_lo, exec_lo, s29
.LBB4_5548:                             ;   in Loop: Header=BB4_4032 Depth=2
	s_delay_alu instid0(SALU_CYCLE_1) | instskip(NEXT) | instid1(VALU_DEP_1)
	s_or_b32 exec_lo, exec_lo, s7
	v_dual_add_f32 v10, v10, v3 :: v_dual_mov_b32 v15, v37
                                        ; implicit-def: $vgpr116
	s_mov_b32 s7, exec_lo
	s_delay_alu instid0(VALU_DEP_1) | instskip(SKIP_1) | instid1(VALU_DEP_2)
	v_and_b32_e32 v14, 0x7f800000, v10
	v_lshrrev_b32_e32 v3, 24, v10
	v_cmpx_ne_u64_e32 0x7f800000, v[14:15]
	s_xor_b32 s29, exec_lo, s7
	s_cbranch_execz .LBB4_5562
; %bb.5549:                             ;   in Loop: Header=BB4_4032 Depth=2
	v_and_b32_e32 v14, 0x7fffffff, v10
	v_mov_b32_e32 v15, v37
	v_and_b32_e32 v3, 0x80, v3
                                        ; implicit-def: $vgpr116
	s_mov_b32 s7, exec_lo
	s_delay_alu instid0(VALU_DEP_2)
	v_cmpx_gt_u64_e32 0x43e00001, v[14:15]
	s_xor_b32 s40, exec_lo, s7
	s_cbranch_execz .LBB4_5559
; %bb.5550:                             ;   in Loop: Header=BB4_4032 Depth=2
	v_mov_b32_e32 v116, 0
	s_mov_b32 s41, exec_lo
	v_cmpx_ne_u32_e32 0, v10
	s_cbranch_execz .LBB4_5558
; %bb.5551:                             ;   in Loop: Header=BB4_4032 Depth=2
	v_bfe_u32 v113, v10, 23, 8
	v_and_b32_e32 v14, 0x7fffff, v10
	s_mov_b32 s42, exec_lo
	s_delay_alu instid0(VALU_DEP_2) | instskip(NEXT) | instid1(VALU_DEP_2)
	v_cmp_gt_u32_e32 vcc_lo, 0x7a, v113
	v_or_b32_e32 v15, 0x800000, v14
	v_sub_nc_u32_e32 v11, 0x79, v113
	s_delay_alu instid0(VALU_DEP_1) | instskip(SKIP_1) | instid1(VALU_DEP_2)
	v_cndmask_b32_e32 v11, 0, v11, vcc_lo
	v_cmp_eq_u32_e32 vcc_lo, 0, v113
	v_cndmask_b32_e64 v116, v11, 0x78, vcc_lo
	v_dual_cndmask_b32 v14, v15, v14 :: v_dual_mov_b32 v15, v37
	s_delay_alu instid0(VALU_DEP_2) | instskip(NEXT) | instid1(VALU_DEP_1)
	v_dual_add_nc_u32 v20, 19, v116 :: v_dual_add_nc_u32 v10, 20, v116
	v_lshlrev_b64_e64 v[20:21], v20, 1
	s_delay_alu instid0(VALU_DEP_2) | instskip(NEXT) | instid1(VALU_DEP_1)
	v_lshlrev_b64_e64 v[10:11], v10, -1
	v_bfi_b32 v89, v11, 0, 0
	s_delay_alu instid0(VALU_DEP_2) | instskip(SKIP_1) | instid1(VALU_DEP_1)
	v_bfi_b32 v88, v10, 0, v14
	v_lshrrev_b64 v[10:11], v116, v[14:15]
	v_mov_b64_e32 v[14:15], v[10:11]
	s_delay_alu instid0(VALU_DEP_3)
	v_cmpx_eq_u64_e64 v[88:89], v[20:21]
; %bb.5552:                             ;   in Loop: Header=BB4_4032 Depth=2
	v_bfe_u32 v14, v10, 20, 1
	v_mov_b32_e32 v15, v37
	s_delay_alu instid0(VALU_DEP_1) | instskip(NEXT) | instid1(VALU_DEP_1)
	v_add_nc_u64_e32 v[14:15], v[10:11], v[14:15]
	v_add_nc_u64_e32 v[14:15], -1, v[14:15]
; %bb.5553:                             ;   in Loop: Header=BB4_4032 Depth=2
	s_or_b32 exec_lo, exec_lo, s42
	v_add_nc_u32_e32 v11, 0xffffff81, v113
	v_lshrrev_b32_e32 v15, 23, v10
	s_mov_b32 s7, exec_lo
	s_delay_alu instid0(VALU_DEP_2) | instskip(NEXT) | instid1(VALU_DEP_1)
	v_cndmask_b32_e64 v11, v11, 0xffffff82, vcc_lo
	v_add3_u32 v15, v116, v11, v15
	v_and_b32_e32 v11, 0xfffff, v14
                                        ; implicit-def: $vgpr14
	s_delay_alu instid0(VALU_DEP_1) | instskip(SKIP_1) | instid1(VALU_DEP_2)
	v_dual_add_nc_u32 v113, 6, v15 :: v_dual_add_nc_u32 v10, v11, v10
	v_mov_b32_e32 v11, v37
	v_cmpx_ne_u32_e32 0, v113
	s_xor_b32 s7, exec_lo, s7
; %bb.5554:                             ;   in Loop: Header=BB4_4032 Depth=2
	s_delay_alu instid0(VALU_DEP_2) | instskip(SKIP_2) | instid1(VALU_DEP_2)
	v_cmp_lt_u64_e32 vcc_lo, 0xffffff, v[10:11]
	v_add_nc_u32_e32 v14, 7, v15
	v_cndmask_b32_e64 v15, 0, 1, vcc_lo
	v_cndmask_b32_e32 v14, v113, v14, vcc_lo
	s_delay_alu instid0(VALU_DEP_2)
	v_lshrrev_b64 v[10:11], v15, v[10:11]
; %bb.5555:                             ;   in Loop: Header=BB4_4032 Depth=2
	s_and_not1_saveexec_b32 s7, s7
; %bb.5556:                             ;   in Loop: Header=BB4_4032 Depth=2
	s_delay_alu instid0(VALU_DEP_1)
	v_bfe_u32 v14, v10, 23, 1
; %bb.5557:                             ;   in Loop: Header=BB4_4032 Depth=2
	s_or_b32 exec_lo, exec_lo, s7
	s_delay_alu instid0(VALU_DEP_2) | instskip(NEXT) | instid1(VALU_DEP_2)
	v_lshrrev_b64 v[10:11], 20, v[10:11]
	v_cmp_gt_i32_e32 vcc_lo, 16, v14
	v_min_i32_e32 v15, 15, v14
	v_cmp_eq_u32_e64 s7, 0, v14
	s_delay_alu instid0(VALU_DEP_4) | instskip(NEXT) | instid1(VALU_DEP_3)
	v_cndmask_b32_e32 v11, 0, v11, vcc_lo
	v_dual_cndmask_b32 v10, 7, v10 :: v_dual_lshlrev_b32 v15, 3, v15
	s_delay_alu instid0(VALU_DEP_1) | instskip(NEXT) | instid1(VALU_DEP_2)
	v_and_b32_e32 v15, 0xf8, v15
	v_cmp_eq_u64_e32 vcc_lo, 0, v[10:11]
	s_delay_alu instid0(VALU_DEP_2)
	v_and_or_b32 v10, v10, 7, v15
	s_and_b32 s7, s7, vcc_lo
	s_delay_alu instid0(VALU_DEP_1) | instid1(SALU_CYCLE_1)
	v_cndmask_b32_e64 v10, v10, 0, s7
	s_delay_alu instid0(VALU_DEP_1)
	v_or_b32_e32 v116, v10, v3
.LBB4_5558:                             ;   in Loop: Header=BB4_4032 Depth=2
	s_or_b32 exec_lo, exec_lo, s41
                                        ; implicit-def: $vgpr3
.LBB4_5559:                             ;   in Loop: Header=BB4_4032 Depth=2
	s_and_not1_saveexec_b32 s7, s40
; %bb.5560:                             ;   in Loop: Header=BB4_4032 Depth=2
	v_or_b32_e32 v116, 0x7e, v3
; %bb.5561:                             ;   in Loop: Header=BB4_4032 Depth=2
	s_or_b32 exec_lo, exec_lo, s7
                                        ; implicit-def: $vgpr3
.LBB4_5562:                             ;   in Loop: Header=BB4_4032 Depth=2
	s_and_not1_saveexec_b32 s7, s29
; %bb.5563:                             ;   in Loop: Header=BB4_4032 Depth=2
	v_or_b32_e32 v116, 0x7f, v3
; %bb.5564:                             ;   in Loop: Header=BB4_4032 Depth=2
	s_or_b32 exec_lo, exec_lo, s7
	v_lshrrev_b16 v10, 8, v2
	v_dual_mov_b32 v3, 0 :: v_dual_mov_b32 v14, 0
	s_mov_b32 s7, exec_lo
	s_delay_alu instid0(VALU_DEP_2)
	v_cmpx_ne_u16_e32 0, v10
	s_cbranch_execz .LBB4_5572
; %bb.5565:                             ;   in Loop: Header=BB4_4032 Depth=2
	v_bfrev_b32_e32 v14, 1
	s_mov_b32 s29, exec_lo
	v_cmpx_ne_u16_e32 0x80, v10
	s_cbranch_execz .LBB4_5571
; %bb.5566:                             ;   in Loop: Header=BB4_4032 Depth=2
	v_and_b32_e32 v10, 0xffff, v10
	v_mov_b32_e32 v14, 0x7f800001
	s_mov_b32 s40, exec_lo
	s_delay_alu instid0(VALU_DEP_2) | instskip(NEXT) | instid1(VALU_DEP_1)
	v_and_b32_e32 v15, 0x7f, v10
	v_cmpx_ne_u32_e32 0x7f, v15
	s_cbranch_execz .LBB4_5570
; %bb.5567:                             ;   in Loop: Header=BB4_4032 Depth=2
	v_dual_mov_b32 v11, v37 :: v_dual_bitop2_b32 v10, 7, v10 bitop3:0x40
	v_lshrrev_b32_e32 v14, 3, v15
	s_mov_b32 s41, exec_lo
	v_cmpx_gt_u32_e32 8, v15
; %bb.5568:                             ;   in Loop: Header=BB4_4032 Depth=2
	s_delay_alu instid0(VALU_DEP_3) | instskip(NEXT) | instid1(VALU_DEP_1)
	v_clz_i32_u32_e32 v14, v10
	v_min_u32_e32 v14, 32, v14
	s_delay_alu instid0(VALU_DEP_1) | instskip(SKIP_1) | instid1(VALU_DEP_2)
	v_subrev_nc_u32_e32 v15, 28, v14
	v_sub_nc_u32_e32 v14, 29, v14
	v_lshlrev_b64_e32 v[10:11], v15, v[10:11]
	s_delay_alu instid0(VALU_DEP_1)
	v_and_b32_e32 v10, 7, v10
; %bb.5569:                             ;   in Loop: Header=BB4_4032 Depth=2
	s_or_b32 exec_lo, exec_lo, s41
	v_lshlrev_b32_e32 v2, 16, v2
	s_delay_alu instid0(VALU_DEP_2) | instskip(SKIP_1) | instid1(VALU_DEP_3)
	v_lshlrev_b32_e32 v10, 20, v10
	v_lshl_add_u32 v11, v14, 23, 0x3c000000
	v_and_b32_e32 v2, 0x80000000, v2
	s_delay_alu instid0(VALU_DEP_1)
	v_or3_b32 v14, v10, v2, v11
.LBB4_5570:                             ;   in Loop: Header=BB4_4032 Depth=2
	s_or_b32 exec_lo, exec_lo, s40
.LBB4_5571:                             ;   in Loop: Header=BB4_4032 Depth=2
	s_delay_alu instid0(SALU_CYCLE_1)
	s_or_b32 exec_lo, exec_lo, s29
.LBB4_5572:                             ;   in Loop: Header=BB4_4032 Depth=2
	s_delay_alu instid0(SALU_CYCLE_1) | instskip(SKIP_2) | instid1(VALU_DEP_1)
	s_or_b32 exec_lo, exec_lo, s7
	v_lshrrev_b16 v2, 8, v12
	s_mov_b32 s7, exec_lo
	v_cmpx_ne_u16_e32 0, v2
	s_cbranch_execz .LBB4_5580
; %bb.5573:                             ;   in Loop: Header=BB4_4032 Depth=2
	v_bfrev_b32_e32 v3, 1
	s_mov_b32 s29, exec_lo
	v_cmpx_ne_u16_e32 0x80, v2
	s_cbranch_execz .LBB4_5579
; %bb.5574:                             ;   in Loop: Header=BB4_4032 Depth=2
	v_and_b32_e32 v2, 0xffff, v2
	v_mov_b32_e32 v3, 0x7f800001
	s_mov_b32 s40, exec_lo
	s_delay_alu instid0(VALU_DEP_2) | instskip(NEXT) | instid1(VALU_DEP_1)
	v_and_b32_e32 v15, 0x7f, v2
	v_cmpx_ne_u32_e32 0x7f, v15
	s_cbranch_execz .LBB4_5578
; %bb.5575:                             ;   in Loop: Header=BB4_4032 Depth=2
	v_dual_mov_b32 v11, v37 :: v_dual_bitop2_b32 v10, 7, v2 bitop3:0x40
	v_lshrrev_b32_e32 v2, 3, v15
	s_mov_b32 s41, exec_lo
	v_cmpx_gt_u32_e32 8, v15
; %bb.5576:                             ;   in Loop: Header=BB4_4032 Depth=2
	s_delay_alu instid0(VALU_DEP_3) | instskip(NEXT) | instid1(VALU_DEP_1)
	v_clz_i32_u32_e32 v2, v10
	v_min_u32_e32 v2, 32, v2
	s_delay_alu instid0(VALU_DEP_1) | instskip(SKIP_1) | instid1(VALU_DEP_2)
	v_subrev_nc_u32_e32 v3, 28, v2
	v_sub_nc_u32_e32 v2, 29, v2
	v_lshlrev_b64_e32 v[10:11], v3, v[10:11]
	s_delay_alu instid0(VALU_DEP_1)
	v_and_b32_e32 v10, 7, v10
; %bb.5577:                             ;   in Loop: Header=BB4_4032 Depth=2
	s_or_b32 exec_lo, exec_lo, s41
	s_delay_alu instid0(VALU_DEP_1) | instskip(SKIP_1) | instid1(VALU_DEP_2)
	v_dual_lshlrev_b32 v3, 16, v12 :: v_dual_lshlrev_b32 v10, 20, v10
	v_lshl_add_u32 v2, v2, 23, 0x3c000000
	v_and_b32_e32 v3, 0x80000000, v3
	s_delay_alu instid0(VALU_DEP_1)
	v_or3_b32 v3, v10, v3, v2
.LBB4_5578:                             ;   in Loop: Header=BB4_4032 Depth=2
	s_or_b32 exec_lo, exec_lo, s40
.LBB4_5579:                             ;   in Loop: Header=BB4_4032 Depth=2
	s_delay_alu instid0(SALU_CYCLE_1)
	s_or_b32 exec_lo, exec_lo, s29
.LBB4_5580:                             ;   in Loop: Header=BB4_4032 Depth=2
	s_delay_alu instid0(SALU_CYCLE_1) | instskip(NEXT) | instid1(VALU_DEP_1)
	s_or_b32 exec_lo, exec_lo, s7
	v_dual_add_f32 v3, v14, v3 :: v_dual_mov_b32 v11, v37
                                        ; implicit-def: $vgpr41
	s_mov_b32 s7, exec_lo
	s_delay_alu instid0(VALU_DEP_1) | instskip(SKIP_1) | instid1(VALU_DEP_2)
	v_and_b32_e32 v10, 0x7f800000, v3
	v_lshrrev_b32_e32 v2, 24, v3
	v_cmpx_ne_u64_e32 0x7f800000, v[10:11]
	s_xor_b32 s29, exec_lo, s7
	s_cbranch_execz .LBB4_5594
; %bb.5581:                             ;   in Loop: Header=BB4_4032 Depth=2
	v_and_b32_e32 v10, 0x7fffffff, v3
	v_mov_b32_e32 v11, v37
	v_and_b32_e32 v2, 0x80, v2
                                        ; implicit-def: $vgpr41
	s_mov_b32 s7, exec_lo
	s_delay_alu instid0(VALU_DEP_2)
	v_cmpx_gt_u64_e32 0x43e00001, v[10:11]
	s_xor_b32 s40, exec_lo, s7
	s_cbranch_execz .LBB4_5591
; %bb.5582:                             ;   in Loop: Header=BB4_4032 Depth=2
	v_mov_b32_e32 v41, 0
	s_mov_b32 s41, exec_lo
	v_cmpx_ne_u32_e32 0, v3
	s_cbranch_execz .LBB4_5590
; %bb.5583:                             ;   in Loop: Header=BB4_4032 Depth=2
	v_bfe_u32 v113, v3, 23, 8
	v_and_b32_e32 v3, 0x7fffff, v3
	s_mov_b32 s42, exec_lo
	s_delay_alu instid0(VALU_DEP_2) | instskip(SKIP_1) | instid1(VALU_DEP_3)
	v_dual_mov_b32 v15, v37 :: v_dual_sub_nc_u32 v10, 0x79, v113
	v_cmp_gt_u32_e32 vcc_lo, 0x7a, v113
	v_or_b32_e32 v14, 0x800000, v3
	s_delay_alu instid0(VALU_DEP_3) | instskip(SKIP_1) | instid1(VALU_DEP_2)
	v_cndmask_b32_e32 v10, 0, v10, vcc_lo
	v_cmp_eq_u32_e32 vcc_lo, 0, v113
	v_cndmask_b32_e64 v41, v10, 0x78, vcc_lo
	s_delay_alu instid0(VALU_DEP_1) | instskip(SKIP_1) | instid1(VALU_DEP_2)
	v_dual_cndmask_b32 v14, v14, v3, vcc_lo :: v_dual_add_nc_u32 v10, 20, v41
	v_add_nc_u32_e32 v20, 19, v41
	v_lshlrev_b64_e64 v[10:11], v10, -1
	s_delay_alu instid0(VALU_DEP_2) | instskip(NEXT) | instid1(VALU_DEP_2)
	v_lshlrev_b64_e64 v[20:21], v20, 1
	v_bfi_b32 v89, v11, 0, 0
	s_delay_alu instid0(VALU_DEP_3) | instskip(SKIP_1) | instid1(VALU_DEP_1)
	v_bfi_b32 v88, v10, 0, v14
	v_lshrrev_b64 v[10:11], v41, v[14:15]
	v_mov_b64_e32 v[14:15], v[10:11]
	s_delay_alu instid0(VALU_DEP_3)
	v_cmpx_eq_u64_e64 v[88:89], v[20:21]
; %bb.5584:                             ;   in Loop: Header=BB4_4032 Depth=2
	v_bfe_u32 v14, v10, 20, 1
	v_mov_b32_e32 v15, v37
	s_delay_alu instid0(VALU_DEP_1) | instskip(NEXT) | instid1(VALU_DEP_1)
	v_add_nc_u64_e32 v[14:15], v[10:11], v[14:15]
	v_add_nc_u64_e32 v[14:15], -1, v[14:15]
; %bb.5585:                             ;   in Loop: Header=BB4_4032 Depth=2
	s_or_b32 exec_lo, exec_lo, s42
	v_add_nc_u32_e32 v3, 0xffffff81, v113
	v_lshrrev_b32_e32 v11, 23, v10
	s_mov_b32 s7, exec_lo
	s_delay_alu instid0(VALU_DEP_2) | instskip(NEXT) | instid1(VALU_DEP_1)
	v_cndmask_b32_e64 v3, v3, 0xffffff82, vcc_lo
	v_add3_u32 v15, v41, v3, v11
	v_and_b32_e32 v3, 0xfffff, v14
	s_delay_alu instid0(VALU_DEP_2) | instskip(NEXT) | instid1(VALU_DEP_2)
	v_dual_mov_b32 v11, v37 :: v_dual_add_nc_u32 v14, 6, v15
	v_add_nc_u32_e32 v10, v3, v10
                                        ; implicit-def: $vgpr3
	s_delay_alu instid0(VALU_DEP_2)
	v_cmpx_ne_u32_e32 0, v14
	s_xor_b32 s7, exec_lo, s7
; %bb.5586:                             ;   in Loop: Header=BB4_4032 Depth=2
	s_delay_alu instid0(VALU_DEP_2) | instskip(SKIP_1) | instid1(VALU_DEP_1)
	v_cmp_lt_u64_e32 vcc_lo, 0xffffff, v[10:11]
	v_add_nc_u32_e32 v3, 7, v15
	v_cndmask_b32_e32 v3, v14, v3, vcc_lo
	v_cndmask_b32_e64 v14, 0, 1, vcc_lo
	s_delay_alu instid0(VALU_DEP_1)
	v_lshrrev_b64 v[10:11], v14, v[10:11]
; %bb.5587:                             ;   in Loop: Header=BB4_4032 Depth=2
	s_and_not1_saveexec_b32 s7, s7
; %bb.5588:                             ;   in Loop: Header=BB4_4032 Depth=2
	s_delay_alu instid0(VALU_DEP_1)
	v_bfe_u32 v3, v10, 23, 1
; %bb.5589:                             ;   in Loop: Header=BB4_4032 Depth=2
	s_or_b32 exec_lo, exec_lo, s7
	s_delay_alu instid0(VALU_DEP_2) | instskip(NEXT) | instid1(VALU_DEP_2)
	v_lshrrev_b64 v[10:11], 20, v[10:11]
	v_cmp_gt_i32_e32 vcc_lo, 16, v3
	v_min_i32_e32 v14, 15, v3
	v_cmp_eq_u32_e64 s7, 0, v3
	s_delay_alu instid0(VALU_DEP_4) | instskip(NEXT) | instid1(VALU_DEP_3)
	v_cndmask_b32_e32 v10, 7, v10, vcc_lo
	v_dual_cndmask_b32 v11, 0, v11 :: v_dual_lshlrev_b32 v14, 3, v14
	s_delay_alu instid0(VALU_DEP_1) | instskip(NEXT) | instid1(VALU_DEP_2)
	v_and_b32_e32 v14, 0xf8, v14
	v_cmp_eq_u64_e32 vcc_lo, 0, v[10:11]
	s_delay_alu instid0(VALU_DEP_2)
	v_and_or_b32 v3, v10, 7, v14
	s_and_b32 s7, s7, vcc_lo
	s_delay_alu instid0(VALU_DEP_1) | instid1(SALU_CYCLE_1)
	v_cndmask_b32_e64 v3, v3, 0, s7
	s_delay_alu instid0(VALU_DEP_1)
	v_or_b32_e32 v41, v3, v2
.LBB4_5590:                             ;   in Loop: Header=BB4_4032 Depth=2
	s_or_b32 exec_lo, exec_lo, s41
                                        ; implicit-def: $vgpr2
.LBB4_5591:                             ;   in Loop: Header=BB4_4032 Depth=2
	s_and_not1_saveexec_b32 s7, s40
; %bb.5592:                             ;   in Loop: Header=BB4_4032 Depth=2
	v_or_b32_e32 v41, 0x7e, v2
; %bb.5593:                             ;   in Loop: Header=BB4_4032 Depth=2
	s_or_b32 exec_lo, exec_lo, s7
                                        ; implicit-def: $vgpr2
.LBB4_5594:                             ;   in Loop: Header=BB4_4032 Depth=2
	s_and_not1_saveexec_b32 s7, s29
; %bb.5595:                             ;   in Loop: Header=BB4_4032 Depth=2
	v_or_b32_e32 v41, 0x7f, v2
; %bb.5596:                             ;   in Loop: Header=BB4_4032 Depth=2
	s_or_b32 exec_lo, exec_lo, s7
	v_dual_lshrrev_b32 v14, 16, v36 :: v_dual_mov_b32 v2, 0
	v_mov_b32_e32 v3, 0
	s_mov_b32 s7, exec_lo
	s_delay_alu instid0(VALU_DEP_2) | instskip(NEXT) | instid1(VALU_DEP_1)
	v_and_b32_e32 v10, 0xff, v14
	v_cmpx_ne_u16_e32 0, v10
	s_cbranch_execz .LBB4_5604
; %bb.5597:                             ;   in Loop: Header=BB4_4032 Depth=2
	v_bfrev_b32_e32 v3, 1
	s_mov_b32 s29, exec_lo
	v_cmpx_ne_u16_e32 0x80, v10
	s_cbranch_execz .LBB4_5603
; %bb.5598:                             ;   in Loop: Header=BB4_4032 Depth=2
	v_bfe_u32 v15, v36, 16, 7
	v_mov_b32_e32 v3, 0x7f800001
	s_mov_b32 s40, exec_lo
	s_delay_alu instid0(VALU_DEP_2)
	v_cmpx_ne_u32_e32 0x7f, v15
	s_cbranch_execz .LBB4_5602
; %bb.5599:                             ;   in Loop: Header=BB4_4032 Depth=2
	v_dual_mov_b32 v11, v37 :: v_dual_bitop2_b32 v10, 7, v14 bitop3:0x40
	v_lshrrev_b32_e32 v3, 3, v15
	s_mov_b32 s41, exec_lo
	v_cmpx_gt_u32_e32 8, v15
; %bb.5600:                             ;   in Loop: Header=BB4_4032 Depth=2
	s_delay_alu instid0(VALU_DEP_3) | instskip(NEXT) | instid1(VALU_DEP_1)
	v_clz_i32_u32_e32 v3, v10
	v_min_u32_e32 v3, 32, v3
	s_delay_alu instid0(VALU_DEP_1) | instskip(NEXT) | instid1(VALU_DEP_1)
	v_subrev_nc_u32_e32 v15, 28, v3
	v_lshlrev_b64_e32 v[10:11], v15, v[10:11]
	s_delay_alu instid0(VALU_DEP_1)
	v_dual_sub_nc_u32 v3, 29, v3 :: v_dual_bitop2_b32 v10, 7, v10 bitop3:0x40
; %bb.5601:                             ;   in Loop: Header=BB4_4032 Depth=2
	s_or_b32 exec_lo, exec_lo, s41
	v_lshlrev_b32_e32 v11, 24, v14
	s_delay_alu instid0(VALU_DEP_2) | instskip(NEXT) | instid1(VALU_DEP_3)
	v_lshlrev_b32_e32 v10, 20, v10
	v_lshl_add_u32 v3, v3, 23, 0x3c000000
	s_delay_alu instid0(VALU_DEP_3) | instskip(NEXT) | instid1(VALU_DEP_1)
	v_and_b32_e32 v11, 0x80000000, v11
	v_or3_b32 v3, v10, v11, v3
.LBB4_5602:                             ;   in Loop: Header=BB4_4032 Depth=2
	s_or_b32 exec_lo, exec_lo, s40
.LBB4_5603:                             ;   in Loop: Header=BB4_4032 Depth=2
	s_delay_alu instid0(SALU_CYCLE_1)
	s_or_b32 exec_lo, exec_lo, s29
.LBB4_5604:                             ;   in Loop: Header=BB4_4032 Depth=2
	s_delay_alu instid0(SALU_CYCLE_1) | instskip(SKIP_2) | instid1(VALU_DEP_1)
	s_or_b32 exec_lo, exec_lo, s7
	v_lshrrev_b32_e32 v10, 16, v12
	s_mov_b32 s7, exec_lo
	v_and_b32_e32 v11, 0xff, v10
	s_delay_alu instid0(VALU_DEP_1)
	v_cmpx_ne_u16_e32 0, v11
	s_cbranch_execz .LBB4_5612
; %bb.5605:                             ;   in Loop: Header=BB4_4032 Depth=2
	v_bfrev_b32_e32 v2, 1
	s_mov_b32 s29, exec_lo
	v_cmpx_ne_u16_e32 0x80, v11
	s_cbranch_execz .LBB4_5611
; %bb.5606:                             ;   in Loop: Header=BB4_4032 Depth=2
	v_bfe_u32 v14, v12, 16, 7
	v_mov_b32_e32 v2, 0x7f800001
	s_mov_b32 s40, exec_lo
	s_delay_alu instid0(VALU_DEP_2)
	v_cmpx_ne_u32_e32 0x7f, v14
	s_cbranch_execz .LBB4_5610
; %bb.5607:                             ;   in Loop: Header=BB4_4032 Depth=2
	v_dual_mov_b32 v11, v37 :: v_dual_bitop2_b32 v10, 7, v10 bitop3:0x40
	v_lshrrev_b32_e32 v2, 3, v14
	s_mov_b32 s41, exec_lo
	v_cmpx_gt_u32_e32 8, v14
; %bb.5608:                             ;   in Loop: Header=BB4_4032 Depth=2
	s_delay_alu instid0(VALU_DEP_3) | instskip(NEXT) | instid1(VALU_DEP_1)
	v_clz_i32_u32_e32 v2, v10
	v_min_u32_e32 v2, 32, v2
	s_delay_alu instid0(VALU_DEP_1) | instskip(SKIP_1) | instid1(VALU_DEP_2)
	v_subrev_nc_u32_e32 v14, 28, v2
	v_sub_nc_u32_e32 v2, 29, v2
	v_lshlrev_b64_e32 v[10:11], v14, v[10:11]
	s_delay_alu instid0(VALU_DEP_1)
	v_and_b32_e32 v10, 7, v10
; %bb.5609:                             ;   in Loop: Header=BB4_4032 Depth=2
	s_or_b32 exec_lo, exec_lo, s41
	s_delay_alu instid0(VALU_DEP_1) | instskip(SKIP_1) | instid1(VALU_DEP_2)
	v_dual_lshlrev_b32 v11, 8, v12 :: v_dual_lshlrev_b32 v10, 20, v10
	v_lshl_add_u32 v2, v2, 23, 0x3c000000
	v_and_b32_e32 v11, 0x80000000, v11
	s_delay_alu instid0(VALU_DEP_1)
	v_or3_b32 v2, v10, v11, v2
.LBB4_5610:                             ;   in Loop: Header=BB4_4032 Depth=2
	s_or_b32 exec_lo, exec_lo, s40
.LBB4_5611:                             ;   in Loop: Header=BB4_4032 Depth=2
	s_delay_alu instid0(SALU_CYCLE_1)
	s_or_b32 exec_lo, exec_lo, s29
.LBB4_5612:                             ;   in Loop: Header=BB4_4032 Depth=2
	s_delay_alu instid0(SALU_CYCLE_1) | instskip(NEXT) | instid1(VALU_DEP_1)
	s_or_b32 exec_lo, exec_lo, s7
	v_dual_add_f32 v3, v3, v2 :: v_dual_mov_b32 v11, v37
                                        ; implicit-def: $vgpr44
	s_mov_b32 s7, exec_lo
	s_delay_alu instid0(VALU_DEP_1) | instskip(SKIP_1) | instid1(VALU_DEP_2)
	v_and_b32_e32 v10, 0x7f800000, v3
	v_lshrrev_b32_e32 v2, 24, v3
	v_cmpx_ne_u64_e32 0x7f800000, v[10:11]
	s_xor_b32 s29, exec_lo, s7
	s_cbranch_execz .LBB4_5626
; %bb.5613:                             ;   in Loop: Header=BB4_4032 Depth=2
	v_and_b32_e32 v10, 0x7fffffff, v3
	v_mov_b32_e32 v11, v37
	v_and_b32_e32 v2, 0x80, v2
                                        ; implicit-def: $vgpr44
	s_mov_b32 s7, exec_lo
	s_delay_alu instid0(VALU_DEP_2)
	v_cmpx_gt_u64_e32 0x43e00001, v[10:11]
	s_xor_b32 s40, exec_lo, s7
	s_cbranch_execz .LBB4_5623
; %bb.5614:                             ;   in Loop: Header=BB4_4032 Depth=2
	v_mov_b32_e32 v44, 0
	s_mov_b32 s41, exec_lo
	v_cmpx_ne_u32_e32 0, v3
	s_cbranch_execz .LBB4_5622
; %bb.5615:                             ;   in Loop: Header=BB4_4032 Depth=2
	v_bfe_u32 v113, v3, 23, 8
	v_and_b32_e32 v3, 0x7fffff, v3
	s_mov_b32 s42, exec_lo
	s_delay_alu instid0(VALU_DEP_2) | instskip(SKIP_1) | instid1(VALU_DEP_3)
	v_dual_mov_b32 v15, v37 :: v_dual_sub_nc_u32 v10, 0x79, v113
	v_cmp_gt_u32_e32 vcc_lo, 0x7a, v113
	v_or_b32_e32 v14, 0x800000, v3
	s_delay_alu instid0(VALU_DEP_3) | instskip(SKIP_1) | instid1(VALU_DEP_2)
	v_cndmask_b32_e32 v10, 0, v10, vcc_lo
	v_cmp_eq_u32_e32 vcc_lo, 0, v113
	v_cndmask_b32_e64 v44, v10, 0x78, vcc_lo
	s_delay_alu instid0(VALU_DEP_1) | instskip(SKIP_1) | instid1(VALU_DEP_2)
	v_dual_cndmask_b32 v14, v14, v3, vcc_lo :: v_dual_add_nc_u32 v10, 20, v44
	v_add_nc_u32_e32 v20, 19, v44
	v_lshlrev_b64_e64 v[10:11], v10, -1
	s_delay_alu instid0(VALU_DEP_2) | instskip(NEXT) | instid1(VALU_DEP_2)
	v_lshlrev_b64_e64 v[20:21], v20, 1
	v_bfi_b32 v89, v11, 0, 0
	s_delay_alu instid0(VALU_DEP_3) | instskip(SKIP_1) | instid1(VALU_DEP_1)
	v_bfi_b32 v88, v10, 0, v14
	v_lshrrev_b64 v[10:11], v44, v[14:15]
	v_mov_b64_e32 v[14:15], v[10:11]
	s_delay_alu instid0(VALU_DEP_3)
	v_cmpx_eq_u64_e64 v[88:89], v[20:21]
; %bb.5616:                             ;   in Loop: Header=BB4_4032 Depth=2
	v_bfe_u32 v14, v10, 20, 1
	v_mov_b32_e32 v15, v37
	s_delay_alu instid0(VALU_DEP_1) | instskip(NEXT) | instid1(VALU_DEP_1)
	v_add_nc_u64_e32 v[14:15], v[10:11], v[14:15]
	v_add_nc_u64_e32 v[14:15], -1, v[14:15]
; %bb.5617:                             ;   in Loop: Header=BB4_4032 Depth=2
	s_or_b32 exec_lo, exec_lo, s42
	v_add_nc_u32_e32 v3, 0xffffff81, v113
	v_lshrrev_b32_e32 v11, 23, v10
	s_mov_b32 s7, exec_lo
	s_delay_alu instid0(VALU_DEP_2) | instskip(NEXT) | instid1(VALU_DEP_1)
	v_cndmask_b32_e64 v3, v3, 0xffffff82, vcc_lo
	v_add3_u32 v15, v44, v3, v11
	v_and_b32_e32 v3, 0xfffff, v14
	s_delay_alu instid0(VALU_DEP_2) | instskip(NEXT) | instid1(VALU_DEP_2)
	v_dual_mov_b32 v11, v37 :: v_dual_add_nc_u32 v14, 6, v15
	v_add_nc_u32_e32 v10, v3, v10
                                        ; implicit-def: $vgpr3
	s_delay_alu instid0(VALU_DEP_2)
	v_cmpx_ne_u32_e32 0, v14
	s_xor_b32 s7, exec_lo, s7
; %bb.5618:                             ;   in Loop: Header=BB4_4032 Depth=2
	s_delay_alu instid0(VALU_DEP_2) | instskip(SKIP_1) | instid1(VALU_DEP_1)
	v_cmp_lt_u64_e32 vcc_lo, 0xffffff, v[10:11]
	v_add_nc_u32_e32 v3, 7, v15
	v_cndmask_b32_e32 v3, v14, v3, vcc_lo
	v_cndmask_b32_e64 v14, 0, 1, vcc_lo
	s_delay_alu instid0(VALU_DEP_1)
	v_lshrrev_b64 v[10:11], v14, v[10:11]
; %bb.5619:                             ;   in Loop: Header=BB4_4032 Depth=2
	s_and_not1_saveexec_b32 s7, s7
; %bb.5620:                             ;   in Loop: Header=BB4_4032 Depth=2
	s_delay_alu instid0(VALU_DEP_1)
	v_bfe_u32 v3, v10, 23, 1
; %bb.5621:                             ;   in Loop: Header=BB4_4032 Depth=2
	s_or_b32 exec_lo, exec_lo, s7
	s_delay_alu instid0(VALU_DEP_2) | instskip(NEXT) | instid1(VALU_DEP_2)
	v_lshrrev_b64 v[10:11], 20, v[10:11]
	v_cmp_gt_i32_e32 vcc_lo, 16, v3
	v_min_i32_e32 v14, 15, v3
	v_cmp_eq_u32_e64 s7, 0, v3
	s_delay_alu instid0(VALU_DEP_4) | instskip(NEXT) | instid1(VALU_DEP_3)
	v_cndmask_b32_e32 v10, 7, v10, vcc_lo
	v_dual_cndmask_b32 v11, 0, v11 :: v_dual_lshlrev_b32 v14, 3, v14
	s_delay_alu instid0(VALU_DEP_1) | instskip(NEXT) | instid1(VALU_DEP_2)
	v_and_b32_e32 v14, 0xf8, v14
	v_cmp_eq_u64_e32 vcc_lo, 0, v[10:11]
	s_delay_alu instid0(VALU_DEP_2)
	v_and_or_b32 v3, v10, 7, v14
	s_and_b32 s7, s7, vcc_lo
	s_delay_alu instid0(VALU_DEP_1) | instid1(SALU_CYCLE_1)
	v_cndmask_b32_e64 v3, v3, 0, s7
	s_delay_alu instid0(VALU_DEP_1)
	v_or_b32_e32 v44, v3, v2
.LBB4_5622:                             ;   in Loop: Header=BB4_4032 Depth=2
	s_or_b32 exec_lo, exec_lo, s41
                                        ; implicit-def: $vgpr2
.LBB4_5623:                             ;   in Loop: Header=BB4_4032 Depth=2
	s_and_not1_saveexec_b32 s7, s40
; %bb.5624:                             ;   in Loop: Header=BB4_4032 Depth=2
	v_or_b32_e32 v44, 0x7e, v2
; %bb.5625:                             ;   in Loop: Header=BB4_4032 Depth=2
	s_or_b32 exec_lo, exec_lo, s7
                                        ; implicit-def: $vgpr2
.LBB4_5626:                             ;   in Loop: Header=BB4_4032 Depth=2
	s_and_not1_saveexec_b32 s7, s29
; %bb.5627:                             ;   in Loop: Header=BB4_4032 Depth=2
	v_or_b32_e32 v44, 0x7f, v2
; %bb.5628:                             ;   in Loop: Header=BB4_4032 Depth=2
	s_or_b32 exec_lo, exec_lo, s7
	v_dual_mov_b32 v2, 0 :: v_dual_mov_b32 v3, 0
	s_mov_b32 s7, exec_lo
	v_cmpx_lt_u32_e32 0xffffff, v36
	s_cbranch_execz .LBB4_5636
; %bb.5629:                             ;   in Loop: Header=BB4_4032 Depth=2
	v_lshrrev_b32_e32 v10, 24, v36
	v_bfrev_b32_e32 v3, 1
	s_mov_b32 s29, exec_lo
	s_delay_alu instid0(VALU_DEP_2)
	v_cmpx_ne_u32_e32 0x80, v10
	s_cbranch_execz .LBB4_5635
; %bb.5630:                             ;   in Loop: Header=BB4_4032 Depth=2
	v_bfe_u32 v11, v36, 24, 7
	v_mov_b32_e32 v3, 0x7f800001
	s_mov_b32 s40, exec_lo
	s_delay_alu instid0(VALU_DEP_2)
	v_cmpx_ne_u32_e32 0x7f, v11
	s_cbranch_execz .LBB4_5634
; %bb.5631:                             ;   in Loop: Header=BB4_4032 Depth=2
	v_dual_lshrrev_b32 v3, 3, v11 :: v_dual_bitop2_b32 v36, 7, v10 bitop3:0x40
	s_mov_b32 s41, exec_lo
	v_cmpx_gt_u32_e32 8, v11
; %bb.5632:                             ;   in Loop: Header=BB4_4032 Depth=2
	s_delay_alu instid0(VALU_DEP_2) | instskip(NEXT) | instid1(VALU_DEP_1)
	v_clz_i32_u32_e32 v3, v36
	v_min_u32_e32 v3, 32, v3
	s_delay_alu instid0(VALU_DEP_1) | instskip(NEXT) | instid1(VALU_DEP_1)
	v_subrev_nc_u32_e32 v11, 28, v3
	v_lshlrev_b64_e32 v[14:15], v11, v[36:37]
	s_delay_alu instid0(VALU_DEP_1)
	v_dual_sub_nc_u32 v3, 29, v3 :: v_dual_bitop2_b32 v36, 7, v14 bitop3:0x40
; %bb.5633:                             ;   in Loop: Header=BB4_4032 Depth=2
	s_or_b32 exec_lo, exec_lo, s41
	s_delay_alu instid0(VALU_DEP_1) | instskip(NEXT) | instid1(VALU_DEP_2)
	v_dual_lshlrev_b32 v10, 24, v10 :: v_dual_lshlrev_b32 v11, 20, v36
	v_lshl_add_u32 v3, v3, 23, 0x3c000000
	s_delay_alu instid0(VALU_DEP_2) | instskip(NEXT) | instid1(VALU_DEP_1)
	v_and_b32_e32 v10, 0x80000000, v10
	v_or3_b32 v3, v11, v10, v3
.LBB4_5634:                             ;   in Loop: Header=BB4_4032 Depth=2
	s_or_b32 exec_lo, exec_lo, s40
.LBB4_5635:                             ;   in Loop: Header=BB4_4032 Depth=2
	s_delay_alu instid0(SALU_CYCLE_1)
	s_or_b32 exec_lo, exec_lo, s29
.LBB4_5636:                             ;   in Loop: Header=BB4_4032 Depth=2
	s_delay_alu instid0(SALU_CYCLE_1) | instskip(NEXT) | instid1(SALU_CYCLE_1)
	s_or_b32 exec_lo, exec_lo, s7
	s_mov_b32 s7, exec_lo
	v_cmpx_lt_u32_e32 0xffffff, v12
	s_cbranch_execz .LBB4_5644
; %bb.5637:                             ;   in Loop: Header=BB4_4032 Depth=2
	v_lshrrev_b32_e32 v10, 24, v12
	v_bfrev_b32_e32 v2, 1
	s_mov_b32 s29, exec_lo
	s_delay_alu instid0(VALU_DEP_2)
	v_cmpx_ne_u32_e32 0x80, v10
	s_cbranch_execz .LBB4_5643
; %bb.5638:                             ;   in Loop: Header=BB4_4032 Depth=2
	v_bfe_u32 v11, v12, 24, 7
	v_mov_b32_e32 v2, 0x7f800001
	s_mov_b32 s40, exec_lo
	s_delay_alu instid0(VALU_DEP_2)
	v_cmpx_ne_u32_e32 0x7f, v11
	s_cbranch_execz .LBB4_5642
; %bb.5639:                             ;   in Loop: Header=BB4_4032 Depth=2
	v_dual_lshrrev_b32 v2, 3, v11 :: v_dual_bitop2_b32 v36, 7, v10 bitop3:0x40
	s_mov_b32 s41, exec_lo
	v_cmpx_gt_u32_e32 8, v11
; %bb.5640:                             ;   in Loop: Header=BB4_4032 Depth=2
	s_delay_alu instid0(VALU_DEP_2) | instskip(NEXT) | instid1(VALU_DEP_1)
	v_clz_i32_u32_e32 v2, v36
	v_min_u32_e32 v2, 32, v2
	s_delay_alu instid0(VALU_DEP_1) | instskip(SKIP_1) | instid1(VALU_DEP_2)
	v_subrev_nc_u32_e32 v11, 28, v2
	v_sub_nc_u32_e32 v2, 29, v2
	v_lshlrev_b64_e32 v[14:15], v11, v[36:37]
	s_delay_alu instid0(VALU_DEP_1)
	v_and_b32_e32 v36, 7, v14
; %bb.5641:                             ;   in Loop: Header=BB4_4032 Depth=2
	s_or_b32 exec_lo, exec_lo, s41
	s_delay_alu instid0(VALU_DEP_1) | instskip(SKIP_1) | instid1(VALU_DEP_2)
	v_dual_lshlrev_b32 v10, 24, v10 :: v_dual_lshlrev_b32 v11, 20, v36
	v_lshl_add_u32 v2, v2, 23, 0x3c000000
	v_and_b32_e32 v10, 0x80000000, v10
	s_delay_alu instid0(VALU_DEP_1)
	v_or3_b32 v2, v11, v10, v2
.LBB4_5642:                             ;   in Loop: Header=BB4_4032 Depth=2
	s_or_b32 exec_lo, exec_lo, s40
.LBB4_5643:                             ;   in Loop: Header=BB4_4032 Depth=2
	s_delay_alu instid0(SALU_CYCLE_1)
	s_or_b32 exec_lo, exec_lo, s29
.LBB4_5644:                             ;   in Loop: Header=BB4_4032 Depth=2
	s_delay_alu instid0(SALU_CYCLE_1) | instskip(NEXT) | instid1(VALU_DEP_1)
	s_or_b32 exec_lo, exec_lo, s7
	v_add_f32_e32 v3, v3, v2
                                        ; implicit-def: $vgpr47
	s_mov_b32 s7, exec_lo
	s_delay_alu instid0(VALU_DEP_1) | instskip(SKIP_1) | instid1(VALU_DEP_2)
	v_and_b32_e32 v36, 0x7f800000, v3
	v_lshrrev_b32_e32 v2, 24, v3
	v_cmpx_ne_u64_e32 0x7f800000, v[36:37]
	s_xor_b32 s29, exec_lo, s7
	s_cbranch_execz .LBB4_5658
; %bb.5645:                             ;   in Loop: Header=BB4_4032 Depth=2
	v_and_b32_e32 v36, 0x7fffffff, v3
	v_and_b32_e32 v2, 0x80, v2
                                        ; implicit-def: $vgpr47
	s_mov_b32 s7, exec_lo
	s_delay_alu instid0(VALU_DEP_2)
	v_cmpx_gt_u64_e32 0x43e00001, v[36:37]
	s_xor_b32 s40, exec_lo, s7
	s_cbranch_execz .LBB4_5655
; %bb.5646:                             ;   in Loop: Header=BB4_4032 Depth=2
	v_mov_b32_e32 v47, 0
	s_mov_b32 s41, exec_lo
	v_cmpx_ne_u32_e32 0, v3
	s_cbranch_execz .LBB4_5654
; %bb.5647:                             ;   in Loop: Header=BB4_4032 Depth=2
	v_bfe_u32 v113, v3, 23, 8
	v_and_b32_e32 v3, 0x7fffff, v3
	s_delay_alu instid0(VALU_DEP_2) | instskip(SKIP_1) | instid1(VALU_DEP_3)
	v_sub_nc_u32_e32 v10, 0x79, v113
	v_cmp_gt_u32_e32 vcc_lo, 0x7a, v113
	v_or_b32_e32 v14, 0x800000, v3
	s_delay_alu instid0(VALU_DEP_3) | instskip(SKIP_1) | instid1(VALU_DEP_2)
	v_cndmask_b32_e32 v10, 0, v10, vcc_lo
	v_cmp_eq_u32_e32 vcc_lo, 0, v113
	v_cndmask_b32_e64 v47, v10, 0x78, vcc_lo
	s_delay_alu instid0(VALU_DEP_4) | instskip(NEXT) | instid1(VALU_DEP_2)
	v_cndmask_b32_e32 v36, v14, v3, vcc_lo
	v_dual_add_nc_u32 v10, 20, v47 :: v_dual_add_nc_u32 v15, 19, v47
	s_delay_alu instid0(VALU_DEP_1) | instskip(NEXT) | instid1(VALU_DEP_2)
	v_lshlrev_b64_e64 v[10:11], v10, -1
	v_lshlrev_b64_e64 v[14:15], v15, 1
	s_delay_alu instid0(VALU_DEP_2) | instskip(NEXT) | instid1(VALU_DEP_3)
	v_bfi_b32 v21, v11, 0, 0
	v_bfi_b32 v20, v10, 0, v36
	v_lshrrev_b64 v[10:11], v47, v[36:37]
	s_delay_alu instid0(VALU_DEP_2) | instskip(NEXT) | instid1(VALU_DEP_2)
	v_cmp_eq_u64_e64 s7, v[20:21], v[14:15]
	v_mov_b64_e32 v[14:15], v[10:11]
	s_and_saveexec_b32 s42, s7
; %bb.5648:                             ;   in Loop: Header=BB4_4032 Depth=2
	v_bfe_u32 v36, v10, 20, 1
	s_delay_alu instid0(VALU_DEP_1) | instskip(NEXT) | instid1(VALU_DEP_1)
	v_add_nc_u64_e32 v[14:15], v[10:11], v[36:37]
	v_add_nc_u64_e32 v[14:15], -1, v[14:15]
; %bb.5649:                             ;   in Loop: Header=BB4_4032 Depth=2
	s_or_b32 exec_lo, exec_lo, s42
	v_add_nc_u32_e32 v3, 0xffffff81, v113
	v_lshrrev_b32_e32 v11, 23, v10
	s_mov_b32 s7, exec_lo
	s_delay_alu instid0(VALU_DEP_2) | instskip(NEXT) | instid1(VALU_DEP_1)
	v_cndmask_b32_e64 v3, v3, 0xffffff82, vcc_lo
	v_add3_u32 v15, v47, v3, v11
	v_and_b32_e32 v3, 0xfffff, v14
	s_delay_alu instid0(VALU_DEP_1) | instskip(NEXT) | instid1(VALU_DEP_1)
	v_dual_add_nc_u32 v14, 6, v15 :: v_dual_add_nc_u32 v36, v3, v10
                                        ; implicit-def: $vgpr10_vgpr11
                                        ; implicit-def: $vgpr3
	v_cmpx_ne_u32_e32 0, v14
	s_xor_b32 s7, exec_lo, s7
; %bb.5650:                             ;   in Loop: Header=BB4_4032 Depth=2
	s_delay_alu instid0(VALU_DEP_2) | instskip(SKIP_2) | instid1(VALU_DEP_2)
	v_cmp_lt_u64_e32 vcc_lo, 0xffffff, v[36:37]
	v_add_nc_u32_e32 v3, 7, v15
	v_cndmask_b32_e64 v10, 0, 1, vcc_lo
	v_cndmask_b32_e32 v3, v14, v3, vcc_lo
	s_delay_alu instid0(VALU_DEP_2)
	v_lshrrev_b64 v[10:11], v10, v[36:37]
; %bb.5651:                             ;   in Loop: Header=BB4_4032 Depth=2
	s_and_not1_saveexec_b32 s7, s7
; %bb.5652:                             ;   in Loop: Header=BB4_4032 Depth=2
	v_mov_b64_e32 v[10:11], v[36:37]
	v_bfe_u32 v3, v36, 23, 1
; %bb.5653:                             ;   in Loop: Header=BB4_4032 Depth=2
	s_or_b32 exec_lo, exec_lo, s7
	s_delay_alu instid0(VALU_DEP_2) | instskip(NEXT) | instid1(VALU_DEP_2)
	v_lshrrev_b64 v[10:11], 20, v[10:11]
	v_cmp_gt_i32_e32 vcc_lo, 16, v3
	v_min_i32_e32 v14, 15, v3
	v_cmp_eq_u32_e64 s7, 0, v3
	s_delay_alu instid0(VALU_DEP_4) | instskip(NEXT) | instid1(VALU_DEP_3)
	v_cndmask_b32_e32 v10, 7, v10, vcc_lo
	v_dual_cndmask_b32 v11, 0, v11 :: v_dual_lshlrev_b32 v14, 3, v14
	s_delay_alu instid0(VALU_DEP_1) | instskip(NEXT) | instid1(VALU_DEP_2)
	v_and_b32_e32 v14, 0xf8, v14
	v_cmp_eq_u64_e32 vcc_lo, 0, v[10:11]
	s_delay_alu instid0(VALU_DEP_2)
	v_and_or_b32 v3, v10, 7, v14
	s_and_b32 s7, s7, vcc_lo
	s_delay_alu instid0(VALU_DEP_1) | instid1(SALU_CYCLE_1)
	v_cndmask_b32_e64 v3, v3, 0, s7
	s_delay_alu instid0(VALU_DEP_1)
	v_or_b32_e32 v47, v3, v2
.LBB4_5654:                             ;   in Loop: Header=BB4_4032 Depth=2
	s_or_b32 exec_lo, exec_lo, s41
                                        ; implicit-def: $vgpr2
.LBB4_5655:                             ;   in Loop: Header=BB4_4032 Depth=2
	s_and_not1_saveexec_b32 s7, s40
; %bb.5656:                             ;   in Loop: Header=BB4_4032 Depth=2
	v_or_b32_e32 v47, 0x7e, v2
; %bb.5657:                             ;   in Loop: Header=BB4_4032 Depth=2
	s_or_b32 exec_lo, exec_lo, s7
                                        ; implicit-def: $vgpr2
.LBB4_5658:                             ;   in Loop: Header=BB4_4032 Depth=2
	s_and_not1_saveexec_b32 s7, s29
; %bb.5659:                             ;   in Loop: Header=BB4_4032 Depth=2
	v_or_b32_e32 v47, 0x7f, v2
; %bb.5660:                             ;   in Loop: Header=BB4_4032 Depth=2
	s_or_b32 exec_lo, exec_lo, s7
	v_dual_lshlrev_b32 v3, 24, v42 :: v_dual_lshlrev_b32 v11, 16, v119
	v_lshl_or_b32 v2, v117, 8, v114
	v_mov_b32_e32 v10, 0
	s_mov_b32 s7, exec_lo
	s_delay_alu instid0(VALU_DEP_2)
	v_or3_b32 v36, v11, v3, v2
	v_mov_b32_e32 v3, 0
	v_cmpx_ne_u32_e32 0, v114
	s_cbranch_execz .LBB4_5666
; %bb.5661:                             ;   in Loop: Header=BB4_4032 Depth=2
	v_bfrev_b32_e32 v3, 1
	s_mov_b32 s29, exec_lo
	v_cmpx_ne_u32_e32 0x80, v114
	s_cbranch_execz .LBB4_5665
; %bb.5662:                             ;   in Loop: Header=BB4_4032 Depth=2
	v_and_b32_e32 v11, 0x7f, v114
	v_mov_b32_e32 v3, 0x7f800001
	s_mov_b32 s40, exec_lo
	s_delay_alu instid0(VALU_DEP_2)
	v_cmpx_ne_u32_e32 0x7f, v11
	s_cbranch_execz .LBB4_5664
; %bb.5663:                             ;   in Loop: Header=BB4_4032 Depth=2
	v_dual_lshrrev_b32 v14, 3, v11 :: v_dual_bitop2_b32 v3, 7, v114 bitop3:0x40
	v_cmp_gt_u32_e32 vcc_lo, 8, v11
	s_delay_alu instid0(VALU_DEP_2) | instskip(NEXT) | instid1(VALU_DEP_1)
	v_clz_i32_u32_e32 v3, v3
	v_min_u32_e32 v3, 32, v3
	s_delay_alu instid0(VALU_DEP_1) | instskip(SKIP_1) | instid1(VALU_DEP_2)
	v_subrev_nc_u32_e32 v15, 28, v3
	v_sub_nc_u32_e32 v3, 29, v3
	v_cndmask_b32_e32 v11, 0, v15, vcc_lo
	s_delay_alu instid0(VALU_DEP_2) | instskip(NEXT) | instid1(VALU_DEP_2)
	v_cndmask_b32_e32 v3, v14, v3, vcc_lo
	v_lshlrev_b64_e32 v[14:15], v11, v[36:37]
	v_lshlrev_b32_e32 v11, 24, v36
	s_delay_alu instid0(VALU_DEP_1) | instskip(NEXT) | instid1(VALU_DEP_3)
	v_and_b32_e32 v11, 0x80000000, v11
	v_lshlrev_b32_e32 v14, 20, v14
	v_lshl_add_u32 v3, v3, 23, 0x3c000000
	s_delay_alu instid0(VALU_DEP_2) | instskip(NEXT) | instid1(VALU_DEP_1)
	v_and_b32_e32 v14, 0x700000, v14
	v_or3_b32 v3, v14, v11, v3
.LBB4_5664:                             ;   in Loop: Header=BB4_4032 Depth=2
	s_or_b32 exec_lo, exec_lo, s40
.LBB4_5665:                             ;   in Loop: Header=BB4_4032 Depth=2
	s_delay_alu instid0(SALU_CYCLE_1)
	s_or_b32 exec_lo, exec_lo, s29
.LBB4_5666:                             ;   in Loop: Header=BB4_4032 Depth=2
	s_delay_alu instid0(SALU_CYCLE_1) | instskip(SKIP_2) | instid1(VALU_DEP_1)
	s_or_b32 exec_lo, exec_lo, s7
	v_and_b32_e32 v11, 0xff, v13
	s_mov_b32 s7, exec_lo
	v_cmpx_ne_u16_e32 0, v11
	s_cbranch_execz .LBB4_5672
; %bb.5667:                             ;   in Loop: Header=BB4_4032 Depth=2
	v_bfrev_b32_e32 v10, 1
	s_mov_b32 s29, exec_lo
	v_cmpx_ne_u16_e32 0x80, v11
	s_cbranch_execz .LBB4_5671
; %bb.5668:                             ;   in Loop: Header=BB4_4032 Depth=2
	v_and_b32_e32 v11, 0x7f, v13
	v_mov_b32_e32 v10, 0x7f800001
	s_mov_b32 s40, exec_lo
	s_delay_alu instid0(VALU_DEP_2)
	v_cmpx_ne_u32_e32 0x7f, v11
	s_cbranch_execz .LBB4_5670
; %bb.5669:                             ;   in Loop: Header=BB4_4032 Depth=2
	v_dual_lshrrev_b32 v14, 3, v11 :: v_dual_bitop2_b32 v10, 7, v13 bitop3:0x40
	v_cmp_gt_u32_e32 vcc_lo, 8, v11
	s_delay_alu instid0(VALU_DEP_2) | instskip(NEXT) | instid1(VALU_DEP_1)
	v_clz_i32_u32_e32 v10, v10
	v_min_u32_e32 v10, 32, v10
	s_delay_alu instid0(VALU_DEP_1) | instskip(SKIP_2) | instid1(VALU_DEP_2)
	v_sub_nc_u32_e32 v15, 29, v10
	v_subrev_nc_u32_e32 v20, 28, v10
	v_dual_mov_b32 v10, v13 :: v_dual_mov_b32 v11, v37
	v_dual_cndmask_b32 v21, v14, v15 :: v_dual_cndmask_b32 v14, 0, v20
	s_delay_alu instid0(VALU_DEP_1) | instskip(SKIP_1) | instid1(VALU_DEP_1)
	v_lshlrev_b64_e32 v[14:15], v14, v[10:11]
	v_lshlrev_b32_e32 v10, 24, v10
	v_and_b32_e32 v10, 0x80000000, v10
	s_delay_alu instid0(VALU_DEP_3) | instskip(SKIP_1) | instid1(VALU_DEP_2)
	v_lshlrev_b32_e32 v11, 20, v14
	v_lshl_add_u32 v14, v21, 23, 0x3c000000
	v_and_b32_e32 v11, 0x700000, v11
	s_delay_alu instid0(VALU_DEP_1)
	v_or3_b32 v10, v11, v10, v14
.LBB4_5670:                             ;   in Loop: Header=BB4_4032 Depth=2
	s_or_b32 exec_lo, exec_lo, s40
.LBB4_5671:                             ;   in Loop: Header=BB4_4032 Depth=2
	s_delay_alu instid0(SALU_CYCLE_1)
	s_or_b32 exec_lo, exec_lo, s29
.LBB4_5672:                             ;   in Loop: Header=BB4_4032 Depth=2
	s_delay_alu instid0(SALU_CYCLE_1) | instskip(NEXT) | instid1(VALU_DEP_1)
	s_or_b32 exec_lo, exec_lo, s7
	v_dual_add_f32 v10, v3, v10 :: v_dual_mov_b32 v15, v37
                                        ; implicit-def: $vgpr114
	s_mov_b32 s7, exec_lo
	s_delay_alu instid0(VALU_DEP_1) | instskip(SKIP_1) | instid1(VALU_DEP_2)
	v_and_b32_e32 v14, 0x7f800000, v10
	v_lshrrev_b32_e32 v3, 24, v10
	v_cmpx_ne_u64_e32 0x7f800000, v[14:15]
	s_xor_b32 s29, exec_lo, s7
	s_cbranch_execz .LBB4_5686
; %bb.5673:                             ;   in Loop: Header=BB4_4032 Depth=2
	v_and_b32_e32 v14, 0x7fffffff, v10
	v_mov_b32_e32 v15, v37
	v_and_b32_e32 v3, 0x80, v3
                                        ; implicit-def: $vgpr114
	s_mov_b32 s7, exec_lo
	s_delay_alu instid0(VALU_DEP_2)
	v_cmpx_gt_u64_e32 0x43e00001, v[14:15]
	s_xor_b32 s40, exec_lo, s7
	s_cbranch_execz .LBB4_5683
; %bb.5674:                             ;   in Loop: Header=BB4_4032 Depth=2
	v_mov_b32_e32 v114, 0
	s_mov_b32 s41, exec_lo
	v_cmpx_ne_u32_e32 0, v10
	s_cbranch_execz .LBB4_5682
; %bb.5675:                             ;   in Loop: Header=BB4_4032 Depth=2
	v_bfe_u32 v113, v10, 23, 8
	v_and_b32_e32 v14, 0x7fffff, v10
	s_mov_b32 s42, exec_lo
	s_delay_alu instid0(VALU_DEP_2) | instskip(NEXT) | instid1(VALU_DEP_2)
	v_cmp_gt_u32_e32 vcc_lo, 0x7a, v113
	v_or_b32_e32 v15, 0x800000, v14
	v_sub_nc_u32_e32 v11, 0x79, v113
	s_delay_alu instid0(VALU_DEP_1) | instskip(SKIP_1) | instid1(VALU_DEP_2)
	v_cndmask_b32_e32 v11, 0, v11, vcc_lo
	v_cmp_eq_u32_e32 vcc_lo, 0, v113
	v_cndmask_b32_e64 v114, v11, 0x78, vcc_lo
	v_dual_cndmask_b32 v14, v15, v14 :: v_dual_mov_b32 v15, v37
	s_delay_alu instid0(VALU_DEP_2) | instskip(NEXT) | instid1(VALU_DEP_1)
	v_dual_add_nc_u32 v20, 19, v114 :: v_dual_add_nc_u32 v10, 20, v114
	v_lshlrev_b64_e64 v[20:21], v20, 1
	s_delay_alu instid0(VALU_DEP_2) | instskip(NEXT) | instid1(VALU_DEP_1)
	v_lshlrev_b64_e64 v[10:11], v10, -1
	v_bfi_b32 v89, v11, 0, 0
	s_delay_alu instid0(VALU_DEP_2) | instskip(SKIP_1) | instid1(VALU_DEP_1)
	v_bfi_b32 v88, v10, 0, v14
	v_lshrrev_b64 v[10:11], v114, v[14:15]
	v_mov_b64_e32 v[14:15], v[10:11]
	s_delay_alu instid0(VALU_DEP_3)
	v_cmpx_eq_u64_e64 v[88:89], v[20:21]
; %bb.5676:                             ;   in Loop: Header=BB4_4032 Depth=2
	v_bfe_u32 v14, v10, 20, 1
	v_mov_b32_e32 v15, v37
	s_delay_alu instid0(VALU_DEP_1) | instskip(NEXT) | instid1(VALU_DEP_1)
	v_add_nc_u64_e32 v[14:15], v[10:11], v[14:15]
	v_add_nc_u64_e32 v[14:15], -1, v[14:15]
; %bb.5677:                             ;   in Loop: Header=BB4_4032 Depth=2
	s_or_b32 exec_lo, exec_lo, s42
	v_add_nc_u32_e32 v11, 0xffffff81, v113
	v_lshrrev_b32_e32 v15, 23, v10
	s_mov_b32 s7, exec_lo
	s_delay_alu instid0(VALU_DEP_2) | instskip(NEXT) | instid1(VALU_DEP_1)
	v_cndmask_b32_e64 v11, v11, 0xffffff82, vcc_lo
	v_add3_u32 v15, v114, v11, v15
	v_and_b32_e32 v11, 0xfffff, v14
                                        ; implicit-def: $vgpr14
	s_delay_alu instid0(VALU_DEP_1) | instskip(SKIP_1) | instid1(VALU_DEP_2)
	v_dual_add_nc_u32 v113, 6, v15 :: v_dual_add_nc_u32 v10, v11, v10
	v_mov_b32_e32 v11, v37
	v_cmpx_ne_u32_e32 0, v113
	s_xor_b32 s7, exec_lo, s7
; %bb.5678:                             ;   in Loop: Header=BB4_4032 Depth=2
	s_delay_alu instid0(VALU_DEP_2) | instskip(SKIP_2) | instid1(VALU_DEP_2)
	v_cmp_lt_u64_e32 vcc_lo, 0xffffff, v[10:11]
	v_add_nc_u32_e32 v14, 7, v15
	v_cndmask_b32_e64 v15, 0, 1, vcc_lo
	v_cndmask_b32_e32 v14, v113, v14, vcc_lo
	s_delay_alu instid0(VALU_DEP_2)
	v_lshrrev_b64 v[10:11], v15, v[10:11]
; %bb.5679:                             ;   in Loop: Header=BB4_4032 Depth=2
	s_and_not1_saveexec_b32 s7, s7
; %bb.5680:                             ;   in Loop: Header=BB4_4032 Depth=2
	s_delay_alu instid0(VALU_DEP_1)
	v_bfe_u32 v14, v10, 23, 1
; %bb.5681:                             ;   in Loop: Header=BB4_4032 Depth=2
	s_or_b32 exec_lo, exec_lo, s7
	s_delay_alu instid0(VALU_DEP_2) | instskip(NEXT) | instid1(VALU_DEP_2)
	v_lshrrev_b64 v[10:11], 20, v[10:11]
	v_cmp_gt_i32_e32 vcc_lo, 16, v14
	v_min_i32_e32 v15, 15, v14
	v_cmp_eq_u32_e64 s7, 0, v14
	s_delay_alu instid0(VALU_DEP_4) | instskip(NEXT) | instid1(VALU_DEP_3)
	v_cndmask_b32_e32 v11, 0, v11, vcc_lo
	v_dual_cndmask_b32 v10, 7, v10 :: v_dual_lshlrev_b32 v15, 3, v15
	s_delay_alu instid0(VALU_DEP_1) | instskip(NEXT) | instid1(VALU_DEP_2)
	v_and_b32_e32 v15, 0xf8, v15
	v_cmp_eq_u64_e32 vcc_lo, 0, v[10:11]
	s_delay_alu instid0(VALU_DEP_2)
	v_and_or_b32 v10, v10, 7, v15
	s_and_b32 s7, s7, vcc_lo
	s_delay_alu instid0(VALU_DEP_1) | instid1(SALU_CYCLE_1)
	v_cndmask_b32_e64 v10, v10, 0, s7
	s_delay_alu instid0(VALU_DEP_1)
	v_or_b32_e32 v114, v10, v3
.LBB4_5682:                             ;   in Loop: Header=BB4_4032 Depth=2
	s_or_b32 exec_lo, exec_lo, s41
                                        ; implicit-def: $vgpr3
.LBB4_5683:                             ;   in Loop: Header=BB4_4032 Depth=2
	s_and_not1_saveexec_b32 s7, s40
; %bb.5684:                             ;   in Loop: Header=BB4_4032 Depth=2
	v_or_b32_e32 v114, 0x7e, v3
; %bb.5685:                             ;   in Loop: Header=BB4_4032 Depth=2
	s_or_b32 exec_lo, exec_lo, s7
                                        ; implicit-def: $vgpr3
.LBB4_5686:                             ;   in Loop: Header=BB4_4032 Depth=2
	s_and_not1_saveexec_b32 s7, s29
; %bb.5687:                             ;   in Loop: Header=BB4_4032 Depth=2
	v_or_b32_e32 v114, 0x7f, v3
; %bb.5688:                             ;   in Loop: Header=BB4_4032 Depth=2
	s_or_b32 exec_lo, exec_lo, s7
	v_lshrrev_b16 v10, 8, v2
	v_dual_mov_b32 v3, 0 :: v_dual_mov_b32 v14, 0
	s_mov_b32 s7, exec_lo
	s_delay_alu instid0(VALU_DEP_2)
	v_cmpx_ne_u16_e32 0, v10
	s_cbranch_execz .LBB4_5696
; %bb.5689:                             ;   in Loop: Header=BB4_4032 Depth=2
	v_bfrev_b32_e32 v14, 1
	s_mov_b32 s29, exec_lo
	v_cmpx_ne_u16_e32 0x80, v10
	s_cbranch_execz .LBB4_5695
; %bb.5690:                             ;   in Loop: Header=BB4_4032 Depth=2
	v_and_b32_e32 v10, 0xffff, v10
	v_mov_b32_e32 v14, 0x7f800001
	s_mov_b32 s40, exec_lo
	s_delay_alu instid0(VALU_DEP_2) | instskip(NEXT) | instid1(VALU_DEP_1)
	v_and_b32_e32 v15, 0x7f, v10
	v_cmpx_ne_u32_e32 0x7f, v15
	s_cbranch_execz .LBB4_5694
; %bb.5691:                             ;   in Loop: Header=BB4_4032 Depth=2
	v_dual_mov_b32 v11, v37 :: v_dual_bitop2_b32 v10, 7, v10 bitop3:0x40
	v_lshrrev_b32_e32 v14, 3, v15
	s_mov_b32 s41, exec_lo
	v_cmpx_gt_u32_e32 8, v15
; %bb.5692:                             ;   in Loop: Header=BB4_4032 Depth=2
	s_delay_alu instid0(VALU_DEP_3) | instskip(NEXT) | instid1(VALU_DEP_1)
	v_clz_i32_u32_e32 v14, v10
	v_min_u32_e32 v14, 32, v14
	s_delay_alu instid0(VALU_DEP_1) | instskip(SKIP_1) | instid1(VALU_DEP_2)
	v_subrev_nc_u32_e32 v15, 28, v14
	v_sub_nc_u32_e32 v14, 29, v14
	v_lshlrev_b64_e32 v[10:11], v15, v[10:11]
	s_delay_alu instid0(VALU_DEP_1)
	v_and_b32_e32 v10, 7, v10
; %bb.5693:                             ;   in Loop: Header=BB4_4032 Depth=2
	s_or_b32 exec_lo, exec_lo, s41
	v_lshlrev_b32_e32 v2, 16, v2
	s_delay_alu instid0(VALU_DEP_2) | instskip(SKIP_1) | instid1(VALU_DEP_3)
	v_lshlrev_b32_e32 v10, 20, v10
	v_lshl_add_u32 v11, v14, 23, 0x3c000000
	v_and_b32_e32 v2, 0x80000000, v2
	s_delay_alu instid0(VALU_DEP_1)
	v_or3_b32 v14, v10, v2, v11
.LBB4_5694:                             ;   in Loop: Header=BB4_4032 Depth=2
	s_or_b32 exec_lo, exec_lo, s40
.LBB4_5695:                             ;   in Loop: Header=BB4_4032 Depth=2
	s_delay_alu instid0(SALU_CYCLE_1)
	s_or_b32 exec_lo, exec_lo, s29
.LBB4_5696:                             ;   in Loop: Header=BB4_4032 Depth=2
	s_delay_alu instid0(SALU_CYCLE_1) | instskip(SKIP_2) | instid1(VALU_DEP_1)
	s_or_b32 exec_lo, exec_lo, s7
	v_lshrrev_b16 v2, 8, v13
	s_mov_b32 s7, exec_lo
	v_cmpx_ne_u16_e32 0, v2
	s_cbranch_execz .LBB4_5704
; %bb.5697:                             ;   in Loop: Header=BB4_4032 Depth=2
	v_bfrev_b32_e32 v3, 1
	s_mov_b32 s29, exec_lo
	v_cmpx_ne_u16_e32 0x80, v2
	s_cbranch_execz .LBB4_5703
; %bb.5698:                             ;   in Loop: Header=BB4_4032 Depth=2
	v_and_b32_e32 v2, 0xffff, v2
	v_mov_b32_e32 v3, 0x7f800001
	s_mov_b32 s40, exec_lo
	s_delay_alu instid0(VALU_DEP_2) | instskip(NEXT) | instid1(VALU_DEP_1)
	v_and_b32_e32 v15, 0x7f, v2
	v_cmpx_ne_u32_e32 0x7f, v15
	s_cbranch_execz .LBB4_5702
; %bb.5699:                             ;   in Loop: Header=BB4_4032 Depth=2
	v_dual_mov_b32 v11, v37 :: v_dual_bitop2_b32 v10, 7, v2 bitop3:0x40
	v_lshrrev_b32_e32 v2, 3, v15
	s_mov_b32 s41, exec_lo
	v_cmpx_gt_u32_e32 8, v15
; %bb.5700:                             ;   in Loop: Header=BB4_4032 Depth=2
	s_delay_alu instid0(VALU_DEP_3) | instskip(NEXT) | instid1(VALU_DEP_1)
	v_clz_i32_u32_e32 v2, v10
	v_min_u32_e32 v2, 32, v2
	s_delay_alu instid0(VALU_DEP_1) | instskip(SKIP_1) | instid1(VALU_DEP_2)
	v_subrev_nc_u32_e32 v3, 28, v2
	v_sub_nc_u32_e32 v2, 29, v2
	v_lshlrev_b64_e32 v[10:11], v3, v[10:11]
	s_delay_alu instid0(VALU_DEP_1)
	v_and_b32_e32 v10, 7, v10
; %bb.5701:                             ;   in Loop: Header=BB4_4032 Depth=2
	s_or_b32 exec_lo, exec_lo, s41
	s_delay_alu instid0(VALU_DEP_1) | instskip(SKIP_1) | instid1(VALU_DEP_2)
	v_dual_lshlrev_b32 v3, 16, v13 :: v_dual_lshlrev_b32 v10, 20, v10
	v_lshl_add_u32 v2, v2, 23, 0x3c000000
	v_and_b32_e32 v3, 0x80000000, v3
	s_delay_alu instid0(VALU_DEP_1)
	v_or3_b32 v3, v10, v3, v2
.LBB4_5702:                             ;   in Loop: Header=BB4_4032 Depth=2
	s_or_b32 exec_lo, exec_lo, s40
.LBB4_5703:                             ;   in Loop: Header=BB4_4032 Depth=2
	s_delay_alu instid0(SALU_CYCLE_1)
	s_or_b32 exec_lo, exec_lo, s29
.LBB4_5704:                             ;   in Loop: Header=BB4_4032 Depth=2
	s_delay_alu instid0(SALU_CYCLE_1) | instskip(NEXT) | instid1(VALU_DEP_1)
	s_or_b32 exec_lo, exec_lo, s7
	v_dual_add_f32 v10, v14, v3 :: v_dual_mov_b32 v3, v37
	s_delay_alu instid0(VALU_DEP_1) | instskip(NEXT) | instid1(VALU_DEP_1)
	v_and_b32_e32 v2, 0x7f800000, v10
	v_cmp_ne_u64_e32 vcc_lo, 0x7f800000, v[2:3]
	v_lshrrev_b32_e32 v3, 24, v10
                                        ; implicit-def: $vgpr2
	s_and_saveexec_b32 s7, vcc_lo
	s_delay_alu instid0(SALU_CYCLE_1)
	s_xor_b32 s29, exec_lo, s7
	s_cbranch_execz .LBB4_5718
; %bb.5705:                             ;   in Loop: Header=BB4_4032 Depth=2
	v_and_b32_e32 v14, 0x7fffffff, v10
	v_mov_b32_e32 v15, v37
	v_and_b32_e32 v3, 0x80, v3
                                        ; implicit-def: $vgpr2
	s_mov_b32 s7, exec_lo
	s_delay_alu instid0(VALU_DEP_2)
	v_cmpx_gt_u64_e32 0x43e00001, v[14:15]
	s_xor_b32 s40, exec_lo, s7
	s_cbranch_execz .LBB4_5715
; %bb.5706:                             ;   in Loop: Header=BB4_4032 Depth=2
	v_mov_b32_e32 v2, 0
	s_mov_b32 s41, exec_lo
	v_cmpx_ne_u32_e32 0, v10
	s_cbranch_execz .LBB4_5714
; %bb.5707:                             ;   in Loop: Header=BB4_4032 Depth=2
	v_bfe_u32 v2, v10, 23, 8
	v_and_b32_e32 v14, 0x7fffff, v10
	s_mov_b32 s42, exec_lo
	s_delay_alu instid0(VALU_DEP_2) | instskip(SKIP_1) | instid1(VALU_DEP_3)
	v_sub_nc_u32_e32 v11, 0x79, v2
	v_cmp_gt_u32_e32 vcc_lo, 0x7a, v2
	v_or_b32_e32 v15, 0x800000, v14
	s_delay_alu instid0(VALU_DEP_3) | instskip(SKIP_1) | instid1(VALU_DEP_2)
	v_cndmask_b32_e32 v11, 0, v11, vcc_lo
	v_cmp_eq_u32_e32 vcc_lo, 0, v2
	v_cndmask_b32_e64 v113, v11, 0x78, vcc_lo
	s_delay_alu instid0(VALU_DEP_4) | instskip(NEXT) | instid1(VALU_DEP_2)
	v_dual_cndmask_b32 v14, v15, v14 :: v_dual_mov_b32 v15, v37
	v_dual_add_nc_u32 v10, 20, v113 :: v_dual_add_nc_u32 v20, 19, v113
	s_delay_alu instid0(VALU_DEP_1) | instskip(NEXT) | instid1(VALU_DEP_2)
	v_lshlrev_b64_e64 v[10:11], v10, -1
	v_lshlrev_b64_e64 v[20:21], v20, 1
	s_delay_alu instid0(VALU_DEP_2) | instskip(NEXT) | instid1(VALU_DEP_3)
	v_bfi_b32 v89, v11, 0, 0
	v_bfi_b32 v88, v10, 0, v14
	v_lshrrev_b64 v[10:11], v113, v[14:15]
	s_delay_alu instid0(VALU_DEP_1) | instskip(NEXT) | instid1(VALU_DEP_3)
	v_mov_b64_e32 v[14:15], v[10:11]
	v_cmpx_eq_u64_e64 v[88:89], v[20:21]
; %bb.5708:                             ;   in Loop: Header=BB4_4032 Depth=2
	v_bfe_u32 v14, v10, 20, 1
	v_mov_b32_e32 v15, v37
	s_delay_alu instid0(VALU_DEP_1) | instskip(NEXT) | instid1(VALU_DEP_1)
	v_add_nc_u64_e32 v[14:15], v[10:11], v[14:15]
	v_add_nc_u64_e32 v[14:15], -1, v[14:15]
; %bb.5709:                             ;   in Loop: Header=BB4_4032 Depth=2
	s_or_b32 exec_lo, exec_lo, s42
	v_add_nc_u32_e32 v2, 0xffffff81, v2
	v_lshrrev_b32_e32 v11, 23, v10
	s_mov_b32 s7, exec_lo
	s_delay_alu instid0(VALU_DEP_2) | instskip(NEXT) | instid1(VALU_DEP_1)
	v_cndmask_b32_e64 v2, v2, 0xffffff82, vcc_lo
	v_add3_u32 v15, v113, v2, v11
	v_and_b32_e32 v2, 0xfffff, v14
	s_delay_alu instid0(VALU_DEP_2) | instskip(NEXT) | instid1(VALU_DEP_2)
	v_dual_mov_b32 v11, v37 :: v_dual_add_nc_u32 v14, 6, v15
	v_add_nc_u32_e32 v10, v2, v10
                                        ; implicit-def: $vgpr2
	s_delay_alu instid0(VALU_DEP_2)
	v_cmpx_ne_u32_e32 0, v14
	s_xor_b32 s7, exec_lo, s7
; %bb.5710:                             ;   in Loop: Header=BB4_4032 Depth=2
	s_delay_alu instid0(VALU_DEP_2) | instskip(SKIP_1) | instid1(VALU_DEP_1)
	v_cmp_lt_u64_e32 vcc_lo, 0xffffff, v[10:11]
	v_add_nc_u32_e32 v2, 7, v15
	v_cndmask_b32_e32 v2, v14, v2, vcc_lo
	v_cndmask_b32_e64 v14, 0, 1, vcc_lo
	s_delay_alu instid0(VALU_DEP_1)
	v_lshrrev_b64 v[10:11], v14, v[10:11]
; %bb.5711:                             ;   in Loop: Header=BB4_4032 Depth=2
	s_and_not1_saveexec_b32 s7, s7
; %bb.5712:                             ;   in Loop: Header=BB4_4032 Depth=2
	s_delay_alu instid0(VALU_DEP_1)
	v_bfe_u32 v2, v10, 23, 1
; %bb.5713:                             ;   in Loop: Header=BB4_4032 Depth=2
	s_or_b32 exec_lo, exec_lo, s7
	s_delay_alu instid0(VALU_DEP_2) | instskip(NEXT) | instid1(VALU_DEP_2)
	v_lshrrev_b64 v[10:11], 20, v[10:11]
	v_cmp_gt_i32_e32 vcc_lo, 16, v2
	v_min_i32_e32 v14, 15, v2
	v_cmp_eq_u32_e64 s7, 0, v2
	s_delay_alu instid0(VALU_DEP_2) | instskip(SKIP_1) | instid1(VALU_DEP_2)
	v_dual_cndmask_b32 v11, 0, v11 :: v_dual_lshlrev_b32 v14, 3, v14
	v_cndmask_b32_e32 v10, 7, v10, vcc_lo
	v_and_b32_e32 v14, 0xf8, v14
	s_delay_alu instid0(VALU_DEP_2) | instskip(NEXT) | instid1(VALU_DEP_2)
	v_cmp_eq_u64_e32 vcc_lo, 0, v[10:11]
	v_and_or_b32 v2, v10, 7, v14
	s_and_b32 s7, s7, vcc_lo
	s_delay_alu instid0(VALU_DEP_1) | instid1(SALU_CYCLE_1)
	v_cndmask_b32_e64 v2, v2, 0, s7
	s_delay_alu instid0(VALU_DEP_1)
	v_or_b32_e32 v2, v2, v3
.LBB4_5714:                             ;   in Loop: Header=BB4_4032 Depth=2
	s_or_b32 exec_lo, exec_lo, s41
                                        ; implicit-def: $vgpr3
.LBB4_5715:                             ;   in Loop: Header=BB4_4032 Depth=2
	s_and_not1_saveexec_b32 s7, s40
; %bb.5716:                             ;   in Loop: Header=BB4_4032 Depth=2
	v_or_b32_e32 v2, 0x7e, v3
; %bb.5717:                             ;   in Loop: Header=BB4_4032 Depth=2
	s_or_b32 exec_lo, exec_lo, s7
                                        ; implicit-def: $vgpr3
.LBB4_5718:                             ;   in Loop: Header=BB4_4032 Depth=2
	s_and_not1_saveexec_b32 s7, s29
; %bb.5719:                             ;   in Loop: Header=BB4_4032 Depth=2
	v_or_b32_e32 v2, 0x7f, v3
; %bb.5720:                             ;   in Loop: Header=BB4_4032 Depth=2
	s_or_b32 exec_lo, exec_lo, s7
	v_dual_lshrrev_b32 v15, 16, v36 :: v_dual_mov_b32 v3, 0
	v_mov_b32_e32 v14, 0
	s_mov_b32 s7, exec_lo
	s_delay_alu instid0(VALU_DEP_2) | instskip(NEXT) | instid1(VALU_DEP_1)
	v_and_b32_e32 v10, 0xff, v15
	v_cmpx_ne_u16_e32 0, v10
	s_cbranch_execz .LBB4_5728
; %bb.5721:                             ;   in Loop: Header=BB4_4032 Depth=2
	v_bfrev_b32_e32 v14, 1
	s_mov_b32 s29, exec_lo
	v_cmpx_ne_u16_e32 0x80, v10
	s_cbranch_execz .LBB4_5727
; %bb.5722:                             ;   in Loop: Header=BB4_4032 Depth=2
	v_bfe_u32 v113, v36, 16, 7
	v_mov_b32_e32 v14, 0x7f800001
	s_mov_b32 s40, exec_lo
	s_delay_alu instid0(VALU_DEP_2)
	v_cmpx_ne_u32_e32 0x7f, v113
	s_cbranch_execz .LBB4_5726
; %bb.5723:                             ;   in Loop: Header=BB4_4032 Depth=2
	v_dual_mov_b32 v11, v37 :: v_dual_bitop2_b32 v10, 7, v15 bitop3:0x40
	v_lshrrev_b32_e32 v14, 3, v113
	s_mov_b32 s41, exec_lo
	v_cmpx_gt_u32_e32 8, v113
; %bb.5724:                             ;   in Loop: Header=BB4_4032 Depth=2
	s_delay_alu instid0(VALU_DEP_3) | instskip(NEXT) | instid1(VALU_DEP_1)
	v_clz_i32_u32_e32 v14, v10
	v_min_u32_e32 v14, 32, v14
	s_delay_alu instid0(VALU_DEP_1) | instskip(SKIP_1) | instid1(VALU_DEP_2)
	v_subrev_nc_u32_e32 v20, 28, v14
	v_sub_nc_u32_e32 v14, 29, v14
	v_lshlrev_b64_e32 v[10:11], v20, v[10:11]
	s_delay_alu instid0(VALU_DEP_1)
	v_and_b32_e32 v10, 7, v10
; %bb.5725:                             ;   in Loop: Header=BB4_4032 Depth=2
	s_or_b32 exec_lo, exec_lo, s41
	s_delay_alu instid0(VALU_DEP_1) | instskip(SKIP_1) | instid1(VALU_DEP_2)
	v_dual_lshlrev_b32 v11, 24, v15 :: v_dual_lshlrev_b32 v10, 20, v10
	v_lshl_add_u32 v14, v14, 23, 0x3c000000
	v_and_b32_e32 v11, 0x80000000, v11
	s_delay_alu instid0(VALU_DEP_1)
	v_or3_b32 v14, v10, v11, v14
.LBB4_5726:                             ;   in Loop: Header=BB4_4032 Depth=2
	s_or_b32 exec_lo, exec_lo, s40
.LBB4_5727:                             ;   in Loop: Header=BB4_4032 Depth=2
	s_delay_alu instid0(SALU_CYCLE_1)
	s_or_b32 exec_lo, exec_lo, s29
.LBB4_5728:                             ;   in Loop: Header=BB4_4032 Depth=2
	s_delay_alu instid0(SALU_CYCLE_1) | instskip(SKIP_2) | instid1(VALU_DEP_1)
	s_or_b32 exec_lo, exec_lo, s7
	v_lshrrev_b32_e32 v10, 16, v13
	s_mov_b32 s7, exec_lo
	v_and_b32_e32 v11, 0xff, v10
	s_delay_alu instid0(VALU_DEP_1)
	v_cmpx_ne_u16_e32 0, v11
	s_cbranch_execz .LBB4_5736
; %bb.5729:                             ;   in Loop: Header=BB4_4032 Depth=2
	v_bfrev_b32_e32 v3, 1
	s_mov_b32 s29, exec_lo
	v_cmpx_ne_u16_e32 0x80, v11
	s_cbranch_execz .LBB4_5735
; %bb.5730:                             ;   in Loop: Header=BB4_4032 Depth=2
	v_bfe_u32 v15, v13, 16, 7
	v_mov_b32_e32 v3, 0x7f800001
	s_mov_b32 s40, exec_lo
	s_delay_alu instid0(VALU_DEP_2)
	v_cmpx_ne_u32_e32 0x7f, v15
	s_cbranch_execz .LBB4_5734
; %bb.5731:                             ;   in Loop: Header=BB4_4032 Depth=2
	v_dual_mov_b32 v11, v37 :: v_dual_bitop2_b32 v10, 7, v10 bitop3:0x40
	v_lshrrev_b32_e32 v3, 3, v15
	s_mov_b32 s41, exec_lo
	v_cmpx_gt_u32_e32 8, v15
; %bb.5732:                             ;   in Loop: Header=BB4_4032 Depth=2
	s_delay_alu instid0(VALU_DEP_3) | instskip(NEXT) | instid1(VALU_DEP_1)
	v_clz_i32_u32_e32 v3, v10
	v_min_u32_e32 v3, 32, v3
	s_delay_alu instid0(VALU_DEP_1) | instskip(NEXT) | instid1(VALU_DEP_1)
	v_subrev_nc_u32_e32 v15, 28, v3
	v_lshlrev_b64_e32 v[10:11], v15, v[10:11]
	s_delay_alu instid0(VALU_DEP_1)
	v_dual_sub_nc_u32 v3, 29, v3 :: v_dual_bitop2_b32 v10, 7, v10 bitop3:0x40
; %bb.5733:                             ;   in Loop: Header=BB4_4032 Depth=2
	s_or_b32 exec_lo, exec_lo, s41
	s_delay_alu instid0(VALU_DEP_1) | instskip(NEXT) | instid1(VALU_DEP_2)
	v_dual_lshlrev_b32 v11, 8, v13 :: v_dual_lshlrev_b32 v10, 20, v10
	v_lshl_add_u32 v3, v3, 23, 0x3c000000
	s_delay_alu instid0(VALU_DEP_2) | instskip(NEXT) | instid1(VALU_DEP_1)
	v_and_b32_e32 v11, 0x80000000, v11
	v_or3_b32 v3, v10, v11, v3
.LBB4_5734:                             ;   in Loop: Header=BB4_4032 Depth=2
	s_or_b32 exec_lo, exec_lo, s40
.LBB4_5735:                             ;   in Loop: Header=BB4_4032 Depth=2
	s_delay_alu instid0(SALU_CYCLE_1)
	s_or_b32 exec_lo, exec_lo, s29
.LBB4_5736:                             ;   in Loop: Header=BB4_4032 Depth=2
	s_delay_alu instid0(SALU_CYCLE_1) | instskip(NEXT) | instid1(VALU_DEP_1)
	s_or_b32 exec_lo, exec_lo, s7
	v_dual_add_f32 v10, v14, v3 :: v_dual_mov_b32 v15, v37
                                        ; implicit-def: $vgpr3
	s_mov_b32 s7, exec_lo
	s_delay_alu instid0(VALU_DEP_1) | instskip(SKIP_1) | instid1(VALU_DEP_2)
	v_and_b32_e32 v14, 0x7f800000, v10
	v_lshrrev_b32_e32 v11, 24, v10
	v_cmpx_ne_u64_e32 0x7f800000, v[14:15]
	s_xor_b32 s29, exec_lo, s7
	s_cbranch_execz .LBB4_5750
; %bb.5737:                             ;   in Loop: Header=BB4_4032 Depth=2
	v_and_b32_e32 v14, 0x7fffffff, v10
	v_mov_b32_e32 v15, v37
	v_and_b32_e32 v113, 0x80, v11
                                        ; implicit-def: $vgpr3
	s_mov_b32 s7, exec_lo
	s_delay_alu instid0(VALU_DEP_2)
	v_cmpx_gt_u64_e32 0x43e00001, v[14:15]
	s_xor_b32 s40, exec_lo, s7
	s_cbranch_execz .LBB4_5747
; %bb.5738:                             ;   in Loop: Header=BB4_4032 Depth=2
	v_mov_b32_e32 v3, 0
	s_mov_b32 s41, exec_lo
	v_cmpx_ne_u32_e32 0, v10
	s_cbranch_execz .LBB4_5746
; %bb.5739:                             ;   in Loop: Header=BB4_4032 Depth=2
	v_bfe_u32 v3, v10, 23, 8
	v_and_b32_e32 v14, 0x7fffff, v10
	s_mov_b32 s42, exec_lo
	s_delay_alu instid0(VALU_DEP_2) | instskip(NEXT) | instid1(VALU_DEP_2)
	v_cmp_gt_u32_e32 vcc_lo, 0x7a, v3
	v_or_b32_e32 v15, 0x800000, v14
	v_sub_nc_u32_e32 v11, 0x79, v3
	s_delay_alu instid0(VALU_DEP_1) | instskip(SKIP_1) | instid1(VALU_DEP_2)
	v_cndmask_b32_e32 v11, 0, v11, vcc_lo
	v_cmp_eq_u32_e32 vcc_lo, 0, v3
	v_cndmask_b32_e64 v117, v11, 0x78, vcc_lo
	v_dual_cndmask_b32 v14, v15, v14 :: v_dual_mov_b32 v15, v37
	s_delay_alu instid0(VALU_DEP_2) | instskip(NEXT) | instid1(VALU_DEP_1)
	v_dual_add_nc_u32 v20, 19, v117 :: v_dual_add_nc_u32 v10, 20, v117
	v_lshlrev_b64_e64 v[20:21], v20, 1
	s_delay_alu instid0(VALU_DEP_2) | instskip(NEXT) | instid1(VALU_DEP_1)
	v_lshlrev_b64_e64 v[10:11], v10, -1
	v_bfi_b32 v89, v11, 0, 0
	s_delay_alu instid0(VALU_DEP_2) | instskip(SKIP_1) | instid1(VALU_DEP_1)
	v_bfi_b32 v88, v10, 0, v14
	v_lshrrev_b64 v[10:11], v117, v[14:15]
	v_mov_b64_e32 v[14:15], v[10:11]
	s_delay_alu instid0(VALU_DEP_3)
	v_cmpx_eq_u64_e64 v[88:89], v[20:21]
; %bb.5740:                             ;   in Loop: Header=BB4_4032 Depth=2
	v_bfe_u32 v14, v10, 20, 1
	v_mov_b32_e32 v15, v37
	s_delay_alu instid0(VALU_DEP_1) | instskip(NEXT) | instid1(VALU_DEP_1)
	v_add_nc_u64_e32 v[14:15], v[10:11], v[14:15]
	v_add_nc_u64_e32 v[14:15], -1, v[14:15]
; %bb.5741:                             ;   in Loop: Header=BB4_4032 Depth=2
	s_or_b32 exec_lo, exec_lo, s42
	v_add_nc_u32_e32 v3, 0xffffff81, v3
	v_lshrrev_b32_e32 v11, 23, v10
	s_mov_b32 s7, exec_lo
	s_delay_alu instid0(VALU_DEP_2) | instskip(NEXT) | instid1(VALU_DEP_1)
	v_cndmask_b32_e64 v3, v3, 0xffffff82, vcc_lo
	v_add3_u32 v15, v117, v3, v11
	v_and_b32_e32 v3, 0xfffff, v14
	s_delay_alu instid0(VALU_DEP_2) | instskip(NEXT) | instid1(VALU_DEP_2)
	v_dual_mov_b32 v11, v37 :: v_dual_add_nc_u32 v14, 6, v15
	v_add_nc_u32_e32 v10, v3, v10
                                        ; implicit-def: $vgpr3
	s_delay_alu instid0(VALU_DEP_2)
	v_cmpx_ne_u32_e32 0, v14
	s_xor_b32 s7, exec_lo, s7
; %bb.5742:                             ;   in Loop: Header=BB4_4032 Depth=2
	s_delay_alu instid0(VALU_DEP_2) | instskip(SKIP_1) | instid1(VALU_DEP_1)
	v_cmp_lt_u64_e32 vcc_lo, 0xffffff, v[10:11]
	v_add_nc_u32_e32 v3, 7, v15
	v_cndmask_b32_e32 v3, v14, v3, vcc_lo
	v_cndmask_b32_e64 v14, 0, 1, vcc_lo
	s_delay_alu instid0(VALU_DEP_1)
	v_lshrrev_b64 v[10:11], v14, v[10:11]
; %bb.5743:                             ;   in Loop: Header=BB4_4032 Depth=2
	s_and_not1_saveexec_b32 s7, s7
; %bb.5744:                             ;   in Loop: Header=BB4_4032 Depth=2
	s_delay_alu instid0(VALU_DEP_1)
	v_bfe_u32 v3, v10, 23, 1
; %bb.5745:                             ;   in Loop: Header=BB4_4032 Depth=2
	s_or_b32 exec_lo, exec_lo, s7
	s_delay_alu instid0(VALU_DEP_2) | instskip(NEXT) | instid1(VALU_DEP_2)
	v_lshrrev_b64 v[10:11], 20, v[10:11]
	v_cmp_gt_i32_e32 vcc_lo, 16, v3
	v_min_i32_e32 v14, 15, v3
	v_cmp_eq_u32_e64 s7, 0, v3
	s_delay_alu instid0(VALU_DEP_4) | instskip(NEXT) | instid1(VALU_DEP_3)
	v_cndmask_b32_e32 v10, 7, v10, vcc_lo
	v_dual_cndmask_b32 v11, 0, v11 :: v_dual_lshlrev_b32 v14, 3, v14
	s_delay_alu instid0(VALU_DEP_1) | instskip(NEXT) | instid1(VALU_DEP_2)
	v_and_b32_e32 v14, 0xf8, v14
	v_cmp_eq_u64_e32 vcc_lo, 0, v[10:11]
	s_delay_alu instid0(VALU_DEP_2)
	v_and_or_b32 v3, v10, 7, v14
	s_and_b32 s7, s7, vcc_lo
	s_delay_alu instid0(VALU_DEP_1) | instid1(SALU_CYCLE_1)
	v_cndmask_b32_e64 v3, v3, 0, s7
	s_delay_alu instid0(VALU_DEP_1)
	v_or_b32_e32 v3, v3, v113
.LBB4_5746:                             ;   in Loop: Header=BB4_4032 Depth=2
	s_or_b32 exec_lo, exec_lo, s41
                                        ; implicit-def: $vgpr113
.LBB4_5747:                             ;   in Loop: Header=BB4_4032 Depth=2
	s_and_not1_saveexec_b32 s7, s40
; %bb.5748:                             ;   in Loop: Header=BB4_4032 Depth=2
	v_or_b32_e32 v3, 0x7e, v113
; %bb.5749:                             ;   in Loop: Header=BB4_4032 Depth=2
	s_or_b32 exec_lo, exec_lo, s7
                                        ; implicit-def: $vgpr11
.LBB4_5750:                             ;   in Loop: Header=BB4_4032 Depth=2
	s_and_not1_saveexec_b32 s7, s29
; %bb.5751:                             ;   in Loop: Header=BB4_4032 Depth=2
	v_or_b32_e32 v3, 0x7f, v11
; %bb.5752:                             ;   in Loop: Header=BB4_4032 Depth=2
	s_or_b32 exec_lo, exec_lo, s7
	v_dual_mov_b32 v10, 0 :: v_dual_mov_b32 v11, 0
	s_mov_b32 s7, exec_lo
	v_cmpx_lt_u32_e32 0xffffff, v36
	s_cbranch_execz .LBB4_5760
; %bb.5753:                             ;   in Loop: Header=BB4_4032 Depth=2
	v_lshrrev_b32_e32 v14, 24, v36
	v_bfrev_b32_e32 v11, 1
	s_mov_b32 s29, exec_lo
	s_delay_alu instid0(VALU_DEP_2)
	v_cmpx_ne_u32_e32 0x80, v14
	s_cbranch_execz .LBB4_5759
; %bb.5754:                             ;   in Loop: Header=BB4_4032 Depth=2
	v_bfe_u32 v15, v36, 24, 7
	v_mov_b32_e32 v11, 0x7f800001
	s_mov_b32 s40, exec_lo
	s_delay_alu instid0(VALU_DEP_2)
	v_cmpx_ne_u32_e32 0x7f, v15
	s_cbranch_execz .LBB4_5758
; %bb.5755:                             ;   in Loop: Header=BB4_4032 Depth=2
	v_dual_lshrrev_b32 v11, 3, v15 :: v_dual_bitop2_b32 v36, 7, v14 bitop3:0x40
	s_mov_b32 s41, exec_lo
	v_cmpx_gt_u32_e32 8, v15
; %bb.5756:                             ;   in Loop: Header=BB4_4032 Depth=2
	s_delay_alu instid0(VALU_DEP_2) | instskip(NEXT) | instid1(VALU_DEP_1)
	v_clz_i32_u32_e32 v11, v36
	v_min_u32_e32 v11, 32, v11
	s_delay_alu instid0(VALU_DEP_1) | instskip(NEXT) | instid1(VALU_DEP_1)
	v_subrev_nc_u32_e32 v15, 28, v11
	v_lshlrev_b64_e32 v[20:21], v15, v[36:37]
	s_delay_alu instid0(VALU_DEP_1)
	v_dual_sub_nc_u32 v11, 29, v11 :: v_dual_bitop2_b32 v36, 7, v20 bitop3:0x40
; %bb.5757:                             ;   in Loop: Header=BB4_4032 Depth=2
	s_or_b32 exec_lo, exec_lo, s41
	s_delay_alu instid0(VALU_DEP_1) | instskip(NEXT) | instid1(VALU_DEP_2)
	v_dual_lshlrev_b32 v14, 24, v14 :: v_dual_lshlrev_b32 v15, 20, v36
	v_lshl_add_u32 v11, v11, 23, 0x3c000000
	s_delay_alu instid0(VALU_DEP_2) | instskip(NEXT) | instid1(VALU_DEP_1)
	v_and_b32_e32 v14, 0x80000000, v14
	v_or3_b32 v11, v15, v14, v11
.LBB4_5758:                             ;   in Loop: Header=BB4_4032 Depth=2
	s_or_b32 exec_lo, exec_lo, s40
.LBB4_5759:                             ;   in Loop: Header=BB4_4032 Depth=2
	s_delay_alu instid0(SALU_CYCLE_1)
	s_or_b32 exec_lo, exec_lo, s29
.LBB4_5760:                             ;   in Loop: Header=BB4_4032 Depth=2
	s_delay_alu instid0(SALU_CYCLE_1) | instskip(NEXT) | instid1(SALU_CYCLE_1)
	s_or_b32 exec_lo, exec_lo, s7
	s_mov_b32 s7, exec_lo
	v_cmpx_lt_u64_e64 s[12:13], v[12:13]
	s_cbranch_execz .LBB4_5768
; %bb.5761:                             ;   in Loop: Header=BB4_4032 Depth=2
	v_lshrrev_b32_e32 v12, 24, v13
	v_bfrev_b32_e32 v10, 1
	s_mov_b32 s29, exec_lo
	s_delay_alu instid0(VALU_DEP_2)
	v_cmpx_ne_u32_e32 0x80, v12
	s_cbranch_execz .LBB4_5767
; %bb.5762:                             ;   in Loop: Header=BB4_4032 Depth=2
	v_bfe_u32 v13, v13, 24, 7
	v_mov_b32_e32 v10, 0x7f800001
	s_mov_b32 s40, exec_lo
	s_delay_alu instid0(VALU_DEP_2)
	v_cmpx_ne_u32_e32 0x7f, v13
	s_cbranch_execz .LBB4_5766
; %bb.5763:                             ;   in Loop: Header=BB4_4032 Depth=2
	v_dual_lshrrev_b32 v10, 3, v13 :: v_dual_bitop2_b32 v36, 7, v12 bitop3:0x40
	s_mov_b32 s41, exec_lo
	v_cmpx_gt_u32_e32 8, v13
; %bb.5764:                             ;   in Loop: Header=BB4_4032 Depth=2
	s_delay_alu instid0(VALU_DEP_2) | instskip(NEXT) | instid1(VALU_DEP_1)
	v_clz_i32_u32_e32 v10, v36
	v_min_u32_e32 v10, 32, v10
	s_delay_alu instid0(VALU_DEP_1) | instskip(SKIP_1) | instid1(VALU_DEP_2)
	v_subrev_nc_u32_e32 v13, 28, v10
	v_sub_nc_u32_e32 v10, 29, v10
	v_lshlrev_b64_e32 v[14:15], v13, v[36:37]
	s_delay_alu instid0(VALU_DEP_1)
	v_and_b32_e32 v36, 7, v14
; %bb.5765:                             ;   in Loop: Header=BB4_4032 Depth=2
	s_or_b32 exec_lo, exec_lo, s41
	v_lshlrev_b32_e32 v12, 24, v12
	s_delay_alu instid0(VALU_DEP_2) | instskip(SKIP_1) | instid1(VALU_DEP_3)
	v_lshlrev_b32_e32 v13, 20, v36
	v_lshl_add_u32 v10, v10, 23, 0x3c000000
	v_and_b32_e32 v12, 0x80000000, v12
	s_delay_alu instid0(VALU_DEP_1)
	v_or3_b32 v10, v13, v12, v10
.LBB4_5766:                             ;   in Loop: Header=BB4_4032 Depth=2
	s_or_b32 exec_lo, exec_lo, s40
.LBB4_5767:                             ;   in Loop: Header=BB4_4032 Depth=2
	s_delay_alu instid0(SALU_CYCLE_1)
	s_or_b32 exec_lo, exec_lo, s29
.LBB4_5768:                             ;   in Loop: Header=BB4_4032 Depth=2
	s_delay_alu instid0(SALU_CYCLE_1) | instskip(NEXT) | instid1(VALU_DEP_1)
	s_or_b32 exec_lo, exec_lo, s7
	v_add_f32_e32 v11, v11, v10
                                        ; implicit-def: $vgpr10
	s_mov_b32 s7, exec_lo
	s_delay_alu instid0(VALU_DEP_1) | instskip(SKIP_1) | instid1(VALU_DEP_2)
	v_and_b32_e32 v36, 0x7f800000, v11
	v_lshrrev_b32_e32 v12, 24, v11
	v_cmpx_ne_u64_e32 0x7f800000, v[36:37]
	s_xor_b32 s29, exec_lo, s7
	s_cbranch_execz .LBB4_5782
; %bb.5769:                             ;   in Loop: Header=BB4_4032 Depth=2
	v_and_b32_e32 v36, 0x7fffffff, v11
	v_and_b32_e32 v14, 0x80, v12
                                        ; implicit-def: $vgpr10
	s_mov_b32 s7, exec_lo
	s_delay_alu instid0(VALU_DEP_2)
	v_cmpx_gt_u64_e32 0x43e00001, v[36:37]
	s_xor_b32 s40, exec_lo, s7
	s_cbranch_execz .LBB4_5779
; %bb.5770:                             ;   in Loop: Header=BB4_4032 Depth=2
	v_mov_b32_e32 v10, 0
	s_mov_b32 s41, exec_lo
	v_cmpx_ne_u32_e32 0, v11
	s_cbranch_execz .LBB4_5778
; %bb.5771:                             ;   in Loop: Header=BB4_4032 Depth=2
	v_bfe_u32 v15, v11, 23, 8
	v_and_b32_e32 v12, 0x7fffff, v11
	s_delay_alu instid0(VALU_DEP_2) | instskip(SKIP_1) | instid1(VALU_DEP_3)
	v_sub_nc_u32_e32 v10, 0x79, v15
	v_cmp_gt_u32_e32 vcc_lo, 0x7a, v15
	v_or_b32_e32 v13, 0x800000, v12
	s_delay_alu instid0(VALU_DEP_3) | instskip(SKIP_1) | instid1(VALU_DEP_2)
	v_cndmask_b32_e32 v10, 0, v10, vcc_lo
	v_cmp_eq_u32_e32 vcc_lo, 0, v15
	v_cndmask_b32_e64 v113, v10, 0x78, vcc_lo
	s_delay_alu instid0(VALU_DEP_1) | instskip(SKIP_1) | instid1(VALU_DEP_2)
	v_dual_cndmask_b32 v36, v13, v12, vcc_lo :: v_dual_add_nc_u32 v10, 20, v113
	v_add_nc_u32_e32 v20, 19, v113
	v_lshlrev_b64_e64 v[10:11], v10, -1
	s_delay_alu instid0(VALU_DEP_2) | instskip(NEXT) | instid1(VALU_DEP_2)
	v_lshlrev_b64_e64 v[12:13], v20, 1
	v_bfi_b32 v21, v11, 0, 0
	s_delay_alu instid0(VALU_DEP_3) | instskip(SKIP_1) | instid1(VALU_DEP_2)
	v_bfi_b32 v20, v10, 0, v36
	v_lshrrev_b64 v[10:11], v113, v[36:37]
	v_cmp_eq_u64_e64 s7, v[20:21], v[12:13]
	s_delay_alu instid0(VALU_DEP_2)
	v_mov_b64_e32 v[12:13], v[10:11]
	s_and_saveexec_b32 s42, s7
; %bb.5772:                             ;   in Loop: Header=BB4_4032 Depth=2
	v_bfe_u32 v36, v10, 20, 1
	s_delay_alu instid0(VALU_DEP_1) | instskip(NEXT) | instid1(VALU_DEP_1)
	v_add_nc_u64_e32 v[12:13], v[10:11], v[36:37]
	v_add_nc_u64_e32 v[12:13], -1, v[12:13]
; %bb.5773:                             ;   in Loop: Header=BB4_4032 Depth=2
	s_or_b32 exec_lo, exec_lo, s42
	v_add_nc_u32_e32 v11, 0xffffff81, v15
	v_lshrrev_b32_e32 v13, 23, v10
	s_mov_b32 s7, exec_lo
	s_delay_alu instid0(VALU_DEP_2) | instskip(NEXT) | instid1(VALU_DEP_1)
	v_cndmask_b32_e64 v11, v11, 0xffffff82, vcc_lo
	v_add3_u32 v13, v113, v11, v13
	v_and_b32_e32 v11, 0xfffff, v12
                                        ; implicit-def: $vgpr12
	s_delay_alu instid0(VALU_DEP_1) | instskip(NEXT) | instid1(VALU_DEP_1)
	v_dual_add_nc_u32 v15, 6, v13 :: v_dual_add_nc_u32 v36, v11, v10
                                        ; implicit-def: $vgpr10_vgpr11
	v_cmpx_ne_u32_e32 0, v15
	s_xor_b32 s7, exec_lo, s7
; %bb.5774:                             ;   in Loop: Header=BB4_4032 Depth=2
	s_delay_alu instid0(VALU_DEP_2) | instskip(SKIP_1) | instid1(VALU_DEP_1)
	v_cmp_lt_u64_e32 vcc_lo, 0xffffff, v[36:37]
	v_add_nc_u32_e32 v10, 7, v13
	v_cndmask_b32_e32 v12, v15, v10, vcc_lo
	v_cndmask_b32_e64 v10, 0, 1, vcc_lo
	s_delay_alu instid0(VALU_DEP_1)
	v_lshrrev_b64 v[10:11], v10, v[36:37]
; %bb.5775:                             ;   in Loop: Header=BB4_4032 Depth=2
	s_and_not1_saveexec_b32 s7, s7
; %bb.5776:                             ;   in Loop: Header=BB4_4032 Depth=2
	v_mov_b64_e32 v[10:11], v[36:37]
	v_bfe_u32 v12, v36, 23, 1
; %bb.5777:                             ;   in Loop: Header=BB4_4032 Depth=2
	s_or_b32 exec_lo, exec_lo, s7
	s_delay_alu instid0(VALU_DEP_2) | instskip(NEXT) | instid1(VALU_DEP_2)
	v_lshrrev_b64 v[10:11], 20, v[10:11]
	v_cmp_gt_i32_e32 vcc_lo, 16, v12
	v_min_i32_e32 v13, 15, v12
	v_cmp_eq_u32_e64 s7, 0, v12
	s_delay_alu instid0(VALU_DEP_2) | instskip(SKIP_1) | instid1(VALU_DEP_2)
	v_dual_cndmask_b32 v11, 0, v11, vcc_lo :: v_dual_lshlrev_b32 v13, 3, v13
	v_cndmask_b32_e32 v10, 7, v10, vcc_lo
	v_and_b32_e32 v13, 0xf8, v13
	s_delay_alu instid0(VALU_DEP_2) | instskip(NEXT) | instid1(VALU_DEP_2)
	v_cmp_eq_u64_e32 vcc_lo, 0, v[10:11]
	v_and_or_b32 v10, v10, 7, v13
	s_and_b32 s7, s7, vcc_lo
	s_delay_alu instid0(VALU_DEP_1) | instid1(SALU_CYCLE_1)
	v_cndmask_b32_e64 v10, v10, 0, s7
	s_delay_alu instid0(VALU_DEP_1)
	v_or_b32_e32 v10, v10, v14
.LBB4_5778:                             ;   in Loop: Header=BB4_4032 Depth=2
	s_or_b32 exec_lo, exec_lo, s41
                                        ; implicit-def: $vgpr14
.LBB4_5779:                             ;   in Loop: Header=BB4_4032 Depth=2
	s_and_not1_saveexec_b32 s7, s40
; %bb.5780:                             ;   in Loop: Header=BB4_4032 Depth=2
	v_or_b32_e32 v10, 0x7e, v14
; %bb.5781:                             ;   in Loop: Header=BB4_4032 Depth=2
	s_or_b32 exec_lo, exec_lo, s7
                                        ; implicit-def: $vgpr12
.LBB4_5782:                             ;   in Loop: Header=BB4_4032 Depth=2
	s_and_not1_saveexec_b32 s7, s29
	s_cbranch_execz .LBB4_4031
; %bb.5783:                             ;   in Loop: Header=BB4_4032 Depth=2
	v_or_b32_e32 v10, 0x7f, v12
	s_branch .LBB4_4031
.LBB4_5784:                             ;   in Loop: Header=BB4_3957 Depth=1
	s_or_b32 exec_lo, exec_lo, s26
.LBB4_5785:                             ;   in Loop: Header=BB4_3957 Depth=1
	s_delay_alu instid0(SALU_CYCLE_1) | instskip(SKIP_4) | instid1(VALU_DEP_2)
	s_or_b32 exec_lo, exec_lo, s10
	v_and_b32_e32 v2, 0x3ffffc00, v102
	v_mov_b32_e32 v80, 0
	s_mov_b32 s7, 0
	s_mov_b32 s26, exec_lo
                                        ; implicit-def: $vgpr81
                                        ; implicit-def: $vgpr82
	v_cmpx_ne_u32_e64 v102, v2
	s_cbranch_execz .LBB4_6671
; %bb.5786:                             ;   in Loop: Header=BB4_3957 Depth=1
	v_lshlrev_b32_e32 v3, 5, v30
	v_and_b32_e32 v97, 0x1ff, v102
	v_bfe_u32 v12, v102, 9, 1
	s_mov_b32 s27, exec_lo
	s_delay_alu instid0(VALU_DEP_3) | instskip(NEXT) | instid1(VALU_DEP_3)
	v_sub_nc_u32_e32 v3, v99, v3
	v_cmp_lt_u32_e64 s7, 15, v97
	s_delay_alu instid0(VALU_DEP_2) | instskip(NEXT) | instid1(VALU_DEP_2)
	v_ashrrev_i32_e32 v10, 31, v3
	v_add_co_ci_u32_e64 v12, null, 0, v12, s7
	s_delay_alu instid0(VALU_DEP_2) | instskip(NEXT) | instid1(VALU_DEP_1)
	v_lshrrev_b32_e32 v10, 27, v10
	v_add_nc_u32_e32 v10, v3, v10
	s_delay_alu instid0(VALU_DEP_1) | instskip(NEXT) | instid1(VALU_DEP_1)
	v_and_b32_e32 v11, 0xffffffe0, v10
	v_sub_nc_u32_e32 v96, v3, v11
	v_and_b32_e32 v11, 0x3ff, v102
	s_delay_alu instid0(VALU_DEP_2) | instskip(NEXT) | instid1(VALU_DEP_1)
	v_dual_ashrrev_i32 v10, 5, v10 :: v_dual_lshlrev_b32 v3, 4, v96
	v_lshl_add_u32 v3, v10, 9, v3
	s_delay_alu instid0(VALU_DEP_1) | instskip(NEXT) | instid1(VALU_DEP_1)
	v_dual_sub_nc_u32 v114, v11, v3 :: v_dual_sub_nc_u32 v103, v12, v10
	v_cmpx_lt_i32_e32 15, v114
	s_cbranch_execz .LBB4_6670
; %bb.5787:                             ;   in Loop: Header=BB4_3957 Depth=1
	s_trap 2
	ds_load_b64 v[10:11], v0
	v_add_nc_u32_e32 v2, v3, v2
	s_delay_alu instid0(VALU_DEP_1) | instskip(NEXT) | instid1(VALU_DEP_1)
	v_ashrrev_i32_e32 v3, 31, v2
	v_add_nc_u64_e32 v[14:15], v[2:3], v[68:69]
	v_add_nc_u64_e32 v[16:17], v[2:3], v[70:71]
	s_wait_dscnt 0x0
	v_readfirstlane_b32 s10, v10
	v_readfirstlane_b32 s11, v11
	v_add_nc_u64_e32 v[80:81], v[10:11], v[2:3]
	s_and_b32 s28, s10, 7
	s_and_b32 s40, s10, 0x7f
	s_clz_i32_u32 s28, s28
	s_bfe_u32 s29, s10, 0x40003
	s_min_u32 s28, s28, 32
	s_delay_alu instid0(SALU_CYCLE_1)
	s_sub_co_i32 s41, s28, 28
	s_sub_co_i32 s28, 29, s28
	s_cmp_lt_u32 s40, 8
	s_cselect_b32 s42, s28, s29
	s_cselect_b32 s28, s41, 0
	s_lshl_b32 s41, s10, 24
	s_lshl_b64 s[28:29], s[10:11], s28
	s_and_b32 s11, s41, 0x80000000
	s_lshl_b32 s28, s28, 20
	s_lshl_b32 s29, s42, 23
	s_and_b32 s28, s28, 0x700000
	s_add_co_i32 s29, s29, 0x3c000000
	s_or_b32 s11, s28, s11
	s_mov_b32 s28, 0
	s_or_b32 s11, s29, s11
	s_cmp_lg_u32 s40, 0x7f
	s_cselect_b32 s29, s11, 0x7f800001
	s_and_b32 s40, s10, 0xff
	s_branch .LBB4_5789
.LBB4_5788:                             ;   in Loop: Header=BB4_5789 Depth=2
	s_or_b32 exec_lo, exec_lo, s10
	v_lshl_or_b32 v11, v87, 8, v86
	v_dual_lshlrev_b32 v12, 16, v47 :: v_dual_lshlrev_b32 v13, 24, v30
	v_lshl_or_b32 v20, v117, 8, v115
	v_dual_lshlrev_b32 v21, 16, v40 :: v_dual_lshlrev_b32 v30, 24, v43
	;; [unrolled: 2-line block ×3, first 2 shown]
	v_dual_lshlrev_b32 v85, 24, v10 :: v_dual_lshlrev_b32 v3, 16, v3
	v_lshl_or_b32 v2, v2, 8, v84
	v_or3_b32 v11, v11, v12, v13
	v_or3_b32 v10, v20, v21, v30
	;; [unrolled: 1-line block ×3, first 2 shown]
	v_dual_sub_nc_u32 v114, v114, v52 :: v_dual_sub_nc_u32 v103, v103, v38
	v_or3_b32 v13, v2, v3, v85
	v_add_nc_u64_e32 v[14:15], v[14:15], v[52:53]
	v_add_nc_u64_e32 v[80:81], v[80:81], v[52:53]
	s_delay_alu instid0(VALU_DEP_4) | instskip(SKIP_4) | instid1(SALU_CYCLE_1)
	v_cmp_gt_i32_e32 vcc_lo, 16, v114
	global_store_b128 v[16:17], v[10:13], off th:TH_STORE_NT
	s_wait_xcnt 0x0
	v_add_nc_u64_e32 v[16:17], v[16:17], v[52:53]
	s_or_b32 s28, vcc_lo, s28
	s_and_not1_b32 exec_lo, exec_lo, s28
	s_cbranch_execz .LBB4_6669
.LBB4_5789:                             ;   Parent Loop BB4_3957 Depth=1
                                        ; =>  This Inner Loop Header: Depth=2
	s_cmp_lt_i32 s40, 0x80
	s_cbranch_scc1 .LBB4_5793
; %bb.5790:                             ;   in Loop: Header=BB4_5789 Depth=2
	s_and_b32 s10, 0xffff, s40
	s_delay_alu instid0(SALU_CYCLE_1)
	s_cmp_eq_u32 s10, 0x80
	s_mov_b32 s10, -1
	s_cbranch_scc0 .LBB4_5792
; %bb.5791:                             ;   in Loop: Header=BB4_5789 Depth=2
	s_mov_b32 s10, 0
.LBB4_5792:                             ;   in Loop: Header=BB4_5789 Depth=2
	s_brev_b32 s11, 1
	s_branch .LBB4_5795
.LBB4_5793:                             ;   in Loop: Header=BB4_5789 Depth=2
	s_mov_b32 s10, 0
	s_brev_b32 s11, 1
	s_cbranch_execz .LBB4_5795
; %bb.5794:                             ;   in Loop: Header=BB4_5789 Depth=2
	s_and_b32 s10, 0xffff, s40
	s_mov_b32 s11, 0
	s_cmp_lg_u32 s10, 0
	s_cselect_b32 s10, -1, 0
.LBB4_5795:                             ;   in Loop: Header=BB4_5789 Depth=2
	s_delay_alu instid0(SALU_CYCLE_1)
	s_and_not1_b32 vcc_lo, exec_lo, s10
	s_cbranch_vccnz .LBB4_5797
; %bb.5796:                             ;   in Loop: Header=BB4_5789 Depth=2
	s_mov_b32 s11, s29
.LBB4_5797:                             ;   in Loop: Header=BB4_5789 Depth=2
	global_load_b128 v[10:13], v[14:15], off th:TH_LOAD_NT
	v_mov_b32_e32 v2, 0
	s_mov_b32 s10, exec_lo
	s_wait_loadcnt 0x0
	v_and_b32_e32 v3, 0xff, v10
	s_wait_xcnt 0x0
	s_delay_alu instid0(VALU_DEP_1)
	v_cmpx_ne_u16_e32 0, v3
	s_cbranch_execz .LBB4_5803
; %bb.5798:                             ;   in Loop: Header=BB4_5789 Depth=2
	v_bfrev_b32_e32 v2, 1
	s_mov_b32 s41, exec_lo
	v_cmpx_ne_u16_e32 0x80, v3
	s_cbranch_execz .LBB4_5802
; %bb.5799:                             ;   in Loop: Header=BB4_5789 Depth=2
	v_and_b32_e32 v3, 0x7f, v10
	v_mov_b32_e32 v2, 0x7f800001
	s_mov_b32 s42, exec_lo
	s_delay_alu instid0(VALU_DEP_2)
	v_cmpx_ne_u32_e32 0x7f, v3
	s_cbranch_execz .LBB4_5801
; %bb.5800:                             ;   in Loop: Header=BB4_5789 Depth=2
	v_dual_lshrrev_b32 v20, 3, v3 :: v_dual_bitop2_b32 v2, 7, v10 bitop3:0x40
	v_cmp_gt_u32_e32 vcc_lo, 8, v3
	s_delay_alu instid0(VALU_DEP_2) | instskip(NEXT) | instid1(VALU_DEP_1)
	v_clz_i32_u32_e32 v2, v2
	v_min_u32_e32 v2, 32, v2
	s_delay_alu instid0(VALU_DEP_1) | instskip(SKIP_1) | instid1(VALU_DEP_1)
	v_subrev_nc_u32_e32 v21, 28, v2
	v_sub_nc_u32_e32 v2, 29, v2
	v_dual_cndmask_b32 v20, v20, v2, vcc_lo :: v_dual_cndmask_b32 v2, 0, v21, vcc_lo
	s_delay_alu instid0(VALU_DEP_1) | instskip(NEXT) | instid1(VALU_DEP_2)
	v_lshl_add_u32 v20, v20, 23, 0x3c000000
	v_lshlrev_b64_e32 v[2:3], v2, v[10:11]
	v_lshlrev_b32_e32 v3, 24, v10
	s_delay_alu instid0(VALU_DEP_1) | instskip(NEXT) | instid1(VALU_DEP_3)
	v_and_b32_e32 v3, 0x80000000, v3
	v_lshlrev_b32_e32 v2, 20, v2
	s_delay_alu instid0(VALU_DEP_1) | instskip(NEXT) | instid1(VALU_DEP_1)
	v_and_b32_e32 v2, 0x700000, v2
	v_or3_b32 v2, v2, v3, v20
.LBB4_5801:                             ;   in Loop: Header=BB4_5789 Depth=2
	s_or_b32 exec_lo, exec_lo, s42
.LBB4_5802:                             ;   in Loop: Header=BB4_5789 Depth=2
	s_delay_alu instid0(SALU_CYCLE_1)
	s_or_b32 exec_lo, exec_lo, s41
.LBB4_5803:                             ;   in Loop: Header=BB4_5789 Depth=2
	s_delay_alu instid0(SALU_CYCLE_1) | instskip(NEXT) | instid1(VALU_DEP_1)
	s_or_b32 exec_lo, exec_lo, s10
	v_mul_f32_e32 v3, s11, v2
                                        ; implicit-def: $vgpr30
	s_mov_b32 s10, exec_lo
	s_delay_alu instid0(VALU_DEP_1) | instskip(SKIP_1) | instid1(VALU_DEP_2)
	v_and_b32_e32 v36, 0x7f800000, v3
	v_lshrrev_b32_e32 v2, 24, v3
	v_cmpx_ne_u64_e32 0x7f800000, v[36:37]
	s_xor_b32 s41, exec_lo, s10
	s_cbranch_execz .LBB4_5817
; %bb.5804:                             ;   in Loop: Header=BB4_5789 Depth=2
	v_and_b32_e32 v36, 0x7fffffff, v3
	v_and_b32_e32 v2, 0x80, v2
                                        ; implicit-def: $vgpr30
	s_mov_b32 s10, exec_lo
	s_delay_alu instid0(VALU_DEP_2)
	v_cmpx_gt_u64_e32 0x43e00001, v[36:37]
	s_xor_b32 s42, exec_lo, s10
	s_cbranch_execz .LBB4_5814
; %bb.5805:                             ;   in Loop: Header=BB4_5789 Depth=2
	v_mov_b32_e32 v30, 0
	s_mov_b32 s43, exec_lo
	v_cmpx_ne_u32_e32 0, v3
	s_cbranch_execz .LBB4_5813
; %bb.5806:                             ;   in Loop: Header=BB4_5789 Depth=2
	v_bfe_u32 v30, v3, 23, 8
	v_and_b32_e32 v3, 0x7fffff, v3
	s_delay_alu instid0(VALU_DEP_2) | instskip(SKIP_1) | instid1(VALU_DEP_3)
	v_sub_nc_u32_e32 v20, 0x79, v30
	v_cmp_gt_u32_e32 vcc_lo, 0x7a, v30
	v_or_b32_e32 v36, 0x800000, v3
	s_delay_alu instid0(VALU_DEP_3) | instskip(SKIP_1) | instid1(VALU_DEP_2)
	v_cndmask_b32_e32 v20, 0, v20, vcc_lo
	v_cmp_eq_u32_e32 vcc_lo, 0, v30
	v_cndmask_b32_e64 v86, v20, 0x78, vcc_lo
	s_delay_alu instid0(VALU_DEP_1) | instskip(SKIP_1) | instid1(VALU_DEP_2)
	v_dual_cndmask_b32 v36, v36, v3, vcc_lo :: v_dual_add_nc_u32 v20, 20, v86
	v_add_nc_u32_e32 v82, 19, v86
	v_lshlrev_b64_e64 v[20:21], v20, -1
	s_delay_alu instid0(VALU_DEP_2) | instskip(NEXT) | instid1(VALU_DEP_4)
	v_lshlrev_b64_e64 v[84:85], v82, 1
	v_lshrrev_b64 v[82:83], v86, v[36:37]
	s_delay_alu instid0(VALU_DEP_3) | instskip(NEXT) | instid1(VALU_DEP_4)
	v_bfi_b32 v21, v21, 0, 0
	v_bfi_b32 v20, v20, 0, v36
	s_delay_alu instid0(VALU_DEP_1) | instskip(NEXT) | instid1(VALU_DEP_4)
	v_cmp_eq_u64_e64 s10, v[20:21], v[84:85]
	v_mov_b64_e32 v[84:85], v[82:83]
	s_and_saveexec_b32 s44, s10
; %bb.5807:                             ;   in Loop: Header=BB4_5789 Depth=2
	v_bfe_u32 v36, v82, 20, 1
	s_delay_alu instid0(VALU_DEP_1) | instskip(NEXT) | instid1(VALU_DEP_1)
	v_add_nc_u64_e32 v[20:21], v[82:83], v[36:37]
	v_add_nc_u64_e32 v[84:85], -1, v[20:21]
; %bb.5808:                             ;   in Loop: Header=BB4_5789 Depth=2
	s_or_b32 exec_lo, exec_lo, s44
	v_add_nc_u32_e32 v3, 0xffffff81, v30
	v_lshrrev_b32_e32 v20, 23, v82
	s_mov_b32 s10, exec_lo
	s_delay_alu instid0(VALU_DEP_2) | instskip(NEXT) | instid1(VALU_DEP_1)
	v_cndmask_b32_e64 v3, v3, 0xffffff82, vcc_lo
	v_add3_u32 v30, v86, v3, v20
	v_and_b32_e32 v3, 0xfffff, v84
	s_delay_alu instid0(VALU_DEP_2) | instskip(NEXT) | instid1(VALU_DEP_2)
	v_add_nc_u32_e32 v84, 6, v30
	v_add_nc_u32_e32 v36, v3, v82
                                        ; implicit-def: $vgpr82_vgpr83
                                        ; implicit-def: $vgpr3
	s_delay_alu instid0(VALU_DEP_2)
	v_cmpx_ne_u32_e32 0, v84
	s_xor_b32 s10, exec_lo, s10
; %bb.5809:                             ;   in Loop: Header=BB4_5789 Depth=2
	s_delay_alu instid0(VALU_DEP_2) | instskip(SKIP_2) | instid1(VALU_DEP_2)
	v_cmp_lt_u64_e32 vcc_lo, 0xffffff, v[36:37]
	v_add_nc_u32_e32 v3, 7, v30
	v_cndmask_b32_e64 v20, 0, 1, vcc_lo
	v_cndmask_b32_e32 v3, v84, v3, vcc_lo
	s_delay_alu instid0(VALU_DEP_2)
	v_lshrrev_b64 v[82:83], v20, v[36:37]
; %bb.5810:                             ;   in Loop: Header=BB4_5789 Depth=2
	s_and_not1_saveexec_b32 s10, s10
; %bb.5811:                             ;   in Loop: Header=BB4_5789 Depth=2
	v_mov_b64_e32 v[82:83], v[36:37]
	v_bfe_u32 v3, v36, 23, 1
; %bb.5812:                             ;   in Loop: Header=BB4_5789 Depth=2
	s_or_b32 exec_lo, exec_lo, s10
	s_delay_alu instid0(VALU_DEP_2) | instskip(NEXT) | instid1(VALU_DEP_2)
	v_lshrrev_b64 v[20:21], 20, v[82:83]
	v_cmp_gt_i32_e32 vcc_lo, 16, v3
	v_min_i32_e32 v30, 15, v3
	v_cmp_eq_u32_e64 s10, 0, v3
	s_delay_alu instid0(VALU_DEP_2) | instskip(SKIP_1) | instid1(VALU_DEP_2)
	v_dual_cndmask_b32 v21, 0, v21 :: v_dual_lshlrev_b32 v30, 3, v30
	v_cndmask_b32_e32 v20, 7, v20, vcc_lo
	v_and_b32_e32 v30, 0xf8, v30
	s_delay_alu instid0(VALU_DEP_2) | instskip(NEXT) | instid1(VALU_DEP_2)
	v_cmp_eq_u64_e32 vcc_lo, 0, v[20:21]
	v_and_or_b32 v3, v20, 7, v30
	s_and_b32 s10, s10, vcc_lo
	s_delay_alu instid0(VALU_DEP_1) | instid1(SALU_CYCLE_1)
	v_cndmask_b32_e64 v3, v3, 0, s10
	s_delay_alu instid0(VALU_DEP_1)
	v_or_b32_e32 v30, v3, v2
.LBB4_5813:                             ;   in Loop: Header=BB4_5789 Depth=2
	s_or_b32 exec_lo, exec_lo, s43
                                        ; implicit-def: $vgpr2
.LBB4_5814:                             ;   in Loop: Header=BB4_5789 Depth=2
	s_and_not1_saveexec_b32 s10, s42
; %bb.5815:                             ;   in Loop: Header=BB4_5789 Depth=2
	v_or_b32_e32 v30, 0x7e, v2
; %bb.5816:                             ;   in Loop: Header=BB4_5789 Depth=2
	s_or_b32 exec_lo, exec_lo, s10
                                        ; implicit-def: $vgpr2
.LBB4_5817:                             ;   in Loop: Header=BB4_5789 Depth=2
	s_and_not1_saveexec_b32 s10, s41
; %bb.5818:                             ;   in Loop: Header=BB4_5789 Depth=2
	v_or_b32_e32 v30, 0x7f, v2
; %bb.5819:                             ;   in Loop: Header=BB4_5789 Depth=2
	s_or_b32 exec_lo, exec_lo, s10
	v_lshrrev_b16 v3, 8, v10
	v_mov_b32_e32 v2, 0
	s_mov_b32 s10, exec_lo
	s_delay_alu instid0(VALU_DEP_2)
	v_cmpx_ne_u16_e32 0, v3
	s_cbranch_execz .LBB4_5827
; %bb.5820:                             ;   in Loop: Header=BB4_5789 Depth=2
	v_bfrev_b32_e32 v2, 1
	s_mov_b32 s41, exec_lo
	v_cmpx_ne_u16_e32 0x80, v3
	s_cbranch_execz .LBB4_5826
; %bb.5821:                             ;   in Loop: Header=BB4_5789 Depth=2
	v_and_b32_e32 v36, 0xffff, v3
	v_mov_b32_e32 v2, 0x7f800001
	s_mov_b32 s42, exec_lo
	s_delay_alu instid0(VALU_DEP_2) | instskip(NEXT) | instid1(VALU_DEP_1)
	v_and_b32_e32 v3, 0x7f, v36
	v_cmpx_ne_u32_e32 0x7f, v3
	s_cbranch_execz .LBB4_5825
; %bb.5822:                             ;   in Loop: Header=BB4_5789 Depth=2
	v_dual_lshrrev_b32 v2, 3, v3 :: v_dual_bitop2_b32 v36, 7, v36 bitop3:0x40
	s_mov_b32 s43, exec_lo
	v_cmpx_gt_u32_e32 8, v3
; %bb.5823:                             ;   in Loop: Header=BB4_5789 Depth=2
	s_delay_alu instid0(VALU_DEP_2) | instskip(NEXT) | instid1(VALU_DEP_1)
	v_clz_i32_u32_e32 v2, v36
	v_min_u32_e32 v2, 32, v2
	s_delay_alu instid0(VALU_DEP_1) | instskip(NEXT) | instid1(VALU_DEP_1)
	v_subrev_nc_u32_e32 v3, 28, v2
	v_lshlrev_b64_e32 v[20:21], v3, v[36:37]
	s_delay_alu instid0(VALU_DEP_1)
	v_dual_sub_nc_u32 v2, 29, v2 :: v_dual_bitop2_b32 v36, 7, v20 bitop3:0x40
; %bb.5824:                             ;   in Loop: Header=BB4_5789 Depth=2
	s_or_b32 exec_lo, exec_lo, s43
	s_delay_alu instid0(VALU_DEP_1) | instskip(NEXT) | instid1(VALU_DEP_2)
	v_dual_lshlrev_b32 v3, 16, v10 :: v_dual_lshlrev_b32 v20, 20, v36
	v_lshl_add_u32 v2, v2, 23, 0x3c000000
	s_delay_alu instid0(VALU_DEP_2) | instskip(NEXT) | instid1(VALU_DEP_1)
	v_and_b32_e32 v3, 0x80000000, v3
	v_or3_b32 v2, v20, v3, v2
.LBB4_5825:                             ;   in Loop: Header=BB4_5789 Depth=2
	s_or_b32 exec_lo, exec_lo, s42
.LBB4_5826:                             ;   in Loop: Header=BB4_5789 Depth=2
	s_delay_alu instid0(SALU_CYCLE_1)
	s_or_b32 exec_lo, exec_lo, s41
.LBB4_5827:                             ;   in Loop: Header=BB4_5789 Depth=2
	s_delay_alu instid0(SALU_CYCLE_1) | instskip(NEXT) | instid1(VALU_DEP_1)
	s_or_b32 exec_lo, exec_lo, s10
	v_mul_f32_e32 v3, s11, v2
                                        ; implicit-def: $vgpr115
	s_mov_b32 s10, exec_lo
	s_delay_alu instid0(VALU_DEP_1) | instskip(SKIP_1) | instid1(VALU_DEP_2)
	v_and_b32_e32 v36, 0x7f800000, v3
	v_lshrrev_b32_e32 v2, 24, v3
	v_cmpx_ne_u64_e32 0x7f800000, v[36:37]
	s_xor_b32 s41, exec_lo, s10
	s_cbranch_execz .LBB4_5841
; %bb.5828:                             ;   in Loop: Header=BB4_5789 Depth=2
	v_and_b32_e32 v36, 0x7fffffff, v3
	v_and_b32_e32 v2, 0x80, v2
                                        ; implicit-def: $vgpr115
	s_mov_b32 s10, exec_lo
	s_delay_alu instid0(VALU_DEP_2)
	v_cmpx_gt_u64_e32 0x43e00001, v[36:37]
	s_xor_b32 s42, exec_lo, s10
	s_cbranch_execz .LBB4_5838
; %bb.5829:                             ;   in Loop: Header=BB4_5789 Depth=2
	v_mov_b32_e32 v115, 0
	s_mov_b32 s43, exec_lo
	v_cmpx_ne_u32_e32 0, v3
	s_cbranch_execz .LBB4_5837
; %bb.5830:                             ;   in Loop: Header=BB4_5789 Depth=2
	v_bfe_u32 v86, v3, 23, 8
	v_and_b32_e32 v3, 0x7fffff, v3
	s_delay_alu instid0(VALU_DEP_2) | instskip(SKIP_1) | instid1(VALU_DEP_3)
	v_sub_nc_u32_e32 v20, 0x79, v86
	v_cmp_gt_u32_e32 vcc_lo, 0x7a, v86
	v_or_b32_e32 v36, 0x800000, v3
	s_delay_alu instid0(VALU_DEP_3) | instskip(SKIP_1) | instid1(VALU_DEP_2)
	v_cndmask_b32_e32 v20, 0, v20, vcc_lo
	v_cmp_eq_u32_e32 vcc_lo, 0, v86
	v_cndmask_b32_e64 v87, v20, 0x78, vcc_lo
	s_delay_alu instid0(VALU_DEP_4) | instskip(NEXT) | instid1(VALU_DEP_2)
	v_cndmask_b32_e32 v36, v36, v3, vcc_lo
	v_dual_add_nc_u32 v20, 20, v87 :: v_dual_add_nc_u32 v82, 19, v87
	s_delay_alu instid0(VALU_DEP_1) | instskip(NEXT) | instid1(VALU_DEP_2)
	v_lshlrev_b64_e64 v[20:21], v20, -1
	v_lshlrev_b64_e64 v[84:85], v82, 1
	s_delay_alu instid0(VALU_DEP_4) | instskip(NEXT) | instid1(VALU_DEP_3)
	v_lshrrev_b64 v[82:83], v87, v[36:37]
	v_bfi_b32 v21, v21, 0, 0
	s_delay_alu instid0(VALU_DEP_4) | instskip(NEXT) | instid1(VALU_DEP_1)
	v_bfi_b32 v20, v20, 0, v36
	v_cmp_eq_u64_e64 s10, v[20:21], v[84:85]
	s_delay_alu instid0(VALU_DEP_4)
	v_mov_b64_e32 v[84:85], v[82:83]
	s_and_saveexec_b32 s44, s10
; %bb.5831:                             ;   in Loop: Header=BB4_5789 Depth=2
	v_bfe_u32 v36, v82, 20, 1
	s_delay_alu instid0(VALU_DEP_1) | instskip(NEXT) | instid1(VALU_DEP_1)
	v_add_nc_u64_e32 v[20:21], v[82:83], v[36:37]
	v_add_nc_u64_e32 v[84:85], -1, v[20:21]
; %bb.5832:                             ;   in Loop: Header=BB4_5789 Depth=2
	s_or_b32 exec_lo, exec_lo, s44
	v_add_nc_u32_e32 v3, 0xffffff81, v86
	v_lshrrev_b32_e32 v20, 23, v82
	s_mov_b32 s10, exec_lo
	s_delay_alu instid0(VALU_DEP_2) | instskip(NEXT) | instid1(VALU_DEP_1)
	v_cndmask_b32_e64 v3, v3, 0xffffff82, vcc_lo
	v_add3_u32 v85, v87, v3, v20
	v_and_b32_e32 v3, 0xfffff, v84
	s_delay_alu instid0(VALU_DEP_1) | instskip(NEXT) | instid1(VALU_DEP_1)
	v_dual_add_nc_u32 v84, 6, v85 :: v_dual_add_nc_u32 v36, v3, v82
                                        ; implicit-def: $vgpr82_vgpr83
                                        ; implicit-def: $vgpr3
	v_cmpx_ne_u32_e32 0, v84
	s_xor_b32 s10, exec_lo, s10
; %bb.5833:                             ;   in Loop: Header=BB4_5789 Depth=2
	s_delay_alu instid0(VALU_DEP_2) | instskip(SKIP_2) | instid1(VALU_DEP_2)
	v_cmp_lt_u64_e32 vcc_lo, 0xffffff, v[36:37]
	v_add_nc_u32_e32 v3, 7, v85
	v_cndmask_b32_e64 v20, 0, 1, vcc_lo
	v_cndmask_b32_e32 v3, v84, v3, vcc_lo
	s_delay_alu instid0(VALU_DEP_2)
	v_lshrrev_b64 v[82:83], v20, v[36:37]
; %bb.5834:                             ;   in Loop: Header=BB4_5789 Depth=2
	s_and_not1_saveexec_b32 s10, s10
; %bb.5835:                             ;   in Loop: Header=BB4_5789 Depth=2
	v_mov_b64_e32 v[82:83], v[36:37]
	v_bfe_u32 v3, v36, 23, 1
; %bb.5836:                             ;   in Loop: Header=BB4_5789 Depth=2
	s_or_b32 exec_lo, exec_lo, s10
	s_delay_alu instid0(VALU_DEP_2) | instskip(NEXT) | instid1(VALU_DEP_2)
	v_lshrrev_b64 v[20:21], 20, v[82:83]
	v_cmp_gt_i32_e32 vcc_lo, 16, v3
	v_min_i32_e32 v36, 15, v3
	v_cmp_eq_u32_e64 s10, 0, v3
	s_delay_alu instid0(VALU_DEP_2) | instskip(SKIP_1) | instid1(VALU_DEP_2)
	v_dual_cndmask_b32 v21, 0, v21 :: v_dual_lshlrev_b32 v36, 3, v36
	v_cndmask_b32_e32 v20, 7, v20, vcc_lo
	v_and_b32_e32 v36, 0xf8, v36
	s_delay_alu instid0(VALU_DEP_2) | instskip(NEXT) | instid1(VALU_DEP_2)
	v_cmp_eq_u64_e32 vcc_lo, 0, v[20:21]
	v_and_or_b32 v3, v20, 7, v36
	s_and_b32 s10, s10, vcc_lo
	s_delay_alu instid0(VALU_DEP_1) | instid1(SALU_CYCLE_1)
	v_cndmask_b32_e64 v3, v3, 0, s10
	s_delay_alu instid0(VALU_DEP_1)
	v_or_b32_e32 v115, v3, v2
.LBB4_5837:                             ;   in Loop: Header=BB4_5789 Depth=2
	s_or_b32 exec_lo, exec_lo, s43
                                        ; implicit-def: $vgpr2
.LBB4_5838:                             ;   in Loop: Header=BB4_5789 Depth=2
	s_and_not1_saveexec_b32 s10, s42
; %bb.5839:                             ;   in Loop: Header=BB4_5789 Depth=2
	v_or_b32_e32 v115, 0x7e, v2
; %bb.5840:                             ;   in Loop: Header=BB4_5789 Depth=2
	s_or_b32 exec_lo, exec_lo, s10
                                        ; implicit-def: $vgpr2
.LBB4_5841:                             ;   in Loop: Header=BB4_5789 Depth=2
	s_and_not1_saveexec_b32 s10, s41
; %bb.5842:                             ;   in Loop: Header=BB4_5789 Depth=2
	v_or_b32_e32 v115, 0x7f, v2
; %bb.5843:                             ;   in Loop: Header=BB4_5789 Depth=2
	s_or_b32 exec_lo, exec_lo, s10
	v_dual_mov_b32 v3, 0 :: v_dual_lshrrev_b32 v2, 16, v10
	s_mov_b32 s10, exec_lo
	s_delay_alu instid0(VALU_DEP_1) | instskip(NEXT) | instid1(VALU_DEP_1)
	v_and_b32_e32 v36, 0xff, v2
	v_cmpx_ne_u16_e32 0, v36
	s_cbranch_execz .LBB4_5851
; %bb.5844:                             ;   in Loop: Header=BB4_5789 Depth=2
	v_bfrev_b32_e32 v3, 1
	s_mov_b32 s41, exec_lo
	v_cmpx_ne_u16_e32 0x80, v36
	s_cbranch_execz .LBB4_5850
; %bb.5845:                             ;   in Loop: Header=BB4_5789 Depth=2
	v_bfe_u32 v82, v10, 16, 7
	v_mov_b32_e32 v3, 0x7f800001
	s_mov_b32 s42, exec_lo
	s_delay_alu instid0(VALU_DEP_2)
	v_cmpx_ne_u32_e32 0x7f, v82
	s_cbranch_execz .LBB4_5849
; %bb.5846:                             ;   in Loop: Header=BB4_5789 Depth=2
	v_and_b32_e32 v36, 7, v2
	v_lshrrev_b32_e32 v3, 3, v82
	s_mov_b32 s43, exec_lo
	v_cmpx_gt_u32_e32 8, v82
; %bb.5847:                             ;   in Loop: Header=BB4_5789 Depth=2
	s_delay_alu instid0(VALU_DEP_3) | instskip(NEXT) | instid1(VALU_DEP_1)
	v_clz_i32_u32_e32 v3, v36
	v_min_u32_e32 v3, 32, v3
	s_delay_alu instid0(VALU_DEP_1) | instskip(NEXT) | instid1(VALU_DEP_1)
	v_subrev_nc_u32_e32 v20, 28, v3
	v_lshlrev_b64_e32 v[20:21], v20, v[36:37]
	s_delay_alu instid0(VALU_DEP_1)
	v_dual_sub_nc_u32 v3, 29, v3 :: v_dual_bitop2_b32 v36, 7, v20 bitop3:0x40
; %bb.5848:                             ;   in Loop: Header=BB4_5789 Depth=2
	s_or_b32 exec_lo, exec_lo, s43
	s_delay_alu instid0(VALU_DEP_1) | instskip(NEXT) | instid1(VALU_DEP_2)
	v_dual_lshlrev_b32 v2, 24, v2 :: v_dual_lshlrev_b32 v20, 20, v36
	v_lshl_add_u32 v3, v3, 23, 0x3c000000
	s_delay_alu instid0(VALU_DEP_2) | instskip(NEXT) | instid1(VALU_DEP_1)
	v_and_b32_e32 v2, 0x80000000, v2
	v_or3_b32 v3, v20, v2, v3
.LBB4_5849:                             ;   in Loop: Header=BB4_5789 Depth=2
	s_or_b32 exec_lo, exec_lo, s42
.LBB4_5850:                             ;   in Loop: Header=BB4_5789 Depth=2
	s_delay_alu instid0(SALU_CYCLE_1)
	s_or_b32 exec_lo, exec_lo, s41
.LBB4_5851:                             ;   in Loop: Header=BB4_5789 Depth=2
	s_delay_alu instid0(SALU_CYCLE_1) | instskip(NEXT) | instid1(VALU_DEP_1)
	s_or_b32 exec_lo, exec_lo, s10
	v_mul_f32_e32 v3, s11, v3
                                        ; implicit-def: $vgpr117
	s_mov_b32 s10, exec_lo
	s_delay_alu instid0(VALU_DEP_1) | instskip(SKIP_1) | instid1(VALU_DEP_2)
	v_and_b32_e32 v36, 0x7f800000, v3
	v_lshrrev_b32_e32 v2, 24, v3
	v_cmpx_ne_u64_e32 0x7f800000, v[36:37]
	s_xor_b32 s41, exec_lo, s10
	s_cbranch_execz .LBB4_5865
; %bb.5852:                             ;   in Loop: Header=BB4_5789 Depth=2
	v_and_b32_e32 v36, 0x7fffffff, v3
	v_and_b32_e32 v2, 0x80, v2
                                        ; implicit-def: $vgpr117
	s_mov_b32 s10, exec_lo
	s_delay_alu instid0(VALU_DEP_2)
	v_cmpx_gt_u64_e32 0x43e00001, v[36:37]
	s_xor_b32 s42, exec_lo, s10
	s_cbranch_execz .LBB4_5862
; %bb.5853:                             ;   in Loop: Header=BB4_5789 Depth=2
	v_mov_b32_e32 v117, 0
	s_mov_b32 s43, exec_lo
	v_cmpx_ne_u32_e32 0, v3
	s_cbranch_execz .LBB4_5861
; %bb.5854:                             ;   in Loop: Header=BB4_5789 Depth=2
	v_bfe_u32 v86, v3, 23, 8
	v_and_b32_e32 v3, 0x7fffff, v3
	s_delay_alu instid0(VALU_DEP_2) | instskip(SKIP_1) | instid1(VALU_DEP_3)
	v_sub_nc_u32_e32 v20, 0x79, v86
	v_cmp_gt_u32_e32 vcc_lo, 0x7a, v86
	v_or_b32_e32 v36, 0x800000, v3
	s_delay_alu instid0(VALU_DEP_3) | instskip(SKIP_1) | instid1(VALU_DEP_2)
	v_cndmask_b32_e32 v20, 0, v20, vcc_lo
	v_cmp_eq_u32_e32 vcc_lo, 0, v86
	v_cndmask_b32_e64 v87, v20, 0x78, vcc_lo
	s_delay_alu instid0(VALU_DEP_4) | instskip(NEXT) | instid1(VALU_DEP_2)
	v_cndmask_b32_e32 v36, v36, v3, vcc_lo
	v_dual_add_nc_u32 v20, 20, v87 :: v_dual_add_nc_u32 v82, 19, v87
	s_delay_alu instid0(VALU_DEP_1) | instskip(NEXT) | instid1(VALU_DEP_2)
	v_lshlrev_b64_e64 v[20:21], v20, -1
	v_lshlrev_b64_e64 v[84:85], v82, 1
	s_delay_alu instid0(VALU_DEP_4) | instskip(NEXT) | instid1(VALU_DEP_3)
	v_lshrrev_b64 v[82:83], v87, v[36:37]
	v_bfi_b32 v21, v21, 0, 0
	s_delay_alu instid0(VALU_DEP_4) | instskip(NEXT) | instid1(VALU_DEP_1)
	v_bfi_b32 v20, v20, 0, v36
	v_cmp_eq_u64_e64 s10, v[20:21], v[84:85]
	s_delay_alu instid0(VALU_DEP_4)
	v_mov_b64_e32 v[84:85], v[82:83]
	s_and_saveexec_b32 s44, s10
; %bb.5855:                             ;   in Loop: Header=BB4_5789 Depth=2
	v_bfe_u32 v36, v82, 20, 1
	s_delay_alu instid0(VALU_DEP_1) | instskip(NEXT) | instid1(VALU_DEP_1)
	v_add_nc_u64_e32 v[20:21], v[82:83], v[36:37]
	v_add_nc_u64_e32 v[84:85], -1, v[20:21]
; %bb.5856:                             ;   in Loop: Header=BB4_5789 Depth=2
	s_or_b32 exec_lo, exec_lo, s44
	v_add_nc_u32_e32 v3, 0xffffff81, v86
	v_lshrrev_b32_e32 v20, 23, v82
	s_mov_b32 s10, exec_lo
	s_delay_alu instid0(VALU_DEP_2) | instskip(NEXT) | instid1(VALU_DEP_1)
	v_cndmask_b32_e64 v3, v3, 0xffffff82, vcc_lo
	v_add3_u32 v85, v87, v3, v20
	v_and_b32_e32 v3, 0xfffff, v84
	s_delay_alu instid0(VALU_DEP_1) | instskip(NEXT) | instid1(VALU_DEP_1)
	v_dual_add_nc_u32 v84, 6, v85 :: v_dual_add_nc_u32 v36, v3, v82
                                        ; implicit-def: $vgpr82_vgpr83
                                        ; implicit-def: $vgpr3
	v_cmpx_ne_u32_e32 0, v84
	s_xor_b32 s10, exec_lo, s10
; %bb.5857:                             ;   in Loop: Header=BB4_5789 Depth=2
	s_delay_alu instid0(VALU_DEP_2) | instskip(SKIP_2) | instid1(VALU_DEP_2)
	v_cmp_lt_u64_e32 vcc_lo, 0xffffff, v[36:37]
	v_add_nc_u32_e32 v3, 7, v85
	v_cndmask_b32_e64 v20, 0, 1, vcc_lo
	v_cndmask_b32_e32 v3, v84, v3, vcc_lo
	s_delay_alu instid0(VALU_DEP_2)
	v_lshrrev_b64 v[82:83], v20, v[36:37]
; %bb.5858:                             ;   in Loop: Header=BB4_5789 Depth=2
	s_and_not1_saveexec_b32 s10, s10
; %bb.5859:                             ;   in Loop: Header=BB4_5789 Depth=2
	v_mov_b64_e32 v[82:83], v[36:37]
	v_bfe_u32 v3, v36, 23, 1
; %bb.5860:                             ;   in Loop: Header=BB4_5789 Depth=2
	s_or_b32 exec_lo, exec_lo, s10
	s_delay_alu instid0(VALU_DEP_2) | instskip(NEXT) | instid1(VALU_DEP_2)
	v_lshrrev_b64 v[20:21], 20, v[82:83]
	v_cmp_gt_i32_e32 vcc_lo, 16, v3
	v_min_i32_e32 v36, 15, v3
	v_cmp_eq_u32_e64 s10, 0, v3
	s_delay_alu instid0(VALU_DEP_2) | instskip(SKIP_1) | instid1(VALU_DEP_2)
	v_dual_cndmask_b32 v21, 0, v21 :: v_dual_lshlrev_b32 v36, 3, v36
	v_cndmask_b32_e32 v20, 7, v20, vcc_lo
	v_and_b32_e32 v36, 0xf8, v36
	s_delay_alu instid0(VALU_DEP_2) | instskip(NEXT) | instid1(VALU_DEP_2)
	v_cmp_eq_u64_e32 vcc_lo, 0, v[20:21]
	v_and_or_b32 v3, v20, 7, v36
	s_and_b32 s10, s10, vcc_lo
	s_delay_alu instid0(VALU_DEP_1) | instid1(SALU_CYCLE_1)
	v_cndmask_b32_e64 v3, v3, 0, s10
	s_delay_alu instid0(VALU_DEP_1)
	v_or_b32_e32 v117, v3, v2
.LBB4_5861:                             ;   in Loop: Header=BB4_5789 Depth=2
	s_or_b32 exec_lo, exec_lo, s43
                                        ; implicit-def: $vgpr2
.LBB4_5862:                             ;   in Loop: Header=BB4_5789 Depth=2
	s_and_not1_saveexec_b32 s10, s42
; %bb.5863:                             ;   in Loop: Header=BB4_5789 Depth=2
	v_or_b32_e32 v117, 0x7e, v2
; %bb.5864:                             ;   in Loop: Header=BB4_5789 Depth=2
	s_or_b32 exec_lo, exec_lo, s10
                                        ; implicit-def: $vgpr2
.LBB4_5865:                             ;   in Loop: Header=BB4_5789 Depth=2
	s_and_not1_saveexec_b32 s10, s41
; %bb.5866:                             ;   in Loop: Header=BB4_5789 Depth=2
	v_or_b32_e32 v117, 0x7f, v2
; %bb.5867:                             ;   in Loop: Header=BB4_5789 Depth=2
	s_or_b32 exec_lo, exec_lo, s10
	v_mov_b32_e32 v3, 0
	s_mov_b32 s10, exec_lo
	v_cmpx_lt_u32_e32 0xffffff, v10
	s_cbranch_execz .LBB4_5875
; %bb.5868:                             ;   in Loop: Header=BB4_5789 Depth=2
	v_lshrrev_b32_e32 v2, 24, v10
	v_bfrev_b32_e32 v3, 1
	s_mov_b32 s41, exec_lo
	s_delay_alu instid0(VALU_DEP_2)
	v_cmpx_ne_u32_e32 0x80, v2
	s_cbranch_execz .LBB4_5874
; %bb.5869:                             ;   in Loop: Header=BB4_5789 Depth=2
	v_bfe_u32 v82, v10, 24, 7
	v_mov_b32_e32 v3, 0x7f800001
	s_mov_b32 s42, exec_lo
	s_delay_alu instid0(VALU_DEP_2)
	v_cmpx_ne_u32_e32 0x7f, v82
	s_cbranch_execz .LBB4_5873
; %bb.5870:                             ;   in Loop: Header=BB4_5789 Depth=2
	v_and_b32_e32 v36, 7, v2
	v_lshrrev_b32_e32 v3, 3, v82
	s_mov_b32 s43, exec_lo
	v_cmpx_gt_u32_e32 8, v82
; %bb.5871:                             ;   in Loop: Header=BB4_5789 Depth=2
	s_delay_alu instid0(VALU_DEP_3) | instskip(NEXT) | instid1(VALU_DEP_1)
	v_clz_i32_u32_e32 v3, v36
	v_min_u32_e32 v3, 32, v3
	s_delay_alu instid0(VALU_DEP_1) | instskip(NEXT) | instid1(VALU_DEP_1)
	v_subrev_nc_u32_e32 v20, 28, v3
	v_lshlrev_b64_e32 v[20:21], v20, v[36:37]
	s_delay_alu instid0(VALU_DEP_1)
	v_dual_sub_nc_u32 v3, 29, v3 :: v_dual_bitop2_b32 v36, 7, v20 bitop3:0x40
; %bb.5872:                             ;   in Loop: Header=BB4_5789 Depth=2
	s_or_b32 exec_lo, exec_lo, s43
	s_delay_alu instid0(VALU_DEP_1) | instskip(NEXT) | instid1(VALU_DEP_2)
	v_dual_lshlrev_b32 v2, 24, v2 :: v_dual_lshlrev_b32 v20, 20, v36
	v_lshl_add_u32 v3, v3, 23, 0x3c000000
	s_delay_alu instid0(VALU_DEP_2) | instskip(NEXT) | instid1(VALU_DEP_1)
	v_and_b32_e32 v2, 0x80000000, v2
	v_or3_b32 v3, v20, v2, v3
.LBB4_5873:                             ;   in Loop: Header=BB4_5789 Depth=2
	s_or_b32 exec_lo, exec_lo, s42
.LBB4_5874:                             ;   in Loop: Header=BB4_5789 Depth=2
	s_delay_alu instid0(SALU_CYCLE_1)
	s_or_b32 exec_lo, exec_lo, s41
.LBB4_5875:                             ;   in Loop: Header=BB4_5789 Depth=2
	s_delay_alu instid0(SALU_CYCLE_1) | instskip(NEXT) | instid1(VALU_DEP_1)
	s_or_b32 exec_lo, exec_lo, s10
	v_mul_f32_e32 v3, s11, v3
                                        ; implicit-def: $vgpr40
	s_mov_b32 s10, exec_lo
	s_delay_alu instid0(VALU_DEP_1) | instskip(SKIP_1) | instid1(VALU_DEP_2)
	v_and_b32_e32 v36, 0x7f800000, v3
	v_lshrrev_b32_e32 v2, 24, v3
	v_cmpx_ne_u64_e32 0x7f800000, v[36:37]
	s_xor_b32 s41, exec_lo, s10
	s_cbranch_execz .LBB4_5889
; %bb.5876:                             ;   in Loop: Header=BB4_5789 Depth=2
	v_and_b32_e32 v36, 0x7fffffff, v3
	v_and_b32_e32 v2, 0x80, v2
                                        ; implicit-def: $vgpr40
	s_mov_b32 s10, exec_lo
	s_delay_alu instid0(VALU_DEP_2)
	v_cmpx_gt_u64_e32 0x43e00001, v[36:37]
	s_xor_b32 s42, exec_lo, s10
	s_cbranch_execz .LBB4_5886
; %bb.5877:                             ;   in Loop: Header=BB4_5789 Depth=2
	v_mov_b32_e32 v40, 0
	s_mov_b32 s43, exec_lo
	v_cmpx_ne_u32_e32 0, v3
	s_cbranch_execz .LBB4_5885
; %bb.5878:                             ;   in Loop: Header=BB4_5789 Depth=2
	v_bfe_u32 v86, v3, 23, 8
	v_and_b32_e32 v3, 0x7fffff, v3
	s_delay_alu instid0(VALU_DEP_2) | instskip(SKIP_1) | instid1(VALU_DEP_3)
	v_sub_nc_u32_e32 v20, 0x79, v86
	v_cmp_gt_u32_e32 vcc_lo, 0x7a, v86
	v_or_b32_e32 v36, 0x800000, v3
	s_delay_alu instid0(VALU_DEP_3) | instskip(SKIP_1) | instid1(VALU_DEP_2)
	v_cndmask_b32_e32 v20, 0, v20, vcc_lo
	v_cmp_eq_u32_e32 vcc_lo, 0, v86
	v_cndmask_b32_e64 v87, v20, 0x78, vcc_lo
	s_delay_alu instid0(VALU_DEP_4) | instskip(NEXT) | instid1(VALU_DEP_2)
	v_cndmask_b32_e32 v36, v36, v3, vcc_lo
	v_dual_add_nc_u32 v20, 20, v87 :: v_dual_add_nc_u32 v82, 19, v87
	s_delay_alu instid0(VALU_DEP_1) | instskip(NEXT) | instid1(VALU_DEP_2)
	v_lshlrev_b64_e64 v[20:21], v20, -1
	v_lshlrev_b64_e64 v[84:85], v82, 1
	s_delay_alu instid0(VALU_DEP_4) | instskip(NEXT) | instid1(VALU_DEP_3)
	v_lshrrev_b64 v[82:83], v87, v[36:37]
	v_bfi_b32 v21, v21, 0, 0
	s_delay_alu instid0(VALU_DEP_4) | instskip(NEXT) | instid1(VALU_DEP_1)
	v_bfi_b32 v20, v20, 0, v36
	v_cmp_eq_u64_e64 s10, v[20:21], v[84:85]
	s_delay_alu instid0(VALU_DEP_4)
	v_mov_b64_e32 v[84:85], v[82:83]
	s_and_saveexec_b32 s44, s10
; %bb.5879:                             ;   in Loop: Header=BB4_5789 Depth=2
	v_bfe_u32 v36, v82, 20, 1
	s_delay_alu instid0(VALU_DEP_1) | instskip(NEXT) | instid1(VALU_DEP_1)
	v_add_nc_u64_e32 v[20:21], v[82:83], v[36:37]
	v_add_nc_u64_e32 v[84:85], -1, v[20:21]
; %bb.5880:                             ;   in Loop: Header=BB4_5789 Depth=2
	s_or_b32 exec_lo, exec_lo, s44
	v_add_nc_u32_e32 v3, 0xffffff81, v86
	v_lshrrev_b32_e32 v20, 23, v82
	s_mov_b32 s10, exec_lo
	s_delay_alu instid0(VALU_DEP_2) | instskip(NEXT) | instid1(VALU_DEP_1)
	v_cndmask_b32_e64 v3, v3, 0xffffff82, vcc_lo
	v_add3_u32 v85, v87, v3, v20
	v_and_b32_e32 v3, 0xfffff, v84
	s_delay_alu instid0(VALU_DEP_1) | instskip(NEXT) | instid1(VALU_DEP_1)
	v_dual_add_nc_u32 v84, 6, v85 :: v_dual_add_nc_u32 v36, v3, v82
                                        ; implicit-def: $vgpr82_vgpr83
                                        ; implicit-def: $vgpr3
	v_cmpx_ne_u32_e32 0, v84
	s_xor_b32 s10, exec_lo, s10
; %bb.5881:                             ;   in Loop: Header=BB4_5789 Depth=2
	s_delay_alu instid0(VALU_DEP_2) | instskip(SKIP_2) | instid1(VALU_DEP_2)
	v_cmp_lt_u64_e32 vcc_lo, 0xffffff, v[36:37]
	v_add_nc_u32_e32 v3, 7, v85
	v_cndmask_b32_e64 v20, 0, 1, vcc_lo
	v_cndmask_b32_e32 v3, v84, v3, vcc_lo
	s_delay_alu instid0(VALU_DEP_2)
	v_lshrrev_b64 v[82:83], v20, v[36:37]
; %bb.5882:                             ;   in Loop: Header=BB4_5789 Depth=2
	s_and_not1_saveexec_b32 s10, s10
; %bb.5883:                             ;   in Loop: Header=BB4_5789 Depth=2
	v_mov_b64_e32 v[82:83], v[36:37]
	v_bfe_u32 v3, v36, 23, 1
; %bb.5884:                             ;   in Loop: Header=BB4_5789 Depth=2
	s_or_b32 exec_lo, exec_lo, s10
	s_delay_alu instid0(VALU_DEP_2) | instskip(NEXT) | instid1(VALU_DEP_2)
	v_lshrrev_b64 v[20:21], 20, v[82:83]
	v_cmp_gt_i32_e32 vcc_lo, 16, v3
	v_min_i32_e32 v36, 15, v3
	v_cmp_eq_u32_e64 s10, 0, v3
	s_delay_alu instid0(VALU_DEP_2) | instskip(SKIP_1) | instid1(VALU_DEP_2)
	v_dual_cndmask_b32 v21, 0, v21 :: v_dual_lshlrev_b32 v36, 3, v36
	v_cndmask_b32_e32 v20, 7, v20, vcc_lo
	v_and_b32_e32 v36, 0xf8, v36
	s_delay_alu instid0(VALU_DEP_2) | instskip(NEXT) | instid1(VALU_DEP_2)
	v_cmp_eq_u64_e32 vcc_lo, 0, v[20:21]
	v_and_or_b32 v3, v20, 7, v36
	s_and_b32 s10, s10, vcc_lo
	s_delay_alu instid0(VALU_DEP_1) | instid1(SALU_CYCLE_1)
	v_cndmask_b32_e64 v3, v3, 0, s10
	s_delay_alu instid0(VALU_DEP_1)
	v_or_b32_e32 v40, v3, v2
.LBB4_5885:                             ;   in Loop: Header=BB4_5789 Depth=2
	s_or_b32 exec_lo, exec_lo, s43
                                        ; implicit-def: $vgpr2
.LBB4_5886:                             ;   in Loop: Header=BB4_5789 Depth=2
	s_and_not1_saveexec_b32 s10, s42
; %bb.5887:                             ;   in Loop: Header=BB4_5789 Depth=2
	v_or_b32_e32 v40, 0x7e, v2
; %bb.5888:                             ;   in Loop: Header=BB4_5789 Depth=2
	s_or_b32 exec_lo, exec_lo, s10
                                        ; implicit-def: $vgpr2
.LBB4_5889:                             ;   in Loop: Header=BB4_5789 Depth=2
	s_and_not1_saveexec_b32 s10, s41
; %bb.5890:                             ;   in Loop: Header=BB4_5789 Depth=2
	v_or_b32_e32 v40, 0x7f, v2
; %bb.5891:                             ;   in Loop: Header=BB4_5789 Depth=2
	s_or_b32 exec_lo, exec_lo, s10
	v_and_b32_e32 v3, 0xff, v11
	v_dual_mov_b32 v36, v11 :: v_dual_mov_b32 v2, 0
	s_mov_b32 s10, exec_lo
	s_delay_alu instid0(VALU_DEP_2)
	v_cmpx_ne_u16_e32 0, v3
	s_cbranch_execz .LBB4_5897
; %bb.5892:                             ;   in Loop: Header=BB4_5789 Depth=2
	v_bfrev_b32_e32 v2, 1
	s_mov_b32 s41, exec_lo
	v_cmpx_ne_u16_e32 0x80, v3
	s_cbranch_execz .LBB4_5896
; %bb.5893:                             ;   in Loop: Header=BB4_5789 Depth=2
	v_and_b32_e32 v3, 0x7f, v11
	v_mov_b32_e32 v2, 0x7f800001
	s_mov_b32 s42, exec_lo
	s_delay_alu instid0(VALU_DEP_2)
	v_cmpx_ne_u32_e32 0x7f, v3
	s_cbranch_execz .LBB4_5895
; %bb.5894:                             ;   in Loop: Header=BB4_5789 Depth=2
	v_and_b32_e32 v2, 7, v11
	v_cmp_gt_u32_e32 vcc_lo, 8, v3
	s_delay_alu instid0(VALU_DEP_2) | instskip(NEXT) | instid1(VALU_DEP_1)
	v_clz_i32_u32_e32 v2, v2
	v_min_u32_e32 v2, 32, v2
	v_lshrrev_b32_e32 v20, 3, v3
	s_delay_alu instid0(VALU_DEP_2) | instskip(SKIP_1) | instid1(VALU_DEP_1)
	v_subrev_nc_u32_e32 v21, 28, v2
	v_sub_nc_u32_e32 v2, 29, v2
	v_dual_cndmask_b32 v20, v20, v2, vcc_lo :: v_dual_cndmask_b32 v2, 0, v21, vcc_lo
	s_delay_alu instid0(VALU_DEP_1) | instskip(NEXT) | instid1(VALU_DEP_2)
	v_lshl_add_u32 v20, v20, 23, 0x3c000000
	v_lshlrev_b64_e32 v[2:3], v2, v[36:37]
	v_lshlrev_b32_e32 v3, 24, v36
	s_delay_alu instid0(VALU_DEP_1) | instskip(NEXT) | instid1(VALU_DEP_3)
	v_and_b32_e32 v3, 0x80000000, v3
	v_lshlrev_b32_e32 v2, 20, v2
	s_delay_alu instid0(VALU_DEP_1) | instskip(NEXT) | instid1(VALU_DEP_1)
	v_and_b32_e32 v2, 0x700000, v2
	v_or3_b32 v2, v2, v3, v20
.LBB4_5895:                             ;   in Loop: Header=BB4_5789 Depth=2
	s_or_b32 exec_lo, exec_lo, s42
.LBB4_5896:                             ;   in Loop: Header=BB4_5789 Depth=2
	s_delay_alu instid0(SALU_CYCLE_1)
	s_or_b32 exec_lo, exec_lo, s41
.LBB4_5897:                             ;   in Loop: Header=BB4_5789 Depth=2
	s_delay_alu instid0(SALU_CYCLE_1) | instskip(NEXT) | instid1(VALU_DEP_1)
	s_or_b32 exec_lo, exec_lo, s10
	v_dual_mul_f32 v3, s11, v2 :: v_dual_mov_b32 v21, v37
                                        ; implicit-def: $vgpr86
	s_mov_b32 s10, exec_lo
	s_delay_alu instid0(VALU_DEP_1) | instskip(SKIP_1) | instid1(VALU_DEP_2)
	v_and_b32_e32 v20, 0x7f800000, v3
	v_lshrrev_b32_e32 v2, 24, v3
	v_cmpx_ne_u64_e32 0x7f800000, v[20:21]
	s_xor_b32 s41, exec_lo, s10
	s_cbranch_execz .LBB4_5911
; %bb.5898:                             ;   in Loop: Header=BB4_5789 Depth=2
	v_and_b32_e32 v20, 0x7fffffff, v3
	v_mov_b32_e32 v21, v37
	v_and_b32_e32 v2, 0x80, v2
                                        ; implicit-def: $vgpr86
	s_mov_b32 s10, exec_lo
	s_delay_alu instid0(VALU_DEP_2)
	v_cmpx_gt_u64_e32 0x43e00001, v[20:21]
	s_xor_b32 s42, exec_lo, s10
	s_cbranch_execz .LBB4_5908
; %bb.5899:                             ;   in Loop: Header=BB4_5789 Depth=2
	v_mov_b32_e32 v86, 0
	s_mov_b32 s43, exec_lo
	v_cmpx_ne_u32_e32 0, v3
	s_cbranch_execz .LBB4_5907
; %bb.5900:                             ;   in Loop: Header=BB4_5789 Depth=2
	v_bfe_u32 v86, v3, 23, 8
	v_and_b32_e32 v3, 0x7fffff, v3
	s_delay_alu instid0(VALU_DEP_2) | instskip(SKIP_1) | instid1(VALU_DEP_3)
	v_dual_mov_b32 v83, v37 :: v_dual_sub_nc_u32 v20, 0x79, v86
	v_cmp_gt_u32_e32 vcc_lo, 0x7a, v86
	v_or_b32_e32 v82, 0x800000, v3
	s_delay_alu instid0(VALU_DEP_3) | instskip(SKIP_1) | instid1(VALU_DEP_2)
	v_cndmask_b32_e32 v20, 0, v20, vcc_lo
	v_cmp_eq_u32_e32 vcc_lo, 0, v86
	v_cndmask_b32_e64 v87, v20, 0x78, vcc_lo
	s_delay_alu instid0(VALU_DEP_4) | instskip(NEXT) | instid1(VALU_DEP_2)
	v_cndmask_b32_e32 v82, v82, v3, vcc_lo
	v_dual_add_nc_u32 v20, 20, v87 :: v_dual_add_nc_u32 v84, 19, v87
	s_delay_alu instid0(VALU_DEP_1) | instskip(NEXT) | instid1(VALU_DEP_2)
	v_lshlrev_b64_e64 v[20:21], v20, -1
	v_lshlrev_b64_e64 v[84:85], v84, 1
	s_delay_alu instid0(VALU_DEP_2) | instskip(SKIP_1) | instid1(VALU_DEP_4)
	v_bfi_b32 v20, v20, 0, v82
	v_lshrrev_b64 v[82:83], v87, v[82:83]
	v_bfi_b32 v21, v21, 0, 0
	s_delay_alu instid0(VALU_DEP_1) | instskip(NEXT) | instid1(VALU_DEP_3)
	v_cmp_eq_u64_e64 s10, v[20:21], v[84:85]
	v_mov_b64_e32 v[84:85], v[82:83]
	s_and_saveexec_b32 s44, s10
; %bb.5901:                             ;   in Loop: Header=BB4_5789 Depth=2
	v_bfe_u32 v20, v82, 20, 1
	v_mov_b32_e32 v21, v37
	s_delay_alu instid0(VALU_DEP_1) | instskip(NEXT) | instid1(VALU_DEP_1)
	v_add_nc_u64_e32 v[20:21], v[82:83], v[20:21]
	v_add_nc_u64_e32 v[84:85], -1, v[20:21]
; %bb.5902:                             ;   in Loop: Header=BB4_5789 Depth=2
	s_or_b32 exec_lo, exec_lo, s44
	v_add_nc_u32_e32 v3, 0xffffff81, v86
	v_lshrrev_b32_e32 v20, 23, v82
	s_mov_b32 s10, exec_lo
	v_mov_b32_e32 v83, v37
	s_delay_alu instid0(VALU_DEP_3) | instskip(NEXT) | instid1(VALU_DEP_1)
	v_cndmask_b32_e64 v3, v3, 0xffffff82, vcc_lo
	v_add3_u32 v85, v87, v3, v20
	v_and_b32_e32 v3, 0xfffff, v84
	s_delay_alu instid0(VALU_DEP_1) | instskip(NEXT) | instid1(VALU_DEP_1)
	v_dual_add_nc_u32 v84, 6, v85 :: v_dual_add_nc_u32 v82, v3, v82
                                        ; implicit-def: $vgpr3
	v_cmpx_ne_u32_e32 0, v84
	s_xor_b32 s10, exec_lo, s10
; %bb.5903:                             ;   in Loop: Header=BB4_5789 Depth=2
	s_delay_alu instid0(VALU_DEP_2) | instskip(SKIP_2) | instid1(VALU_DEP_2)
	v_cmp_lt_u64_e32 vcc_lo, 0xffffff, v[82:83]
	v_add_nc_u32_e32 v3, 7, v85
	v_cndmask_b32_e64 v20, 0, 1, vcc_lo
	v_cndmask_b32_e32 v3, v84, v3, vcc_lo
	s_delay_alu instid0(VALU_DEP_2)
	v_lshrrev_b64 v[82:83], v20, v[82:83]
; %bb.5904:                             ;   in Loop: Header=BB4_5789 Depth=2
	s_and_not1_saveexec_b32 s10, s10
; %bb.5905:                             ;   in Loop: Header=BB4_5789 Depth=2
	s_delay_alu instid0(VALU_DEP_1)
	v_bfe_u32 v3, v82, 23, 1
; %bb.5906:                             ;   in Loop: Header=BB4_5789 Depth=2
	s_or_b32 exec_lo, exec_lo, s10
	s_delay_alu instid0(VALU_DEP_2) | instskip(NEXT) | instid1(VALU_DEP_2)
	v_lshrrev_b64 v[20:21], 20, v[82:83]
	v_cmp_gt_i32_e32 vcc_lo, 16, v3
	v_min_i32_e32 v82, 15, v3
	v_cmp_eq_u32_e64 s10, 0, v3
	s_delay_alu instid0(VALU_DEP_2) | instskip(SKIP_1) | instid1(VALU_DEP_2)
	v_dual_cndmask_b32 v21, 0, v21 :: v_dual_lshlrev_b32 v82, 3, v82
	v_cndmask_b32_e32 v20, 7, v20, vcc_lo
	v_and_b32_e32 v82, 0xf8, v82
	s_delay_alu instid0(VALU_DEP_2) | instskip(NEXT) | instid1(VALU_DEP_2)
	v_cmp_eq_u64_e32 vcc_lo, 0, v[20:21]
	v_and_or_b32 v3, v20, 7, v82
	s_and_b32 s10, s10, vcc_lo
	s_delay_alu instid0(VALU_DEP_1) | instid1(SALU_CYCLE_1)
	v_cndmask_b32_e64 v3, v3, 0, s10
	s_delay_alu instid0(VALU_DEP_1)
	v_or_b32_e32 v86, v3, v2
.LBB4_5907:                             ;   in Loop: Header=BB4_5789 Depth=2
	s_or_b32 exec_lo, exec_lo, s43
                                        ; implicit-def: $vgpr2
.LBB4_5908:                             ;   in Loop: Header=BB4_5789 Depth=2
	s_and_not1_saveexec_b32 s10, s42
; %bb.5909:                             ;   in Loop: Header=BB4_5789 Depth=2
	v_or_b32_e32 v86, 0x7e, v2
; %bb.5910:                             ;   in Loop: Header=BB4_5789 Depth=2
	s_or_b32 exec_lo, exec_lo, s10
                                        ; implicit-def: $vgpr2
.LBB4_5911:                             ;   in Loop: Header=BB4_5789 Depth=2
	s_and_not1_saveexec_b32 s10, s41
; %bb.5912:                             ;   in Loop: Header=BB4_5789 Depth=2
	v_or_b32_e32 v86, 0x7f, v2
; %bb.5913:                             ;   in Loop: Header=BB4_5789 Depth=2
	s_or_b32 exec_lo, exec_lo, s10
	v_lshrrev_b16 v3, 8, v36
	v_mov_b32_e32 v2, 0
	s_mov_b32 s10, exec_lo
	s_delay_alu instid0(VALU_DEP_2)
	v_cmpx_ne_u16_e32 0, v3
	s_cbranch_execz .LBB4_5921
; %bb.5914:                             ;   in Loop: Header=BB4_5789 Depth=2
	v_bfrev_b32_e32 v2, 1
	s_mov_b32 s41, exec_lo
	v_cmpx_ne_u16_e32 0x80, v3
	s_cbranch_execz .LBB4_5920
; %bb.5915:                             ;   in Loop: Header=BB4_5789 Depth=2
	v_and_b32_e32 v82, 0xffff, v3
	v_mov_b32_e32 v2, 0x7f800001
	s_mov_b32 s42, exec_lo
	s_delay_alu instid0(VALU_DEP_2) | instskip(NEXT) | instid1(VALU_DEP_1)
	v_and_b32_e32 v3, 0x7f, v82
	v_cmpx_ne_u32_e32 0x7f, v3
	s_cbranch_execz .LBB4_5919
; %bb.5916:                             ;   in Loop: Header=BB4_5789 Depth=2
	v_dual_mov_b32 v83, v37 :: v_dual_bitop2_b32 v82, 7, v82 bitop3:0x40
	v_lshrrev_b32_e32 v2, 3, v3
	s_mov_b32 s43, exec_lo
	v_cmpx_gt_u32_e32 8, v3
; %bb.5917:                             ;   in Loop: Header=BB4_5789 Depth=2
	s_delay_alu instid0(VALU_DEP_3) | instskip(NEXT) | instid1(VALU_DEP_1)
	v_clz_i32_u32_e32 v2, v82
	v_min_u32_e32 v2, 32, v2
	s_delay_alu instid0(VALU_DEP_1) | instskip(NEXT) | instid1(VALU_DEP_1)
	v_subrev_nc_u32_e32 v3, 28, v2
	v_lshlrev_b64_e32 v[20:21], v3, v[82:83]
	s_delay_alu instid0(VALU_DEP_1)
	v_dual_sub_nc_u32 v2, 29, v2 :: v_dual_bitop2_b32 v82, 7, v20 bitop3:0x40
; %bb.5918:                             ;   in Loop: Header=BB4_5789 Depth=2
	s_or_b32 exec_lo, exec_lo, s43
	s_delay_alu instid0(VALU_DEP_1) | instskip(NEXT) | instid1(VALU_DEP_2)
	v_dual_lshlrev_b32 v3, 16, v36 :: v_dual_lshlrev_b32 v20, 20, v82
	v_lshl_add_u32 v2, v2, 23, 0x3c000000
	s_delay_alu instid0(VALU_DEP_2) | instskip(NEXT) | instid1(VALU_DEP_1)
	v_and_b32_e32 v3, 0x80000000, v3
	v_or3_b32 v2, v20, v3, v2
.LBB4_5919:                             ;   in Loop: Header=BB4_5789 Depth=2
	s_or_b32 exec_lo, exec_lo, s42
.LBB4_5920:                             ;   in Loop: Header=BB4_5789 Depth=2
	s_delay_alu instid0(SALU_CYCLE_1)
	s_or_b32 exec_lo, exec_lo, s41
.LBB4_5921:                             ;   in Loop: Header=BB4_5789 Depth=2
	s_delay_alu instid0(SALU_CYCLE_1) | instskip(NEXT) | instid1(VALU_DEP_1)
	s_or_b32 exec_lo, exec_lo, s10
	v_mul_f32_e32 v3, s11, v2
                                        ; implicit-def: $vgpr87
	s_mov_b32 s10, exec_lo
	s_delay_alu instid0(VALU_DEP_1) | instskip(SKIP_1) | instid1(VALU_DEP_2)
	v_and_b32_e32 v36, 0x7f800000, v3
	v_lshrrev_b32_e32 v2, 24, v3
	v_cmpx_ne_u64_e32 0x7f800000, v[36:37]
	s_xor_b32 s41, exec_lo, s10
	s_cbranch_execz .LBB4_5935
; %bb.5922:                             ;   in Loop: Header=BB4_5789 Depth=2
	v_and_b32_e32 v36, 0x7fffffff, v3
	v_and_b32_e32 v2, 0x80, v2
                                        ; implicit-def: $vgpr87
	s_mov_b32 s10, exec_lo
	s_delay_alu instid0(VALU_DEP_2)
	v_cmpx_gt_u64_e32 0x43e00001, v[36:37]
	s_xor_b32 s42, exec_lo, s10
	s_cbranch_execz .LBB4_5932
; %bb.5923:                             ;   in Loop: Header=BB4_5789 Depth=2
	v_mov_b32_e32 v87, 0
	s_mov_b32 s43, exec_lo
	v_cmpx_ne_u32_e32 0, v3
	s_cbranch_execz .LBB4_5931
; %bb.5924:                             ;   in Loop: Header=BB4_5789 Depth=2
	v_bfe_u32 v87, v3, 23, 8
	v_and_b32_e32 v3, 0x7fffff, v3
	s_delay_alu instid0(VALU_DEP_2) | instskip(SKIP_1) | instid1(VALU_DEP_3)
	v_sub_nc_u32_e32 v20, 0x79, v87
	v_cmp_gt_u32_e32 vcc_lo, 0x7a, v87
	v_or_b32_e32 v36, 0x800000, v3
	s_delay_alu instid0(VALU_DEP_3) | instskip(SKIP_1) | instid1(VALU_DEP_2)
	v_cndmask_b32_e32 v20, 0, v20, vcc_lo
	v_cmp_eq_u32_e32 vcc_lo, 0, v87
	v_cndmask_b32_e64 v113, v20, 0x78, vcc_lo
	s_delay_alu instid0(VALU_DEP_1) | instskip(SKIP_1) | instid1(VALU_DEP_2)
	v_dual_cndmask_b32 v36, v36, v3, vcc_lo :: v_dual_add_nc_u32 v20, 20, v113
	v_add_nc_u32_e32 v82, 19, v113
	v_lshlrev_b64_e64 v[20:21], v20, -1
	s_delay_alu instid0(VALU_DEP_2) | instskip(NEXT) | instid1(VALU_DEP_4)
	v_lshlrev_b64_e64 v[84:85], v82, 1
	v_lshrrev_b64 v[82:83], v113, v[36:37]
	s_delay_alu instid0(VALU_DEP_3) | instskip(NEXT) | instid1(VALU_DEP_4)
	v_bfi_b32 v21, v21, 0, 0
	v_bfi_b32 v20, v20, 0, v36
	s_delay_alu instid0(VALU_DEP_1) | instskip(NEXT) | instid1(VALU_DEP_4)
	v_cmp_eq_u64_e64 s10, v[20:21], v[84:85]
	v_mov_b64_e32 v[84:85], v[82:83]
	s_and_saveexec_b32 s44, s10
; %bb.5925:                             ;   in Loop: Header=BB4_5789 Depth=2
	v_bfe_u32 v36, v82, 20, 1
	s_delay_alu instid0(VALU_DEP_1) | instskip(NEXT) | instid1(VALU_DEP_1)
	v_add_nc_u64_e32 v[20:21], v[82:83], v[36:37]
	v_add_nc_u64_e32 v[84:85], -1, v[20:21]
; %bb.5926:                             ;   in Loop: Header=BB4_5789 Depth=2
	s_or_b32 exec_lo, exec_lo, s44
	v_add_nc_u32_e32 v3, 0xffffff81, v87
	v_lshrrev_b32_e32 v20, 23, v82
	s_mov_b32 s10, exec_lo
	s_delay_alu instid0(VALU_DEP_2) | instskip(NEXT) | instid1(VALU_DEP_1)
	v_cndmask_b32_e64 v3, v3, 0xffffff82, vcc_lo
	v_add3_u32 v85, v113, v3, v20
	v_and_b32_e32 v3, 0xfffff, v84
	s_delay_alu instid0(VALU_DEP_1) | instskip(NEXT) | instid1(VALU_DEP_1)
	v_dual_add_nc_u32 v84, 6, v85 :: v_dual_add_nc_u32 v36, v3, v82
                                        ; implicit-def: $vgpr82_vgpr83
                                        ; implicit-def: $vgpr3
	v_cmpx_ne_u32_e32 0, v84
	s_xor_b32 s10, exec_lo, s10
; %bb.5927:                             ;   in Loop: Header=BB4_5789 Depth=2
	s_delay_alu instid0(VALU_DEP_2) | instskip(SKIP_2) | instid1(VALU_DEP_2)
	v_cmp_lt_u64_e32 vcc_lo, 0xffffff, v[36:37]
	v_add_nc_u32_e32 v3, 7, v85
	v_cndmask_b32_e64 v20, 0, 1, vcc_lo
	v_cndmask_b32_e32 v3, v84, v3, vcc_lo
	s_delay_alu instid0(VALU_DEP_2)
	v_lshrrev_b64 v[82:83], v20, v[36:37]
; %bb.5928:                             ;   in Loop: Header=BB4_5789 Depth=2
	s_and_not1_saveexec_b32 s10, s10
; %bb.5929:                             ;   in Loop: Header=BB4_5789 Depth=2
	v_mov_b64_e32 v[82:83], v[36:37]
	v_bfe_u32 v3, v36, 23, 1
; %bb.5930:                             ;   in Loop: Header=BB4_5789 Depth=2
	s_or_b32 exec_lo, exec_lo, s10
	s_delay_alu instid0(VALU_DEP_2) | instskip(NEXT) | instid1(VALU_DEP_2)
	v_lshrrev_b64 v[20:21], 20, v[82:83]
	v_cmp_gt_i32_e32 vcc_lo, 16, v3
	v_min_i32_e32 v36, 15, v3
	v_cmp_eq_u32_e64 s10, 0, v3
	s_delay_alu instid0(VALU_DEP_2) | instskip(SKIP_1) | instid1(VALU_DEP_2)
	v_dual_cndmask_b32 v21, 0, v21 :: v_dual_lshlrev_b32 v36, 3, v36
	v_cndmask_b32_e32 v20, 7, v20, vcc_lo
	v_and_b32_e32 v36, 0xf8, v36
	s_delay_alu instid0(VALU_DEP_2) | instskip(NEXT) | instid1(VALU_DEP_2)
	v_cmp_eq_u64_e32 vcc_lo, 0, v[20:21]
	v_and_or_b32 v3, v20, 7, v36
	s_and_b32 s10, s10, vcc_lo
	s_delay_alu instid0(VALU_DEP_1) | instid1(SALU_CYCLE_1)
	v_cndmask_b32_e64 v3, v3, 0, s10
	s_delay_alu instid0(VALU_DEP_1)
	v_or_b32_e32 v87, v3, v2
.LBB4_5931:                             ;   in Loop: Header=BB4_5789 Depth=2
	s_or_b32 exec_lo, exec_lo, s43
                                        ; implicit-def: $vgpr2
.LBB4_5932:                             ;   in Loop: Header=BB4_5789 Depth=2
	s_and_not1_saveexec_b32 s10, s42
; %bb.5933:                             ;   in Loop: Header=BB4_5789 Depth=2
	v_or_b32_e32 v87, 0x7e, v2
; %bb.5934:                             ;   in Loop: Header=BB4_5789 Depth=2
	s_or_b32 exec_lo, exec_lo, s10
                                        ; implicit-def: $vgpr2
.LBB4_5935:                             ;   in Loop: Header=BB4_5789 Depth=2
	s_and_not1_saveexec_b32 s10, s41
; %bb.5936:                             ;   in Loop: Header=BB4_5789 Depth=2
	v_or_b32_e32 v87, 0x7f, v2
; %bb.5937:                             ;   in Loop: Header=BB4_5789 Depth=2
	s_or_b32 exec_lo, exec_lo, s10
	v_dual_mov_b32 v3, 0 :: v_dual_lshrrev_b32 v2, 16, v11
	s_mov_b32 s10, exec_lo
	s_delay_alu instid0(VALU_DEP_1) | instskip(NEXT) | instid1(VALU_DEP_1)
	v_and_b32_e32 v36, 0xff, v2
	v_cmpx_ne_u16_e32 0, v36
	s_cbranch_execz .LBB4_5945
; %bb.5938:                             ;   in Loop: Header=BB4_5789 Depth=2
	v_bfrev_b32_e32 v3, 1
	s_mov_b32 s41, exec_lo
	v_cmpx_ne_u16_e32 0x80, v36
	s_cbranch_execz .LBB4_5944
; %bb.5939:                             ;   in Loop: Header=BB4_5789 Depth=2
	v_bfe_u32 v82, v11, 16, 7
	v_mov_b32_e32 v3, 0x7f800001
	s_mov_b32 s42, exec_lo
	s_delay_alu instid0(VALU_DEP_2)
	v_cmpx_ne_u32_e32 0x7f, v82
	s_cbranch_execz .LBB4_5943
; %bb.5940:                             ;   in Loop: Header=BB4_5789 Depth=2
	v_and_b32_e32 v36, 7, v2
	v_lshrrev_b32_e32 v3, 3, v82
	s_mov_b32 s43, exec_lo
	v_cmpx_gt_u32_e32 8, v82
; %bb.5941:                             ;   in Loop: Header=BB4_5789 Depth=2
	s_delay_alu instid0(VALU_DEP_3) | instskip(NEXT) | instid1(VALU_DEP_1)
	v_clz_i32_u32_e32 v3, v36
	v_min_u32_e32 v3, 32, v3
	s_delay_alu instid0(VALU_DEP_1) | instskip(NEXT) | instid1(VALU_DEP_1)
	v_subrev_nc_u32_e32 v20, 28, v3
	v_lshlrev_b64_e32 v[20:21], v20, v[36:37]
	s_delay_alu instid0(VALU_DEP_1)
	v_dual_sub_nc_u32 v3, 29, v3 :: v_dual_bitop2_b32 v36, 7, v20 bitop3:0x40
; %bb.5942:                             ;   in Loop: Header=BB4_5789 Depth=2
	s_or_b32 exec_lo, exec_lo, s43
	s_delay_alu instid0(VALU_DEP_1) | instskip(NEXT) | instid1(VALU_DEP_2)
	v_dual_lshlrev_b32 v2, 24, v2 :: v_dual_lshlrev_b32 v20, 20, v36
	v_lshl_add_u32 v3, v3, 23, 0x3c000000
	s_delay_alu instid0(VALU_DEP_2) | instskip(NEXT) | instid1(VALU_DEP_1)
	v_and_b32_e32 v2, 0x80000000, v2
	v_or3_b32 v3, v20, v2, v3
.LBB4_5943:                             ;   in Loop: Header=BB4_5789 Depth=2
	s_or_b32 exec_lo, exec_lo, s42
.LBB4_5944:                             ;   in Loop: Header=BB4_5789 Depth=2
	s_delay_alu instid0(SALU_CYCLE_1)
	s_or_b32 exec_lo, exec_lo, s41
.LBB4_5945:                             ;   in Loop: Header=BB4_5789 Depth=2
	s_delay_alu instid0(SALU_CYCLE_1) | instskip(NEXT) | instid1(VALU_DEP_1)
	s_or_b32 exec_lo, exec_lo, s10
	v_mul_f32_e32 v3, s11, v3
                                        ; implicit-def: $vgpr47
	s_mov_b32 s10, exec_lo
	s_delay_alu instid0(VALU_DEP_1) | instskip(SKIP_1) | instid1(VALU_DEP_2)
	v_and_b32_e32 v36, 0x7f800000, v3
	v_lshrrev_b32_e32 v2, 24, v3
	v_cmpx_ne_u64_e32 0x7f800000, v[36:37]
	s_xor_b32 s41, exec_lo, s10
	s_cbranch_execz .LBB4_5959
; %bb.5946:                             ;   in Loop: Header=BB4_5789 Depth=2
	v_and_b32_e32 v36, 0x7fffffff, v3
	v_and_b32_e32 v2, 0x80, v2
                                        ; implicit-def: $vgpr47
	s_mov_b32 s10, exec_lo
	s_delay_alu instid0(VALU_DEP_2)
	v_cmpx_gt_u64_e32 0x43e00001, v[36:37]
	s_xor_b32 s42, exec_lo, s10
	s_cbranch_execz .LBB4_5956
; %bb.5947:                             ;   in Loop: Header=BB4_5789 Depth=2
	v_mov_b32_e32 v47, 0
	s_mov_b32 s43, exec_lo
	v_cmpx_ne_u32_e32 0, v3
	s_cbranch_execz .LBB4_5955
; %bb.5948:                             ;   in Loop: Header=BB4_5789 Depth=2
	v_bfe_u32 v113, v3, 23, 8
	v_and_b32_e32 v3, 0x7fffff, v3
	s_delay_alu instid0(VALU_DEP_2) | instskip(SKIP_1) | instid1(VALU_DEP_3)
	v_sub_nc_u32_e32 v20, 0x79, v113
	v_cmp_gt_u32_e32 vcc_lo, 0x7a, v113
	v_or_b32_e32 v36, 0x800000, v3
	s_delay_alu instid0(VALU_DEP_3) | instskip(SKIP_1) | instid1(VALU_DEP_3)
	v_cndmask_b32_e32 v20, 0, v20, vcc_lo
	v_cmp_eq_u32_e32 vcc_lo, 0, v113
	v_cndmask_b32_e32 v36, v36, v3, vcc_lo
	s_delay_alu instid0(VALU_DEP_3) | instskip(NEXT) | instid1(VALU_DEP_1)
	v_cndmask_b32_e64 v116, v20, 0x78, vcc_lo
	v_dual_add_nc_u32 v20, 20, v116 :: v_dual_add_nc_u32 v82, 19, v116
	s_delay_alu instid0(VALU_DEP_1) | instskip(NEXT) | instid1(VALU_DEP_2)
	v_lshlrev_b64_e64 v[20:21], v20, -1
	v_lshlrev_b64_e64 v[84:85], v82, 1
	v_lshrrev_b64 v[82:83], v116, v[36:37]
	s_delay_alu instid0(VALU_DEP_3) | instskip(NEXT) | instid1(VALU_DEP_4)
	v_bfi_b32 v21, v21, 0, 0
	v_bfi_b32 v20, v20, 0, v36
	s_delay_alu instid0(VALU_DEP_1) | instskip(NEXT) | instid1(VALU_DEP_4)
	v_cmp_eq_u64_e64 s10, v[20:21], v[84:85]
	v_mov_b64_e32 v[84:85], v[82:83]
	s_and_saveexec_b32 s44, s10
; %bb.5949:                             ;   in Loop: Header=BB4_5789 Depth=2
	v_bfe_u32 v36, v82, 20, 1
	s_delay_alu instid0(VALU_DEP_1) | instskip(NEXT) | instid1(VALU_DEP_1)
	v_add_nc_u64_e32 v[20:21], v[82:83], v[36:37]
	v_add_nc_u64_e32 v[84:85], -1, v[20:21]
; %bb.5950:                             ;   in Loop: Header=BB4_5789 Depth=2
	s_or_b32 exec_lo, exec_lo, s44
	v_add_nc_u32_e32 v3, 0xffffff81, v113
	v_lshrrev_b32_e32 v20, 23, v82
	s_mov_b32 s10, exec_lo
	s_delay_alu instid0(VALU_DEP_2) | instskip(NEXT) | instid1(VALU_DEP_1)
	v_cndmask_b32_e64 v3, v3, 0xffffff82, vcc_lo
	v_add3_u32 v85, v116, v3, v20
	v_and_b32_e32 v3, 0xfffff, v84
	s_delay_alu instid0(VALU_DEP_1) | instskip(NEXT) | instid1(VALU_DEP_1)
	v_dual_add_nc_u32 v84, 6, v85 :: v_dual_add_nc_u32 v36, v3, v82
                                        ; implicit-def: $vgpr82_vgpr83
                                        ; implicit-def: $vgpr3
	v_cmpx_ne_u32_e32 0, v84
	s_xor_b32 s10, exec_lo, s10
; %bb.5951:                             ;   in Loop: Header=BB4_5789 Depth=2
	s_delay_alu instid0(VALU_DEP_2) | instskip(SKIP_2) | instid1(VALU_DEP_2)
	v_cmp_lt_u64_e32 vcc_lo, 0xffffff, v[36:37]
	v_add_nc_u32_e32 v3, 7, v85
	v_cndmask_b32_e64 v20, 0, 1, vcc_lo
	v_cndmask_b32_e32 v3, v84, v3, vcc_lo
	s_delay_alu instid0(VALU_DEP_2)
	v_lshrrev_b64 v[82:83], v20, v[36:37]
; %bb.5952:                             ;   in Loop: Header=BB4_5789 Depth=2
	s_and_not1_saveexec_b32 s10, s10
; %bb.5953:                             ;   in Loop: Header=BB4_5789 Depth=2
	v_mov_b64_e32 v[82:83], v[36:37]
	v_bfe_u32 v3, v36, 23, 1
; %bb.5954:                             ;   in Loop: Header=BB4_5789 Depth=2
	s_or_b32 exec_lo, exec_lo, s10
	s_delay_alu instid0(VALU_DEP_2) | instskip(NEXT) | instid1(VALU_DEP_2)
	v_lshrrev_b64 v[20:21], 20, v[82:83]
	v_cmp_gt_i32_e32 vcc_lo, 16, v3
	v_min_i32_e32 v36, 15, v3
	v_cmp_eq_u32_e64 s10, 0, v3
	s_delay_alu instid0(VALU_DEP_2) | instskip(SKIP_1) | instid1(VALU_DEP_2)
	v_dual_cndmask_b32 v21, 0, v21 :: v_dual_lshlrev_b32 v36, 3, v36
	v_cndmask_b32_e32 v20, 7, v20, vcc_lo
	v_and_b32_e32 v36, 0xf8, v36
	s_delay_alu instid0(VALU_DEP_2) | instskip(NEXT) | instid1(VALU_DEP_2)
	v_cmp_eq_u64_e32 vcc_lo, 0, v[20:21]
	v_and_or_b32 v3, v20, 7, v36
	s_and_b32 s10, s10, vcc_lo
	s_delay_alu instid0(VALU_DEP_1) | instid1(SALU_CYCLE_1)
	v_cndmask_b32_e64 v3, v3, 0, s10
	s_delay_alu instid0(VALU_DEP_1)
	v_or_b32_e32 v47, v3, v2
.LBB4_5955:                             ;   in Loop: Header=BB4_5789 Depth=2
	s_or_b32 exec_lo, exec_lo, s43
                                        ; implicit-def: $vgpr2
.LBB4_5956:                             ;   in Loop: Header=BB4_5789 Depth=2
	s_and_not1_saveexec_b32 s10, s42
; %bb.5957:                             ;   in Loop: Header=BB4_5789 Depth=2
	v_or_b32_e32 v47, 0x7e, v2
; %bb.5958:                             ;   in Loop: Header=BB4_5789 Depth=2
	s_or_b32 exec_lo, exec_lo, s10
                                        ; implicit-def: $vgpr2
.LBB4_5959:                             ;   in Loop: Header=BB4_5789 Depth=2
	s_and_not1_saveexec_b32 s10, s41
; %bb.5960:                             ;   in Loop: Header=BB4_5789 Depth=2
	v_or_b32_e32 v47, 0x7f, v2
; %bb.5961:                             ;   in Loop: Header=BB4_5789 Depth=2
	s_or_b32 exec_lo, exec_lo, s10
	v_mov_b32_e32 v3, 0
	s_mov_b32 s10, exec_lo
	v_cmpx_lt_u64_e64 s[12:13], v[10:11]
	s_cbranch_execz .LBB4_5969
; %bb.5962:                             ;   in Loop: Header=BB4_5789 Depth=2
	v_lshrrev_b32_e32 v2, 24, v11
	v_bfrev_b32_e32 v3, 1
	s_mov_b32 s41, exec_lo
	s_delay_alu instid0(VALU_DEP_2)
	v_cmpx_ne_u32_e32 0x80, v2
	s_cbranch_execz .LBB4_5968
; %bb.5963:                             ;   in Loop: Header=BB4_5789 Depth=2
	v_bfe_u32 v10, v11, 24, 7
	v_mov_b32_e32 v3, 0x7f800001
	s_mov_b32 s42, exec_lo
	s_delay_alu instid0(VALU_DEP_2)
	v_cmpx_ne_u32_e32 0x7f, v10
	s_cbranch_execz .LBB4_5967
; %bb.5964:                             ;   in Loop: Header=BB4_5789 Depth=2
	v_and_b32_e32 v36, 7, v2
	v_lshrrev_b32_e32 v3, 3, v10
	s_mov_b32 s43, exec_lo
	v_cmpx_gt_u32_e32 8, v10
; %bb.5965:                             ;   in Loop: Header=BB4_5789 Depth=2
	s_delay_alu instid0(VALU_DEP_3) | instskip(NEXT) | instid1(VALU_DEP_1)
	v_clz_i32_u32_e32 v3, v36
	v_min_u32_e32 v3, 32, v3
	s_delay_alu instid0(VALU_DEP_1) | instskip(NEXT) | instid1(VALU_DEP_1)
	v_subrev_nc_u32_e32 v10, 28, v3
	v_lshlrev_b64_e32 v[10:11], v10, v[36:37]
	s_delay_alu instid0(VALU_DEP_1)
	v_dual_sub_nc_u32 v3, 29, v3 :: v_dual_bitop2_b32 v36, 7, v10 bitop3:0x40
; %bb.5966:                             ;   in Loop: Header=BB4_5789 Depth=2
	s_or_b32 exec_lo, exec_lo, s43
	s_delay_alu instid0(VALU_DEP_1) | instskip(NEXT) | instid1(VALU_DEP_2)
	v_dual_lshlrev_b32 v2, 24, v2 :: v_dual_lshlrev_b32 v10, 20, v36
	v_lshl_add_u32 v3, v3, 23, 0x3c000000
	s_delay_alu instid0(VALU_DEP_2) | instskip(NEXT) | instid1(VALU_DEP_1)
	v_and_b32_e32 v2, 0x80000000, v2
	v_or3_b32 v3, v10, v2, v3
.LBB4_5967:                             ;   in Loop: Header=BB4_5789 Depth=2
	s_or_b32 exec_lo, exec_lo, s42
.LBB4_5968:                             ;   in Loop: Header=BB4_5789 Depth=2
	s_delay_alu instid0(SALU_CYCLE_1)
	s_or_b32 exec_lo, exec_lo, s41
.LBB4_5969:                             ;   in Loop: Header=BB4_5789 Depth=2
	s_delay_alu instid0(SALU_CYCLE_1) | instskip(NEXT) | instid1(VALU_DEP_1)
	s_or_b32 exec_lo, exec_lo, s10
	v_mul_f32_e32 v3, s11, v3
                                        ; implicit-def: $vgpr56
	s_mov_b32 s10, exec_lo
	s_delay_alu instid0(VALU_DEP_1) | instskip(SKIP_1) | instid1(VALU_DEP_2)
	v_and_b32_e32 v36, 0x7f800000, v3
	v_lshrrev_b32_e32 v2, 24, v3
	v_cmpx_ne_u64_e32 0x7f800000, v[36:37]
	s_xor_b32 s41, exec_lo, s10
	s_cbranch_execz .LBB4_5983
; %bb.5970:                             ;   in Loop: Header=BB4_5789 Depth=2
	v_and_b32_e32 v36, 0x7fffffff, v3
	v_and_b32_e32 v2, 0x80, v2
                                        ; implicit-def: $vgpr56
	s_mov_b32 s10, exec_lo
	s_delay_alu instid0(VALU_DEP_2)
	v_cmpx_gt_u64_e32 0x43e00001, v[36:37]
	s_xor_b32 s42, exec_lo, s10
	s_cbranch_execz .LBB4_5980
; %bb.5971:                             ;   in Loop: Header=BB4_5789 Depth=2
	v_mov_b32_e32 v56, 0
	s_mov_b32 s43, exec_lo
	v_cmpx_ne_u32_e32 0, v3
	s_cbranch_execz .LBB4_5979
; %bb.5972:                             ;   in Loop: Header=BB4_5789 Depth=2
	v_bfe_u32 v84, v3, 23, 8
	v_and_b32_e32 v3, 0x7fffff, v3
	s_delay_alu instid0(VALU_DEP_2) | instskip(SKIP_1) | instid1(VALU_DEP_3)
	v_sub_nc_u32_e32 v10, 0x79, v84
	v_cmp_gt_u32_e32 vcc_lo, 0x7a, v84
	v_or_b32_e32 v20, 0x800000, v3
	s_delay_alu instid0(VALU_DEP_3) | instskip(SKIP_1) | instid1(VALU_DEP_2)
	v_cndmask_b32_e32 v10, 0, v10, vcc_lo
	v_cmp_eq_u32_e32 vcc_lo, 0, v84
	v_cndmask_b32_e64 v85, v10, 0x78, vcc_lo
	s_delay_alu instid0(VALU_DEP_1) | instskip(SKIP_1) | instid1(VALU_DEP_2)
	v_dual_cndmask_b32 v36, v20, v3, vcc_lo :: v_dual_add_nc_u32 v10, 20, v85
	v_add_nc_u32_e32 v21, 19, v85
	v_lshlrev_b64_e64 v[10:11], v10, -1
	s_delay_alu instid0(VALU_DEP_2) | instskip(NEXT) | instid1(VALU_DEP_2)
	v_lshlrev_b64_e64 v[20:21], v21, 1
	v_bfi_b32 v83, v11, 0, 0
	s_delay_alu instid0(VALU_DEP_3) | instskip(SKIP_1) | instid1(VALU_DEP_2)
	v_bfi_b32 v82, v10, 0, v36
	v_lshrrev_b64 v[10:11], v85, v[36:37]
	v_cmp_eq_u64_e64 s10, v[82:83], v[20:21]
	s_delay_alu instid0(VALU_DEP_2)
	v_mov_b64_e32 v[82:83], v[10:11]
	s_and_saveexec_b32 s44, s10
; %bb.5973:                             ;   in Loop: Header=BB4_5789 Depth=2
	v_bfe_u32 v36, v10, 20, 1
	s_delay_alu instid0(VALU_DEP_1) | instskip(NEXT) | instid1(VALU_DEP_1)
	v_add_nc_u64_e32 v[20:21], v[10:11], v[36:37]
	v_add_nc_u64_e32 v[82:83], -1, v[20:21]
; %bb.5974:                             ;   in Loop: Header=BB4_5789 Depth=2
	s_or_b32 exec_lo, exec_lo, s44
	v_add_nc_u32_e32 v3, 0xffffff81, v84
	v_lshrrev_b32_e32 v11, 23, v10
	s_mov_b32 s10, exec_lo
	s_delay_alu instid0(VALU_DEP_2) | instskip(NEXT) | instid1(VALU_DEP_1)
	v_cndmask_b32_e64 v3, v3, 0xffffff82, vcc_lo
	v_add3_u32 v83, v85, v3, v11
	v_and_b32_e32 v3, 0xfffff, v82
	s_delay_alu instid0(VALU_DEP_1) | instskip(NEXT) | instid1(VALU_DEP_1)
	v_dual_add_nc_u32 v82, 6, v83 :: v_dual_add_nc_u32 v36, v3, v10
                                        ; implicit-def: $vgpr10_vgpr11
                                        ; implicit-def: $vgpr3
	v_cmpx_ne_u32_e32 0, v82
	s_xor_b32 s10, exec_lo, s10
; %bb.5975:                             ;   in Loop: Header=BB4_5789 Depth=2
	s_delay_alu instid0(VALU_DEP_2) | instskip(SKIP_2) | instid1(VALU_DEP_2)
	v_cmp_lt_u64_e32 vcc_lo, 0xffffff, v[36:37]
	v_add_nc_u32_e32 v3, 7, v83
	v_cndmask_b32_e64 v10, 0, 1, vcc_lo
	v_cndmask_b32_e32 v3, v82, v3, vcc_lo
	s_delay_alu instid0(VALU_DEP_2)
	v_lshrrev_b64 v[10:11], v10, v[36:37]
; %bb.5976:                             ;   in Loop: Header=BB4_5789 Depth=2
	s_and_not1_saveexec_b32 s10, s10
; %bb.5977:                             ;   in Loop: Header=BB4_5789 Depth=2
	v_mov_b64_e32 v[10:11], v[36:37]
	v_bfe_u32 v3, v36, 23, 1
; %bb.5978:                             ;   in Loop: Header=BB4_5789 Depth=2
	s_or_b32 exec_lo, exec_lo, s10
	s_delay_alu instid0(VALU_DEP_2) | instskip(NEXT) | instid1(VALU_DEP_2)
	v_lshrrev_b64 v[10:11], 20, v[10:11]
	v_cmp_gt_i32_e32 vcc_lo, 16, v3
	v_min_i32_e32 v20, 15, v3
	v_cmp_eq_u32_e64 s10, 0, v3
	s_delay_alu instid0(VALU_DEP_2) | instskip(SKIP_1) | instid1(VALU_DEP_2)
	v_dual_cndmask_b32 v10, 7, v10, vcc_lo :: v_dual_lshlrev_b32 v20, 3, v20
	v_cndmask_b32_e32 v11, 0, v11, vcc_lo
	v_and_b32_e32 v20, 0xf8, v20
	s_delay_alu instid0(VALU_DEP_2) | instskip(NEXT) | instid1(VALU_DEP_2)
	v_cmp_eq_u64_e32 vcc_lo, 0, v[10:11]
	v_and_or_b32 v3, v10, 7, v20
	s_and_b32 s10, s10, vcc_lo
	s_delay_alu instid0(VALU_DEP_1) | instid1(SALU_CYCLE_1)
	v_cndmask_b32_e64 v3, v3, 0, s10
	s_delay_alu instid0(VALU_DEP_1)
	v_or_b32_e32 v56, v3, v2
.LBB4_5979:                             ;   in Loop: Header=BB4_5789 Depth=2
	s_or_b32 exec_lo, exec_lo, s43
                                        ; implicit-def: $vgpr2
.LBB4_5980:                             ;   in Loop: Header=BB4_5789 Depth=2
	s_and_not1_saveexec_b32 s10, s42
; %bb.5981:                             ;   in Loop: Header=BB4_5789 Depth=2
	v_or_b32_e32 v56, 0x7e, v2
; %bb.5982:                             ;   in Loop: Header=BB4_5789 Depth=2
	s_or_b32 exec_lo, exec_lo, s10
                                        ; implicit-def: $vgpr2
.LBB4_5983:                             ;   in Loop: Header=BB4_5789 Depth=2
	s_and_not1_saveexec_b32 s10, s41
; %bb.5984:                             ;   in Loop: Header=BB4_5789 Depth=2
	v_or_b32_e32 v56, 0x7f, v2
; %bb.5985:                             ;   in Loop: Header=BB4_5789 Depth=2
	s_or_b32 exec_lo, exec_lo, s10
	v_and_b32_e32 v3, 0xff, v12
	v_mov_b32_e32 v2, 0
	s_mov_b32 s10, exec_lo
	s_delay_alu instid0(VALU_DEP_2)
	v_cmpx_ne_u16_e32 0, v3
	s_cbranch_execz .LBB4_5991
; %bb.5986:                             ;   in Loop: Header=BB4_5789 Depth=2
	v_bfrev_b32_e32 v2, 1
	s_mov_b32 s41, exec_lo
	v_cmpx_ne_u16_e32 0x80, v3
	s_cbranch_execz .LBB4_5990
; %bb.5987:                             ;   in Loop: Header=BB4_5789 Depth=2
	v_and_b32_e32 v3, 0x7f, v12
	v_mov_b32_e32 v2, 0x7f800001
	s_mov_b32 s42, exec_lo
	s_delay_alu instid0(VALU_DEP_2)
	v_cmpx_ne_u32_e32 0x7f, v3
	s_cbranch_execz .LBB4_5989
; %bb.5988:                             ;   in Loop: Header=BB4_5789 Depth=2
	v_dual_lshrrev_b32 v10, 3, v3 :: v_dual_bitop2_b32 v2, 7, v12 bitop3:0x40
	v_cmp_gt_u32_e32 vcc_lo, 8, v3
	s_delay_alu instid0(VALU_DEP_2) | instskip(NEXT) | instid1(VALU_DEP_1)
	v_clz_i32_u32_e32 v2, v2
	v_min_u32_e32 v2, 32, v2
	s_delay_alu instid0(VALU_DEP_1) | instskip(SKIP_1) | instid1(VALU_DEP_1)
	v_subrev_nc_u32_e32 v11, 28, v2
	v_sub_nc_u32_e32 v2, 29, v2
	v_dual_cndmask_b32 v10, v10, v2, vcc_lo :: v_dual_cndmask_b32 v2, 0, v11, vcc_lo
	s_delay_alu instid0(VALU_DEP_1) | instskip(NEXT) | instid1(VALU_DEP_2)
	v_lshl_add_u32 v10, v10, 23, 0x3c000000
	v_lshlrev_b64_e32 v[2:3], v2, v[12:13]
	v_lshlrev_b32_e32 v3, 24, v12
	s_delay_alu instid0(VALU_DEP_1) | instskip(NEXT) | instid1(VALU_DEP_3)
	v_and_b32_e32 v3, 0x80000000, v3
	v_lshlrev_b32_e32 v2, 20, v2
	s_delay_alu instid0(VALU_DEP_1) | instskip(NEXT) | instid1(VALU_DEP_1)
	v_and_b32_e32 v2, 0x700000, v2
	v_or3_b32 v2, v2, v3, v10
.LBB4_5989:                             ;   in Loop: Header=BB4_5789 Depth=2
	s_or_b32 exec_lo, exec_lo, s42
.LBB4_5990:                             ;   in Loop: Header=BB4_5789 Depth=2
	s_delay_alu instid0(SALU_CYCLE_1)
	s_or_b32 exec_lo, exec_lo, s41
.LBB4_5991:                             ;   in Loop: Header=BB4_5789 Depth=2
	s_delay_alu instid0(SALU_CYCLE_1) | instskip(NEXT) | instid1(VALU_DEP_1)
	s_or_b32 exec_lo, exec_lo, s10
	v_mul_f32_e32 v3, s11, v2
                                        ; implicit-def: $vgpr119
	s_mov_b32 s10, exec_lo
	s_delay_alu instid0(VALU_DEP_1) | instskip(SKIP_1) | instid1(VALU_DEP_2)
	v_and_b32_e32 v36, 0x7f800000, v3
	v_lshrrev_b32_e32 v2, 24, v3
	v_cmpx_ne_u64_e32 0x7f800000, v[36:37]
	s_xor_b32 s41, exec_lo, s10
	s_cbranch_execz .LBB4_6005
; %bb.5992:                             ;   in Loop: Header=BB4_5789 Depth=2
	v_and_b32_e32 v36, 0x7fffffff, v3
	v_and_b32_e32 v2, 0x80, v2
                                        ; implicit-def: $vgpr119
	s_mov_b32 s10, exec_lo
	s_delay_alu instid0(VALU_DEP_2)
	v_cmpx_gt_u64_e32 0x43e00001, v[36:37]
	s_xor_b32 s42, exec_lo, s10
	s_cbranch_execz .LBB4_6002
; %bb.5993:                             ;   in Loop: Header=BB4_5789 Depth=2
	v_mov_b32_e32 v119, 0
	s_mov_b32 s43, exec_lo
	v_cmpx_ne_u32_e32 0, v3
	s_cbranch_execz .LBB4_6001
; %bb.5994:                             ;   in Loop: Header=BB4_5789 Depth=2
	v_bfe_u32 v84, v3, 23, 8
	v_and_b32_e32 v3, 0x7fffff, v3
	s_delay_alu instid0(VALU_DEP_2) | instskip(SKIP_1) | instid1(VALU_DEP_3)
	v_sub_nc_u32_e32 v10, 0x79, v84
	v_cmp_gt_u32_e32 vcc_lo, 0x7a, v84
	v_or_b32_e32 v20, 0x800000, v3
	s_delay_alu instid0(VALU_DEP_3) | instskip(SKIP_1) | instid1(VALU_DEP_2)
	v_cndmask_b32_e32 v10, 0, v10, vcc_lo
	v_cmp_eq_u32_e32 vcc_lo, 0, v84
	v_cndmask_b32_e64 v85, v10, 0x78, vcc_lo
	s_delay_alu instid0(VALU_DEP_1) | instskip(SKIP_1) | instid1(VALU_DEP_2)
	v_dual_cndmask_b32 v36, v20, v3, vcc_lo :: v_dual_add_nc_u32 v10, 20, v85
	v_add_nc_u32_e32 v21, 19, v85
	v_lshlrev_b64_e64 v[10:11], v10, -1
	s_delay_alu instid0(VALU_DEP_2) | instskip(NEXT) | instid1(VALU_DEP_2)
	v_lshlrev_b64_e64 v[20:21], v21, 1
	v_bfi_b32 v83, v11, 0, 0
	s_delay_alu instid0(VALU_DEP_3) | instskip(SKIP_1) | instid1(VALU_DEP_2)
	v_bfi_b32 v82, v10, 0, v36
	v_lshrrev_b64 v[10:11], v85, v[36:37]
	v_cmp_eq_u64_e64 s10, v[82:83], v[20:21]
	s_delay_alu instid0(VALU_DEP_2)
	v_mov_b64_e32 v[82:83], v[10:11]
	s_and_saveexec_b32 s44, s10
; %bb.5995:                             ;   in Loop: Header=BB4_5789 Depth=2
	v_bfe_u32 v36, v10, 20, 1
	s_delay_alu instid0(VALU_DEP_1) | instskip(NEXT) | instid1(VALU_DEP_1)
	v_add_nc_u64_e32 v[20:21], v[10:11], v[36:37]
	v_add_nc_u64_e32 v[82:83], -1, v[20:21]
; %bb.5996:                             ;   in Loop: Header=BB4_5789 Depth=2
	s_or_b32 exec_lo, exec_lo, s44
	v_add_nc_u32_e32 v3, 0xffffff81, v84
	v_lshrrev_b32_e32 v11, 23, v10
	s_mov_b32 s10, exec_lo
	s_delay_alu instid0(VALU_DEP_2) | instskip(NEXT) | instid1(VALU_DEP_1)
	v_cndmask_b32_e64 v3, v3, 0xffffff82, vcc_lo
	v_add3_u32 v83, v85, v3, v11
	v_and_b32_e32 v3, 0xfffff, v82
	s_delay_alu instid0(VALU_DEP_1) | instskip(NEXT) | instid1(VALU_DEP_1)
	v_dual_add_nc_u32 v82, 6, v83 :: v_dual_add_nc_u32 v36, v3, v10
                                        ; implicit-def: $vgpr10_vgpr11
                                        ; implicit-def: $vgpr3
	v_cmpx_ne_u32_e32 0, v82
	s_xor_b32 s10, exec_lo, s10
; %bb.5997:                             ;   in Loop: Header=BB4_5789 Depth=2
	s_delay_alu instid0(VALU_DEP_2) | instskip(SKIP_2) | instid1(VALU_DEP_2)
	v_cmp_lt_u64_e32 vcc_lo, 0xffffff, v[36:37]
	v_add_nc_u32_e32 v3, 7, v83
	v_cndmask_b32_e64 v10, 0, 1, vcc_lo
	v_cndmask_b32_e32 v3, v82, v3, vcc_lo
	s_delay_alu instid0(VALU_DEP_2)
	v_lshrrev_b64 v[10:11], v10, v[36:37]
; %bb.5998:                             ;   in Loop: Header=BB4_5789 Depth=2
	s_and_not1_saveexec_b32 s10, s10
; %bb.5999:                             ;   in Loop: Header=BB4_5789 Depth=2
	v_mov_b64_e32 v[10:11], v[36:37]
	v_bfe_u32 v3, v36, 23, 1
; %bb.6000:                             ;   in Loop: Header=BB4_5789 Depth=2
	s_or_b32 exec_lo, exec_lo, s10
	s_delay_alu instid0(VALU_DEP_2) | instskip(NEXT) | instid1(VALU_DEP_2)
	v_lshrrev_b64 v[10:11], 20, v[10:11]
	v_cmp_gt_i32_e32 vcc_lo, 16, v3
	v_min_i32_e32 v20, 15, v3
	v_cmp_eq_u32_e64 s10, 0, v3
	s_delay_alu instid0(VALU_DEP_2) | instskip(SKIP_1) | instid1(VALU_DEP_2)
	v_dual_cndmask_b32 v10, 7, v10, vcc_lo :: v_dual_lshlrev_b32 v20, 3, v20
	v_cndmask_b32_e32 v11, 0, v11, vcc_lo
	v_and_b32_e32 v20, 0xf8, v20
	s_delay_alu instid0(VALU_DEP_2) | instskip(NEXT) | instid1(VALU_DEP_2)
	v_cmp_eq_u64_e32 vcc_lo, 0, v[10:11]
	v_and_or_b32 v3, v10, 7, v20
	s_and_b32 s10, s10, vcc_lo
	s_delay_alu instid0(VALU_DEP_1) | instid1(SALU_CYCLE_1)
	v_cndmask_b32_e64 v3, v3, 0, s10
	s_delay_alu instid0(VALU_DEP_1)
	v_or_b32_e32 v119, v3, v2
.LBB4_6001:                             ;   in Loop: Header=BB4_5789 Depth=2
	s_or_b32 exec_lo, exec_lo, s43
                                        ; implicit-def: $vgpr2
.LBB4_6002:                             ;   in Loop: Header=BB4_5789 Depth=2
	s_and_not1_saveexec_b32 s10, s42
; %bb.6003:                             ;   in Loop: Header=BB4_5789 Depth=2
	v_or_b32_e32 v119, 0x7e, v2
; %bb.6004:                             ;   in Loop: Header=BB4_5789 Depth=2
	s_or_b32 exec_lo, exec_lo, s10
                                        ; implicit-def: $vgpr2
.LBB4_6005:                             ;   in Loop: Header=BB4_5789 Depth=2
	s_and_not1_saveexec_b32 s10, s41
; %bb.6006:                             ;   in Loop: Header=BB4_5789 Depth=2
	v_or_b32_e32 v119, 0x7f, v2
; %bb.6007:                             ;   in Loop: Header=BB4_5789 Depth=2
	s_or_b32 exec_lo, exec_lo, s10
	v_lshrrev_b16 v3, 8, v12
	v_mov_b32_e32 v2, 0
	s_mov_b32 s10, exec_lo
	s_delay_alu instid0(VALU_DEP_2)
	v_cmpx_ne_u16_e32 0, v3
	s_cbranch_execz .LBB4_6015
; %bb.6008:                             ;   in Loop: Header=BB4_5789 Depth=2
	v_bfrev_b32_e32 v2, 1
	s_mov_b32 s41, exec_lo
	v_cmpx_ne_u16_e32 0x80, v3
	s_cbranch_execz .LBB4_6014
; %bb.6009:                             ;   in Loop: Header=BB4_5789 Depth=2
	v_and_b32_e32 v10, 0xffff, v3
	v_mov_b32_e32 v2, 0x7f800001
	s_mov_b32 s42, exec_lo
	s_delay_alu instid0(VALU_DEP_2) | instskip(NEXT) | instid1(VALU_DEP_1)
	v_and_b32_e32 v3, 0x7f, v10
	v_cmpx_ne_u32_e32 0x7f, v3
	s_cbranch_execz .LBB4_6013
; %bb.6010:                             ;   in Loop: Header=BB4_5789 Depth=2
	v_dual_lshrrev_b32 v2, 3, v3 :: v_dual_bitop2_b32 v36, 7, v10 bitop3:0x40
	s_mov_b32 s43, exec_lo
	v_cmpx_gt_u32_e32 8, v3
; %bb.6011:                             ;   in Loop: Header=BB4_5789 Depth=2
	s_delay_alu instid0(VALU_DEP_2) | instskip(NEXT) | instid1(VALU_DEP_1)
	v_clz_i32_u32_e32 v2, v36
	v_min_u32_e32 v2, 32, v2
	s_delay_alu instid0(VALU_DEP_1) | instskip(SKIP_1) | instid1(VALU_DEP_2)
	v_subrev_nc_u32_e32 v3, 28, v2
	v_sub_nc_u32_e32 v2, 29, v2
	v_lshlrev_b64_e32 v[10:11], v3, v[36:37]
	s_delay_alu instid0(VALU_DEP_1)
	v_and_b32_e32 v36, 7, v10
; %bb.6012:                             ;   in Loop: Header=BB4_5789 Depth=2
	s_or_b32 exec_lo, exec_lo, s43
	v_lshlrev_b32_e32 v3, 16, v12
	s_delay_alu instid0(VALU_DEP_2) | instskip(SKIP_1) | instid1(VALU_DEP_3)
	v_lshlrev_b32_e32 v10, 20, v36
	v_lshl_add_u32 v2, v2, 23, 0x3c000000
	v_and_b32_e32 v3, 0x80000000, v3
	s_delay_alu instid0(VALU_DEP_1)
	v_or3_b32 v2, v10, v3, v2
.LBB4_6013:                             ;   in Loop: Header=BB4_5789 Depth=2
	s_or_b32 exec_lo, exec_lo, s42
.LBB4_6014:                             ;   in Loop: Header=BB4_5789 Depth=2
	s_delay_alu instid0(SALU_CYCLE_1)
	s_or_b32 exec_lo, exec_lo, s41
.LBB4_6015:                             ;   in Loop: Header=BB4_5789 Depth=2
	s_delay_alu instid0(SALU_CYCLE_1) | instskip(NEXT) | instid1(VALU_DEP_1)
	s_or_b32 exec_lo, exec_lo, s10
	v_mul_f32_e32 v3, s11, v2
                                        ; implicit-def: $vgpr42
	s_mov_b32 s10, exec_lo
	s_delay_alu instid0(VALU_DEP_1) | instskip(SKIP_1) | instid1(VALU_DEP_2)
	v_and_b32_e32 v36, 0x7f800000, v3
	v_lshrrev_b32_e32 v2, 24, v3
	v_cmpx_ne_u64_e32 0x7f800000, v[36:37]
	s_xor_b32 s41, exec_lo, s10
	s_cbranch_execz .LBB4_6029
; %bb.6016:                             ;   in Loop: Header=BB4_5789 Depth=2
	v_and_b32_e32 v36, 0x7fffffff, v3
	v_and_b32_e32 v2, 0x80, v2
                                        ; implicit-def: $vgpr42
	s_mov_b32 s10, exec_lo
	s_delay_alu instid0(VALU_DEP_2)
	v_cmpx_gt_u64_e32 0x43e00001, v[36:37]
	s_xor_b32 s42, exec_lo, s10
	s_cbranch_execz .LBB4_6026
; %bb.6017:                             ;   in Loop: Header=BB4_5789 Depth=2
	v_mov_b32_e32 v42, 0
	s_mov_b32 s43, exec_lo
	v_cmpx_ne_u32_e32 0, v3
	s_cbranch_execz .LBB4_6025
; %bb.6018:                             ;   in Loop: Header=BB4_5789 Depth=2
	v_bfe_u32 v84, v3, 23, 8
	v_and_b32_e32 v3, 0x7fffff, v3
	s_delay_alu instid0(VALU_DEP_2) | instskip(SKIP_1) | instid1(VALU_DEP_3)
	v_sub_nc_u32_e32 v10, 0x79, v84
	v_cmp_gt_u32_e32 vcc_lo, 0x7a, v84
	v_or_b32_e32 v20, 0x800000, v3
	s_delay_alu instid0(VALU_DEP_3) | instskip(SKIP_1) | instid1(VALU_DEP_2)
	v_cndmask_b32_e32 v10, 0, v10, vcc_lo
	v_cmp_eq_u32_e32 vcc_lo, 0, v84
	v_cndmask_b32_e64 v85, v10, 0x78, vcc_lo
	s_delay_alu instid0(VALU_DEP_1) | instskip(SKIP_1) | instid1(VALU_DEP_2)
	v_dual_cndmask_b32 v36, v20, v3, vcc_lo :: v_dual_add_nc_u32 v10, 20, v85
	v_add_nc_u32_e32 v21, 19, v85
	v_lshlrev_b64_e64 v[10:11], v10, -1
	s_delay_alu instid0(VALU_DEP_2) | instskip(NEXT) | instid1(VALU_DEP_2)
	v_lshlrev_b64_e64 v[20:21], v21, 1
	v_bfi_b32 v83, v11, 0, 0
	s_delay_alu instid0(VALU_DEP_3) | instskip(SKIP_1) | instid1(VALU_DEP_2)
	v_bfi_b32 v82, v10, 0, v36
	v_lshrrev_b64 v[10:11], v85, v[36:37]
	v_cmp_eq_u64_e64 s10, v[82:83], v[20:21]
	s_delay_alu instid0(VALU_DEP_2)
	v_mov_b64_e32 v[82:83], v[10:11]
	s_and_saveexec_b32 s44, s10
; %bb.6019:                             ;   in Loop: Header=BB4_5789 Depth=2
	v_bfe_u32 v36, v10, 20, 1
	s_delay_alu instid0(VALU_DEP_1) | instskip(NEXT) | instid1(VALU_DEP_1)
	v_add_nc_u64_e32 v[20:21], v[10:11], v[36:37]
	v_add_nc_u64_e32 v[82:83], -1, v[20:21]
; %bb.6020:                             ;   in Loop: Header=BB4_5789 Depth=2
	s_or_b32 exec_lo, exec_lo, s44
	v_add_nc_u32_e32 v3, 0xffffff81, v84
	v_lshrrev_b32_e32 v11, 23, v10
	s_mov_b32 s10, exec_lo
	s_delay_alu instid0(VALU_DEP_2) | instskip(NEXT) | instid1(VALU_DEP_1)
	v_cndmask_b32_e64 v3, v3, 0xffffff82, vcc_lo
	v_add3_u32 v83, v85, v3, v11
	v_and_b32_e32 v3, 0xfffff, v82
	s_delay_alu instid0(VALU_DEP_1) | instskip(NEXT) | instid1(VALU_DEP_1)
	v_dual_add_nc_u32 v82, 6, v83 :: v_dual_add_nc_u32 v36, v3, v10
                                        ; implicit-def: $vgpr10_vgpr11
                                        ; implicit-def: $vgpr3
	v_cmpx_ne_u32_e32 0, v82
	s_xor_b32 s10, exec_lo, s10
; %bb.6021:                             ;   in Loop: Header=BB4_5789 Depth=2
	s_delay_alu instid0(VALU_DEP_2) | instskip(SKIP_2) | instid1(VALU_DEP_2)
	v_cmp_lt_u64_e32 vcc_lo, 0xffffff, v[36:37]
	v_add_nc_u32_e32 v3, 7, v83
	v_cndmask_b32_e64 v10, 0, 1, vcc_lo
	v_cndmask_b32_e32 v3, v82, v3, vcc_lo
	s_delay_alu instid0(VALU_DEP_2)
	v_lshrrev_b64 v[10:11], v10, v[36:37]
; %bb.6022:                             ;   in Loop: Header=BB4_5789 Depth=2
	s_and_not1_saveexec_b32 s10, s10
; %bb.6023:                             ;   in Loop: Header=BB4_5789 Depth=2
	v_mov_b64_e32 v[10:11], v[36:37]
	v_bfe_u32 v3, v36, 23, 1
; %bb.6024:                             ;   in Loop: Header=BB4_5789 Depth=2
	s_or_b32 exec_lo, exec_lo, s10
	s_delay_alu instid0(VALU_DEP_2) | instskip(NEXT) | instid1(VALU_DEP_2)
	v_lshrrev_b64 v[10:11], 20, v[10:11]
	v_cmp_gt_i32_e32 vcc_lo, 16, v3
	v_min_i32_e32 v20, 15, v3
	v_cmp_eq_u32_e64 s10, 0, v3
	s_delay_alu instid0(VALU_DEP_2) | instskip(SKIP_1) | instid1(VALU_DEP_2)
	v_dual_cndmask_b32 v10, 7, v10, vcc_lo :: v_dual_lshlrev_b32 v20, 3, v20
	v_cndmask_b32_e32 v11, 0, v11, vcc_lo
	v_and_b32_e32 v20, 0xf8, v20
	s_delay_alu instid0(VALU_DEP_2) | instskip(NEXT) | instid1(VALU_DEP_2)
	v_cmp_eq_u64_e32 vcc_lo, 0, v[10:11]
	v_and_or_b32 v3, v10, 7, v20
	s_and_b32 s10, s10, vcc_lo
	s_delay_alu instid0(VALU_DEP_1) | instid1(SALU_CYCLE_1)
	v_cndmask_b32_e64 v3, v3, 0, s10
	s_delay_alu instid0(VALU_DEP_1)
	v_or_b32_e32 v42, v3, v2
.LBB4_6025:                             ;   in Loop: Header=BB4_5789 Depth=2
	s_or_b32 exec_lo, exec_lo, s43
                                        ; implicit-def: $vgpr2
.LBB4_6026:                             ;   in Loop: Header=BB4_5789 Depth=2
	s_and_not1_saveexec_b32 s10, s42
; %bb.6027:                             ;   in Loop: Header=BB4_5789 Depth=2
	v_or_b32_e32 v42, 0x7e, v2
; %bb.6028:                             ;   in Loop: Header=BB4_5789 Depth=2
	s_or_b32 exec_lo, exec_lo, s10
                                        ; implicit-def: $vgpr2
.LBB4_6029:                             ;   in Loop: Header=BB4_5789 Depth=2
	s_and_not1_saveexec_b32 s10, s41
; %bb.6030:                             ;   in Loop: Header=BB4_5789 Depth=2
	v_or_b32_e32 v42, 0x7f, v2
; %bb.6031:                             ;   in Loop: Header=BB4_5789 Depth=2
	s_or_b32 exec_lo, exec_lo, s10
	v_dual_mov_b32 v3, 0 :: v_dual_lshrrev_b32 v2, 16, v12
	s_mov_b32 s10, exec_lo
	s_delay_alu instid0(VALU_DEP_1) | instskip(NEXT) | instid1(VALU_DEP_1)
	v_and_b32_e32 v10, 0xff, v2
	v_cmpx_ne_u16_e32 0, v10
	s_cbranch_execz .LBB4_6039
; %bb.6032:                             ;   in Loop: Header=BB4_5789 Depth=2
	v_bfrev_b32_e32 v3, 1
	s_mov_b32 s41, exec_lo
	v_cmpx_ne_u16_e32 0x80, v10
	s_cbranch_execz .LBB4_6038
; %bb.6033:                             ;   in Loop: Header=BB4_5789 Depth=2
	v_bfe_u32 v10, v12, 16, 7
	v_mov_b32_e32 v3, 0x7f800001
	s_mov_b32 s42, exec_lo
	s_delay_alu instid0(VALU_DEP_2)
	v_cmpx_ne_u32_e32 0x7f, v10
	s_cbranch_execz .LBB4_6037
; %bb.6034:                             ;   in Loop: Header=BB4_5789 Depth=2
	v_and_b32_e32 v36, 7, v2
	v_lshrrev_b32_e32 v3, 3, v10
	s_mov_b32 s43, exec_lo
	v_cmpx_gt_u32_e32 8, v10
; %bb.6035:                             ;   in Loop: Header=BB4_5789 Depth=2
	s_delay_alu instid0(VALU_DEP_3) | instskip(NEXT) | instid1(VALU_DEP_1)
	v_clz_i32_u32_e32 v3, v36
	v_min_u32_e32 v3, 32, v3
	s_delay_alu instid0(VALU_DEP_1) | instskip(NEXT) | instid1(VALU_DEP_1)
	v_subrev_nc_u32_e32 v10, 28, v3
	v_lshlrev_b64_e32 v[10:11], v10, v[36:37]
	s_delay_alu instid0(VALU_DEP_1)
	v_dual_sub_nc_u32 v3, 29, v3 :: v_dual_bitop2_b32 v36, 7, v10 bitop3:0x40
; %bb.6036:                             ;   in Loop: Header=BB4_5789 Depth=2
	s_or_b32 exec_lo, exec_lo, s43
	s_delay_alu instid0(VALU_DEP_1) | instskip(NEXT) | instid1(VALU_DEP_2)
	v_dual_lshlrev_b32 v2, 24, v2 :: v_dual_lshlrev_b32 v10, 20, v36
	v_lshl_add_u32 v3, v3, 23, 0x3c000000
	s_delay_alu instid0(VALU_DEP_2) | instskip(NEXT) | instid1(VALU_DEP_1)
	v_and_b32_e32 v2, 0x80000000, v2
	v_or3_b32 v3, v10, v2, v3
.LBB4_6037:                             ;   in Loop: Header=BB4_5789 Depth=2
	s_or_b32 exec_lo, exec_lo, s42
.LBB4_6038:                             ;   in Loop: Header=BB4_5789 Depth=2
	s_delay_alu instid0(SALU_CYCLE_1)
	s_or_b32 exec_lo, exec_lo, s41
.LBB4_6039:                             ;   in Loop: Header=BB4_5789 Depth=2
	s_delay_alu instid0(SALU_CYCLE_1) | instskip(NEXT) | instid1(VALU_DEP_1)
	s_or_b32 exec_lo, exec_lo, s10
	v_mul_f32_e32 v3, s11, v3
                                        ; implicit-def: $vgpr45
	s_mov_b32 s10, exec_lo
	s_delay_alu instid0(VALU_DEP_1) | instskip(SKIP_1) | instid1(VALU_DEP_2)
	v_and_b32_e32 v36, 0x7f800000, v3
	v_lshrrev_b32_e32 v2, 24, v3
	v_cmpx_ne_u64_e32 0x7f800000, v[36:37]
	s_xor_b32 s41, exec_lo, s10
	s_cbranch_execz .LBB4_6053
; %bb.6040:                             ;   in Loop: Header=BB4_5789 Depth=2
	v_and_b32_e32 v36, 0x7fffffff, v3
	v_and_b32_e32 v2, 0x80, v2
                                        ; implicit-def: $vgpr45
	s_mov_b32 s10, exec_lo
	s_delay_alu instid0(VALU_DEP_2)
	v_cmpx_gt_u64_e32 0x43e00001, v[36:37]
	s_xor_b32 s42, exec_lo, s10
	s_cbranch_execz .LBB4_6050
; %bb.6041:                             ;   in Loop: Header=BB4_5789 Depth=2
	v_mov_b32_e32 v45, 0
	s_mov_b32 s43, exec_lo
	v_cmpx_ne_u32_e32 0, v3
	s_cbranch_execz .LBB4_6049
; %bb.6042:                             ;   in Loop: Header=BB4_5789 Depth=2
	v_bfe_u32 v84, v3, 23, 8
	v_and_b32_e32 v3, 0x7fffff, v3
	s_delay_alu instid0(VALU_DEP_2) | instskip(SKIP_1) | instid1(VALU_DEP_3)
	v_sub_nc_u32_e32 v10, 0x79, v84
	v_cmp_gt_u32_e32 vcc_lo, 0x7a, v84
	v_or_b32_e32 v20, 0x800000, v3
	s_delay_alu instid0(VALU_DEP_3) | instskip(SKIP_1) | instid1(VALU_DEP_2)
	v_cndmask_b32_e32 v10, 0, v10, vcc_lo
	v_cmp_eq_u32_e32 vcc_lo, 0, v84
	v_cndmask_b32_e64 v85, v10, 0x78, vcc_lo
	s_delay_alu instid0(VALU_DEP_1) | instskip(SKIP_1) | instid1(VALU_DEP_2)
	v_dual_cndmask_b32 v36, v20, v3, vcc_lo :: v_dual_add_nc_u32 v10, 20, v85
	v_add_nc_u32_e32 v21, 19, v85
	v_lshlrev_b64_e64 v[10:11], v10, -1
	s_delay_alu instid0(VALU_DEP_2) | instskip(NEXT) | instid1(VALU_DEP_2)
	v_lshlrev_b64_e64 v[20:21], v21, 1
	v_bfi_b32 v83, v11, 0, 0
	s_delay_alu instid0(VALU_DEP_3) | instskip(SKIP_1) | instid1(VALU_DEP_2)
	v_bfi_b32 v82, v10, 0, v36
	v_lshrrev_b64 v[10:11], v85, v[36:37]
	v_cmp_eq_u64_e64 s10, v[82:83], v[20:21]
	s_delay_alu instid0(VALU_DEP_2)
	v_mov_b64_e32 v[82:83], v[10:11]
	s_and_saveexec_b32 s44, s10
; %bb.6043:                             ;   in Loop: Header=BB4_5789 Depth=2
	v_bfe_u32 v36, v10, 20, 1
	s_delay_alu instid0(VALU_DEP_1) | instskip(NEXT) | instid1(VALU_DEP_1)
	v_add_nc_u64_e32 v[20:21], v[10:11], v[36:37]
	v_add_nc_u64_e32 v[82:83], -1, v[20:21]
; %bb.6044:                             ;   in Loop: Header=BB4_5789 Depth=2
	s_or_b32 exec_lo, exec_lo, s44
	v_add_nc_u32_e32 v3, 0xffffff81, v84
	v_lshrrev_b32_e32 v11, 23, v10
	s_mov_b32 s10, exec_lo
	s_delay_alu instid0(VALU_DEP_2) | instskip(NEXT) | instid1(VALU_DEP_1)
	v_cndmask_b32_e64 v3, v3, 0xffffff82, vcc_lo
	v_add3_u32 v83, v85, v3, v11
	v_and_b32_e32 v3, 0xfffff, v82
	s_delay_alu instid0(VALU_DEP_1) | instskip(NEXT) | instid1(VALU_DEP_1)
	v_dual_add_nc_u32 v82, 6, v83 :: v_dual_add_nc_u32 v36, v3, v10
                                        ; implicit-def: $vgpr10_vgpr11
                                        ; implicit-def: $vgpr3
	v_cmpx_ne_u32_e32 0, v82
	s_xor_b32 s10, exec_lo, s10
; %bb.6045:                             ;   in Loop: Header=BB4_5789 Depth=2
	s_delay_alu instid0(VALU_DEP_2) | instskip(SKIP_2) | instid1(VALU_DEP_2)
	v_cmp_lt_u64_e32 vcc_lo, 0xffffff, v[36:37]
	v_add_nc_u32_e32 v3, 7, v83
	v_cndmask_b32_e64 v10, 0, 1, vcc_lo
	v_cndmask_b32_e32 v3, v82, v3, vcc_lo
	s_delay_alu instid0(VALU_DEP_2)
	v_lshrrev_b64 v[10:11], v10, v[36:37]
; %bb.6046:                             ;   in Loop: Header=BB4_5789 Depth=2
	s_and_not1_saveexec_b32 s10, s10
; %bb.6047:                             ;   in Loop: Header=BB4_5789 Depth=2
	v_mov_b64_e32 v[10:11], v[36:37]
	v_bfe_u32 v3, v36, 23, 1
; %bb.6048:                             ;   in Loop: Header=BB4_5789 Depth=2
	s_or_b32 exec_lo, exec_lo, s10
	s_delay_alu instid0(VALU_DEP_2) | instskip(NEXT) | instid1(VALU_DEP_2)
	v_lshrrev_b64 v[10:11], 20, v[10:11]
	v_cmp_gt_i32_e32 vcc_lo, 16, v3
	v_min_i32_e32 v20, 15, v3
	v_cmp_eq_u32_e64 s10, 0, v3
	s_delay_alu instid0(VALU_DEP_2) | instskip(SKIP_1) | instid1(VALU_DEP_2)
	v_dual_cndmask_b32 v10, 7, v10, vcc_lo :: v_dual_lshlrev_b32 v20, 3, v20
	v_cndmask_b32_e32 v11, 0, v11, vcc_lo
	v_and_b32_e32 v20, 0xf8, v20
	s_delay_alu instid0(VALU_DEP_2) | instskip(NEXT) | instid1(VALU_DEP_2)
	v_cmp_eq_u64_e32 vcc_lo, 0, v[10:11]
	v_and_or_b32 v3, v10, 7, v20
	s_and_b32 s10, s10, vcc_lo
	s_delay_alu instid0(VALU_DEP_1) | instid1(SALU_CYCLE_1)
	v_cndmask_b32_e64 v3, v3, 0, s10
	s_delay_alu instid0(VALU_DEP_1)
	v_or_b32_e32 v45, v3, v2
.LBB4_6049:                             ;   in Loop: Header=BB4_5789 Depth=2
	s_or_b32 exec_lo, exec_lo, s43
                                        ; implicit-def: $vgpr2
.LBB4_6050:                             ;   in Loop: Header=BB4_5789 Depth=2
	s_and_not1_saveexec_b32 s10, s42
; %bb.6051:                             ;   in Loop: Header=BB4_5789 Depth=2
	v_or_b32_e32 v45, 0x7e, v2
; %bb.6052:                             ;   in Loop: Header=BB4_5789 Depth=2
	s_or_b32 exec_lo, exec_lo, s10
                                        ; implicit-def: $vgpr2
.LBB4_6053:                             ;   in Loop: Header=BB4_5789 Depth=2
	s_and_not1_saveexec_b32 s10, s41
; %bb.6054:                             ;   in Loop: Header=BB4_5789 Depth=2
	v_or_b32_e32 v45, 0x7f, v2
; %bb.6055:                             ;   in Loop: Header=BB4_5789 Depth=2
	s_or_b32 exec_lo, exec_lo, s10
	v_mov_b32_e32 v3, 0
	s_mov_b32 s10, exec_lo
	v_cmpx_lt_u32_e32 0xffffff, v12
	s_cbranch_execz .LBB4_6063
; %bb.6056:                             ;   in Loop: Header=BB4_5789 Depth=2
	v_lshrrev_b32_e32 v2, 24, v12
	v_bfrev_b32_e32 v3, 1
	s_mov_b32 s41, exec_lo
	s_delay_alu instid0(VALU_DEP_2)
	v_cmpx_ne_u32_e32 0x80, v2
	s_cbranch_execz .LBB4_6062
; %bb.6057:                             ;   in Loop: Header=BB4_5789 Depth=2
	v_bfe_u32 v10, v12, 24, 7
	v_mov_b32_e32 v3, 0x7f800001
	s_mov_b32 s42, exec_lo
	s_delay_alu instid0(VALU_DEP_2)
	v_cmpx_ne_u32_e32 0x7f, v10
	s_cbranch_execz .LBB4_6061
; %bb.6058:                             ;   in Loop: Header=BB4_5789 Depth=2
	v_and_b32_e32 v36, 7, v2
	v_lshrrev_b32_e32 v3, 3, v10
	s_mov_b32 s43, exec_lo
	v_cmpx_gt_u32_e32 8, v10
; %bb.6059:                             ;   in Loop: Header=BB4_5789 Depth=2
	s_delay_alu instid0(VALU_DEP_3) | instskip(NEXT) | instid1(VALU_DEP_1)
	v_clz_i32_u32_e32 v3, v36
	v_min_u32_e32 v3, 32, v3
	s_delay_alu instid0(VALU_DEP_1) | instskip(NEXT) | instid1(VALU_DEP_1)
	v_subrev_nc_u32_e32 v10, 28, v3
	v_lshlrev_b64_e32 v[10:11], v10, v[36:37]
	s_delay_alu instid0(VALU_DEP_1)
	v_dual_sub_nc_u32 v3, 29, v3 :: v_dual_bitop2_b32 v36, 7, v10 bitop3:0x40
; %bb.6060:                             ;   in Loop: Header=BB4_5789 Depth=2
	s_or_b32 exec_lo, exec_lo, s43
	s_delay_alu instid0(VALU_DEP_1) | instskip(NEXT) | instid1(VALU_DEP_2)
	v_dual_lshlrev_b32 v2, 24, v2 :: v_dual_lshlrev_b32 v10, 20, v36
	v_lshl_add_u32 v3, v3, 23, 0x3c000000
	s_delay_alu instid0(VALU_DEP_2) | instskip(NEXT) | instid1(VALU_DEP_1)
	v_and_b32_e32 v2, 0x80000000, v2
	v_or3_b32 v3, v10, v2, v3
.LBB4_6061:                             ;   in Loop: Header=BB4_5789 Depth=2
	s_or_b32 exec_lo, exec_lo, s42
.LBB4_6062:                             ;   in Loop: Header=BB4_5789 Depth=2
	s_delay_alu instid0(SALU_CYCLE_1)
	s_or_b32 exec_lo, exec_lo, s41
.LBB4_6063:                             ;   in Loop: Header=BB4_5789 Depth=2
	s_delay_alu instid0(SALU_CYCLE_1) | instskip(NEXT) | instid1(VALU_DEP_1)
	s_or_b32 exec_lo, exec_lo, s10
	v_mul_f32_e32 v3, s11, v3
                                        ; implicit-def: $vgpr46
	s_mov_b32 s10, exec_lo
	s_delay_alu instid0(VALU_DEP_1) | instskip(SKIP_1) | instid1(VALU_DEP_2)
	v_and_b32_e32 v36, 0x7f800000, v3
	v_lshrrev_b32_e32 v2, 24, v3
	v_cmpx_ne_u64_e32 0x7f800000, v[36:37]
	s_xor_b32 s41, exec_lo, s10
	s_cbranch_execz .LBB4_6077
; %bb.6064:                             ;   in Loop: Header=BB4_5789 Depth=2
	v_and_b32_e32 v36, 0x7fffffff, v3
	v_and_b32_e32 v2, 0x80, v2
                                        ; implicit-def: $vgpr46
	s_mov_b32 s10, exec_lo
	s_delay_alu instid0(VALU_DEP_2)
	v_cmpx_gt_u64_e32 0x43e00001, v[36:37]
	s_xor_b32 s42, exec_lo, s10
	s_cbranch_execz .LBB4_6074
; %bb.6065:                             ;   in Loop: Header=BB4_5789 Depth=2
	v_mov_b32_e32 v46, 0
	s_mov_b32 s43, exec_lo
	v_cmpx_ne_u32_e32 0, v3
	s_cbranch_execz .LBB4_6073
; %bb.6066:                             ;   in Loop: Header=BB4_5789 Depth=2
	v_bfe_u32 v84, v3, 23, 8
	v_and_b32_e32 v3, 0x7fffff, v3
	s_delay_alu instid0(VALU_DEP_2) | instskip(SKIP_1) | instid1(VALU_DEP_3)
	v_sub_nc_u32_e32 v10, 0x79, v84
	v_cmp_gt_u32_e32 vcc_lo, 0x7a, v84
	v_or_b32_e32 v20, 0x800000, v3
	s_delay_alu instid0(VALU_DEP_3) | instskip(SKIP_1) | instid1(VALU_DEP_2)
	v_cndmask_b32_e32 v10, 0, v10, vcc_lo
	v_cmp_eq_u32_e32 vcc_lo, 0, v84
	v_cndmask_b32_e64 v85, v10, 0x78, vcc_lo
	s_delay_alu instid0(VALU_DEP_1) | instskip(SKIP_1) | instid1(VALU_DEP_2)
	v_dual_cndmask_b32 v36, v20, v3, vcc_lo :: v_dual_add_nc_u32 v10, 20, v85
	v_add_nc_u32_e32 v21, 19, v85
	v_lshlrev_b64_e64 v[10:11], v10, -1
	s_delay_alu instid0(VALU_DEP_2) | instskip(NEXT) | instid1(VALU_DEP_2)
	v_lshlrev_b64_e64 v[20:21], v21, 1
	v_bfi_b32 v83, v11, 0, 0
	s_delay_alu instid0(VALU_DEP_3) | instskip(SKIP_1) | instid1(VALU_DEP_2)
	v_bfi_b32 v82, v10, 0, v36
	v_lshrrev_b64 v[10:11], v85, v[36:37]
	v_cmp_eq_u64_e64 s10, v[82:83], v[20:21]
	s_delay_alu instid0(VALU_DEP_2)
	v_mov_b64_e32 v[82:83], v[10:11]
	s_and_saveexec_b32 s44, s10
; %bb.6067:                             ;   in Loop: Header=BB4_5789 Depth=2
	v_bfe_u32 v36, v10, 20, 1
	s_delay_alu instid0(VALU_DEP_1) | instskip(NEXT) | instid1(VALU_DEP_1)
	v_add_nc_u64_e32 v[20:21], v[10:11], v[36:37]
	v_add_nc_u64_e32 v[82:83], -1, v[20:21]
; %bb.6068:                             ;   in Loop: Header=BB4_5789 Depth=2
	s_or_b32 exec_lo, exec_lo, s44
	v_add_nc_u32_e32 v3, 0xffffff81, v84
	v_lshrrev_b32_e32 v11, 23, v10
	s_mov_b32 s10, exec_lo
	s_delay_alu instid0(VALU_DEP_2) | instskip(NEXT) | instid1(VALU_DEP_1)
	v_cndmask_b32_e64 v3, v3, 0xffffff82, vcc_lo
	v_add3_u32 v83, v85, v3, v11
	v_and_b32_e32 v3, 0xfffff, v82
	s_delay_alu instid0(VALU_DEP_1) | instskip(NEXT) | instid1(VALU_DEP_1)
	v_dual_add_nc_u32 v82, 6, v83 :: v_dual_add_nc_u32 v36, v3, v10
                                        ; implicit-def: $vgpr10_vgpr11
                                        ; implicit-def: $vgpr3
	v_cmpx_ne_u32_e32 0, v82
	s_xor_b32 s10, exec_lo, s10
; %bb.6069:                             ;   in Loop: Header=BB4_5789 Depth=2
	s_delay_alu instid0(VALU_DEP_2) | instskip(SKIP_2) | instid1(VALU_DEP_2)
	v_cmp_lt_u64_e32 vcc_lo, 0xffffff, v[36:37]
	v_add_nc_u32_e32 v3, 7, v83
	v_cndmask_b32_e64 v10, 0, 1, vcc_lo
	v_cndmask_b32_e32 v3, v82, v3, vcc_lo
	s_delay_alu instid0(VALU_DEP_2)
	v_lshrrev_b64 v[10:11], v10, v[36:37]
; %bb.6070:                             ;   in Loop: Header=BB4_5789 Depth=2
	s_and_not1_saveexec_b32 s10, s10
; %bb.6071:                             ;   in Loop: Header=BB4_5789 Depth=2
	v_mov_b64_e32 v[10:11], v[36:37]
	v_bfe_u32 v3, v36, 23, 1
; %bb.6072:                             ;   in Loop: Header=BB4_5789 Depth=2
	s_or_b32 exec_lo, exec_lo, s10
	s_delay_alu instid0(VALU_DEP_2) | instskip(NEXT) | instid1(VALU_DEP_2)
	v_lshrrev_b64 v[10:11], 20, v[10:11]
	v_cmp_gt_i32_e32 vcc_lo, 16, v3
	v_min_i32_e32 v20, 15, v3
	v_cmp_eq_u32_e64 s10, 0, v3
	s_delay_alu instid0(VALU_DEP_2) | instskip(SKIP_1) | instid1(VALU_DEP_2)
	v_dual_cndmask_b32 v10, 7, v10, vcc_lo :: v_dual_lshlrev_b32 v20, 3, v20
	v_cndmask_b32_e32 v11, 0, v11, vcc_lo
	v_and_b32_e32 v20, 0xf8, v20
	s_delay_alu instid0(VALU_DEP_2) | instskip(NEXT) | instid1(VALU_DEP_2)
	v_cmp_eq_u64_e32 vcc_lo, 0, v[10:11]
	v_and_or_b32 v3, v10, 7, v20
	s_and_b32 s10, s10, vcc_lo
	s_delay_alu instid0(VALU_DEP_1) | instid1(SALU_CYCLE_1)
	v_cndmask_b32_e64 v3, v3, 0, s10
	s_delay_alu instid0(VALU_DEP_1)
	v_or_b32_e32 v46, v3, v2
.LBB4_6073:                             ;   in Loop: Header=BB4_5789 Depth=2
	s_or_b32 exec_lo, exec_lo, s43
                                        ; implicit-def: $vgpr2
.LBB4_6074:                             ;   in Loop: Header=BB4_5789 Depth=2
	s_and_not1_saveexec_b32 s10, s42
; %bb.6075:                             ;   in Loop: Header=BB4_5789 Depth=2
	v_or_b32_e32 v46, 0x7e, v2
; %bb.6076:                             ;   in Loop: Header=BB4_5789 Depth=2
	s_or_b32 exec_lo, exec_lo, s10
                                        ; implicit-def: $vgpr2
.LBB4_6077:                             ;   in Loop: Header=BB4_5789 Depth=2
	s_and_not1_saveexec_b32 s10, s41
; %bb.6078:                             ;   in Loop: Header=BB4_5789 Depth=2
	v_or_b32_e32 v46, 0x7f, v2
; %bb.6079:                             ;   in Loop: Header=BB4_5789 Depth=2
	s_or_b32 exec_lo, exec_lo, s10
	v_and_b32_e32 v3, 0xff, v13
	v_dual_mov_b32 v36, v13 :: v_dual_mov_b32 v2, 0
	s_mov_b32 s10, exec_lo
	s_delay_alu instid0(VALU_DEP_2)
	v_cmpx_ne_u16_e32 0, v3
	s_cbranch_execz .LBB4_6085
; %bb.6080:                             ;   in Loop: Header=BB4_5789 Depth=2
	v_bfrev_b32_e32 v2, 1
	s_mov_b32 s41, exec_lo
	v_cmpx_ne_u16_e32 0x80, v3
	s_cbranch_execz .LBB4_6084
; %bb.6081:                             ;   in Loop: Header=BB4_5789 Depth=2
	v_and_b32_e32 v3, 0x7f, v13
	v_mov_b32_e32 v2, 0x7f800001
	s_mov_b32 s42, exec_lo
	s_delay_alu instid0(VALU_DEP_2)
	v_cmpx_ne_u32_e32 0x7f, v3
	s_cbranch_execz .LBB4_6083
; %bb.6082:                             ;   in Loop: Header=BB4_5789 Depth=2
	v_dual_lshrrev_b32 v10, 3, v3 :: v_dual_bitop2_b32 v2, 7, v13 bitop3:0x40
	v_cmp_gt_u32_e32 vcc_lo, 8, v3
	s_delay_alu instid0(VALU_DEP_2) | instskip(NEXT) | instid1(VALU_DEP_1)
	v_clz_i32_u32_e32 v2, v2
	v_min_u32_e32 v2, 32, v2
	s_delay_alu instid0(VALU_DEP_1) | instskip(SKIP_1) | instid1(VALU_DEP_1)
	v_subrev_nc_u32_e32 v11, 28, v2
	v_sub_nc_u32_e32 v2, 29, v2
	v_dual_cndmask_b32 v10, v10, v2, vcc_lo :: v_dual_cndmask_b32 v2, 0, v11, vcc_lo
	s_delay_alu instid0(VALU_DEP_1) | instskip(NEXT) | instid1(VALU_DEP_2)
	v_lshl_add_u32 v10, v10, 23, 0x3c000000
	v_lshlrev_b64_e32 v[2:3], v2, v[36:37]
	v_lshlrev_b32_e32 v3, 24, v36
	s_delay_alu instid0(VALU_DEP_1) | instskip(NEXT) | instid1(VALU_DEP_3)
	v_and_b32_e32 v3, 0x80000000, v3
	v_lshlrev_b32_e32 v2, 20, v2
	s_delay_alu instid0(VALU_DEP_1) | instskip(NEXT) | instid1(VALU_DEP_1)
	v_and_b32_e32 v2, 0x700000, v2
	v_or3_b32 v2, v2, v3, v10
.LBB4_6083:                             ;   in Loop: Header=BB4_5789 Depth=2
	s_or_b32 exec_lo, exec_lo, s42
.LBB4_6084:                             ;   in Loop: Header=BB4_5789 Depth=2
	s_delay_alu instid0(SALU_CYCLE_1)
	s_or_b32 exec_lo, exec_lo, s41
.LBB4_6085:                             ;   in Loop: Header=BB4_5789 Depth=2
	s_delay_alu instid0(SALU_CYCLE_1) | instskip(NEXT) | instid1(VALU_DEP_1)
	s_or_b32 exec_lo, exec_lo, s10
	v_dual_mul_f32 v3, s11, v2 :: v_dual_mov_b32 v11, v37
                                        ; implicit-def: $vgpr116
	s_mov_b32 s10, exec_lo
	s_delay_alu instid0(VALU_DEP_1) | instskip(SKIP_1) | instid1(VALU_DEP_2)
	v_and_b32_e32 v10, 0x7f800000, v3
	v_lshrrev_b32_e32 v2, 24, v3
	v_cmpx_ne_u64_e32 0x7f800000, v[10:11]
	s_xor_b32 s41, exec_lo, s10
	s_cbranch_execz .LBB4_6099
; %bb.6086:                             ;   in Loop: Header=BB4_5789 Depth=2
	v_and_b32_e32 v10, 0x7fffffff, v3
	v_mov_b32_e32 v11, v37
	v_and_b32_e32 v2, 0x80, v2
                                        ; implicit-def: $vgpr116
	s_mov_b32 s10, exec_lo
	s_delay_alu instid0(VALU_DEP_2)
	v_cmpx_gt_u64_e32 0x43e00001, v[10:11]
	s_xor_b32 s42, exec_lo, s10
	s_cbranch_execz .LBB4_6096
; %bb.6087:                             ;   in Loop: Header=BB4_5789 Depth=2
	v_mov_b32_e32 v116, 0
	s_mov_b32 s43, exec_lo
	v_cmpx_ne_u32_e32 0, v3
	s_cbranch_execz .LBB4_6095
; %bb.6088:                             ;   in Loop: Header=BB4_5789 Depth=2
	v_bfe_u32 v84, v3, 23, 8
	v_and_b32_e32 v3, 0x7fffff, v3
	s_delay_alu instid0(VALU_DEP_2) | instskip(SKIP_1) | instid1(VALU_DEP_3)
	v_dual_mov_b32 v21, v37 :: v_dual_sub_nc_u32 v10, 0x79, v84
	v_cmp_gt_u32_e32 vcc_lo, 0x7a, v84
	v_or_b32_e32 v20, 0x800000, v3
	s_delay_alu instid0(VALU_DEP_3) | instskip(SKIP_1) | instid1(VALU_DEP_2)
	v_cndmask_b32_e32 v10, 0, v10, vcc_lo
	v_cmp_eq_u32_e32 vcc_lo, 0, v84
	v_cndmask_b32_e64 v85, v10, 0x78, vcc_lo
	s_delay_alu instid0(VALU_DEP_1) | instskip(SKIP_1) | instid1(VALU_DEP_2)
	v_dual_cndmask_b32 v20, v20, v3, vcc_lo :: v_dual_add_nc_u32 v10, 20, v85
	v_add_nc_u32_e32 v82, 19, v85
	v_lshlrev_b64_e64 v[10:11], v10, -1
	s_delay_alu instid0(VALU_DEP_2) | instskip(NEXT) | instid1(VALU_DEP_2)
	v_lshlrev_b64_e64 v[82:83], v82, 1
	v_bfi_b32 v59, v11, 0, 0
	s_delay_alu instid0(VALU_DEP_3) | instskip(SKIP_1) | instid1(VALU_DEP_2)
	v_bfi_b32 v58, v10, 0, v20
	v_lshrrev_b64 v[10:11], v85, v[20:21]
	v_cmp_eq_u64_e64 s10, v[58:59], v[82:83]
	s_delay_alu instid0(VALU_DEP_2)
	v_mov_b64_e32 v[82:83], v[10:11]
	s_and_saveexec_b32 s44, s10
; %bb.6089:                             ;   in Loop: Header=BB4_5789 Depth=2
	v_bfe_u32 v20, v10, 20, 1
	v_mov_b32_e32 v21, v37
	s_delay_alu instid0(VALU_DEP_1) | instskip(NEXT) | instid1(VALU_DEP_1)
	v_add_nc_u64_e32 v[20:21], v[10:11], v[20:21]
	v_add_nc_u64_e32 v[82:83], -1, v[20:21]
; %bb.6090:                             ;   in Loop: Header=BB4_5789 Depth=2
	s_or_b32 exec_lo, exec_lo, s44
	v_add_nc_u32_e32 v3, 0xffffff81, v84
	v_lshrrev_b32_e32 v11, 23, v10
	s_mov_b32 s10, exec_lo
	s_delay_alu instid0(VALU_DEP_2) | instskip(NEXT) | instid1(VALU_DEP_1)
	v_cndmask_b32_e64 v3, v3, 0xffffff82, vcc_lo
	v_add3_u32 v83, v85, v3, v11
	v_and_b32_e32 v3, 0xfffff, v82
	s_delay_alu instid0(VALU_DEP_2) | instskip(NEXT) | instid1(VALU_DEP_2)
	v_dual_mov_b32 v11, v37 :: v_dual_add_nc_u32 v82, 6, v83
	v_add_nc_u32_e32 v10, v3, v10
                                        ; implicit-def: $vgpr3
	s_delay_alu instid0(VALU_DEP_2)
	v_cmpx_ne_u32_e32 0, v82
	s_xor_b32 s10, exec_lo, s10
; %bb.6091:                             ;   in Loop: Header=BB4_5789 Depth=2
	s_delay_alu instid0(VALU_DEP_2) | instskip(SKIP_2) | instid1(VALU_DEP_2)
	v_cmp_lt_u64_e32 vcc_lo, 0xffffff, v[10:11]
	v_add_nc_u32_e32 v3, 7, v83
	v_cndmask_b32_e64 v20, 0, 1, vcc_lo
	v_cndmask_b32_e32 v3, v82, v3, vcc_lo
	s_delay_alu instid0(VALU_DEP_2)
	v_lshrrev_b64 v[10:11], v20, v[10:11]
; %bb.6092:                             ;   in Loop: Header=BB4_5789 Depth=2
	s_and_not1_saveexec_b32 s10, s10
; %bb.6093:                             ;   in Loop: Header=BB4_5789 Depth=2
	s_delay_alu instid0(VALU_DEP_1)
	v_bfe_u32 v3, v10, 23, 1
; %bb.6094:                             ;   in Loop: Header=BB4_5789 Depth=2
	s_or_b32 exec_lo, exec_lo, s10
	s_delay_alu instid0(VALU_DEP_2) | instskip(NEXT) | instid1(VALU_DEP_2)
	v_lshrrev_b64 v[10:11], 20, v[10:11]
	v_cmp_gt_i32_e32 vcc_lo, 16, v3
	v_min_i32_e32 v20, 15, v3
	v_cmp_eq_u32_e64 s10, 0, v3
	s_delay_alu instid0(VALU_DEP_2) | instskip(SKIP_1) | instid1(VALU_DEP_2)
	v_dual_cndmask_b32 v10, 7, v10, vcc_lo :: v_dual_lshlrev_b32 v20, 3, v20
	v_cndmask_b32_e32 v11, 0, v11, vcc_lo
	v_and_b32_e32 v20, 0xf8, v20
	s_delay_alu instid0(VALU_DEP_2) | instskip(NEXT) | instid1(VALU_DEP_2)
	v_cmp_eq_u64_e32 vcc_lo, 0, v[10:11]
	v_and_or_b32 v3, v10, 7, v20
	s_and_b32 s10, s10, vcc_lo
	s_delay_alu instid0(VALU_DEP_1) | instid1(SALU_CYCLE_1)
	v_cndmask_b32_e64 v3, v3, 0, s10
	s_delay_alu instid0(VALU_DEP_1)
	v_or_b32_e32 v116, v3, v2
.LBB4_6095:                             ;   in Loop: Header=BB4_5789 Depth=2
	s_or_b32 exec_lo, exec_lo, s43
                                        ; implicit-def: $vgpr2
.LBB4_6096:                             ;   in Loop: Header=BB4_5789 Depth=2
	s_and_not1_saveexec_b32 s10, s42
; %bb.6097:                             ;   in Loop: Header=BB4_5789 Depth=2
	v_or_b32_e32 v116, 0x7e, v2
; %bb.6098:                             ;   in Loop: Header=BB4_5789 Depth=2
	s_or_b32 exec_lo, exec_lo, s10
                                        ; implicit-def: $vgpr2
.LBB4_6099:                             ;   in Loop: Header=BB4_5789 Depth=2
	s_and_not1_saveexec_b32 s10, s41
; %bb.6100:                             ;   in Loop: Header=BB4_5789 Depth=2
	v_or_b32_e32 v116, 0x7f, v2
; %bb.6101:                             ;   in Loop: Header=BB4_5789 Depth=2
	s_or_b32 exec_lo, exec_lo, s10
	v_lshrrev_b16 v3, 8, v36
	v_mov_b32_e32 v2, 0
	s_mov_b32 s10, exec_lo
	s_delay_alu instid0(VALU_DEP_2)
	v_cmpx_ne_u16_e32 0, v3
	s_cbranch_execz .LBB4_6109
; %bb.6102:                             ;   in Loop: Header=BB4_5789 Depth=2
	v_bfrev_b32_e32 v2, 1
	s_mov_b32 s41, exec_lo
	v_cmpx_ne_u16_e32 0x80, v3
	s_cbranch_execz .LBB4_6108
; %bb.6103:                             ;   in Loop: Header=BB4_5789 Depth=2
	v_and_b32_e32 v10, 0xffff, v3
	v_mov_b32_e32 v2, 0x7f800001
	s_mov_b32 s42, exec_lo
	s_delay_alu instid0(VALU_DEP_2) | instskip(NEXT) | instid1(VALU_DEP_1)
	v_and_b32_e32 v3, 0x7f, v10
	v_cmpx_ne_u32_e32 0x7f, v3
	s_cbranch_execz .LBB4_6107
; %bb.6104:                             ;   in Loop: Header=BB4_5789 Depth=2
	v_dual_mov_b32 v11, v37 :: v_dual_bitop2_b32 v10, 7, v10 bitop3:0x40
	v_lshrrev_b32_e32 v2, 3, v3
	s_mov_b32 s43, exec_lo
	v_cmpx_gt_u32_e32 8, v3
; %bb.6105:                             ;   in Loop: Header=BB4_5789 Depth=2
	s_delay_alu instid0(VALU_DEP_3) | instskip(NEXT) | instid1(VALU_DEP_1)
	v_clz_i32_u32_e32 v2, v10
	v_min_u32_e32 v2, 32, v2
	s_delay_alu instid0(VALU_DEP_1) | instskip(SKIP_1) | instid1(VALU_DEP_2)
	v_subrev_nc_u32_e32 v3, 28, v2
	v_sub_nc_u32_e32 v2, 29, v2
	v_lshlrev_b64_e32 v[10:11], v3, v[10:11]
	s_delay_alu instid0(VALU_DEP_1)
	v_and_b32_e32 v10, 7, v10
; %bb.6106:                             ;   in Loop: Header=BB4_5789 Depth=2
	s_or_b32 exec_lo, exec_lo, s43
	s_delay_alu instid0(VALU_DEP_1) | instskip(SKIP_1) | instid1(VALU_DEP_2)
	v_dual_lshlrev_b32 v3, 16, v36 :: v_dual_lshlrev_b32 v10, 20, v10
	v_lshl_add_u32 v2, v2, 23, 0x3c000000
	v_and_b32_e32 v3, 0x80000000, v3
	s_delay_alu instid0(VALU_DEP_1)
	v_or3_b32 v2, v10, v3, v2
.LBB4_6107:                             ;   in Loop: Header=BB4_5789 Depth=2
	s_or_b32 exec_lo, exec_lo, s42
.LBB4_6108:                             ;   in Loop: Header=BB4_5789 Depth=2
	s_delay_alu instid0(SALU_CYCLE_1)
	s_or_b32 exec_lo, exec_lo, s41
.LBB4_6109:                             ;   in Loop: Header=BB4_5789 Depth=2
	s_delay_alu instid0(SALU_CYCLE_1) | instskip(NEXT) | instid1(VALU_DEP_1)
	s_or_b32 exec_lo, exec_lo, s10
	v_mul_f32_e32 v3, s11, v2
                                        ; implicit-def: $vgpr118
	s_mov_b32 s10, exec_lo
	s_delay_alu instid0(VALU_DEP_1) | instskip(SKIP_1) | instid1(VALU_DEP_2)
	v_and_b32_e32 v36, 0x7f800000, v3
	v_lshrrev_b32_e32 v2, 24, v3
	v_cmpx_ne_u64_e32 0x7f800000, v[36:37]
	s_xor_b32 s41, exec_lo, s10
	s_cbranch_execz .LBB4_6123
; %bb.6110:                             ;   in Loop: Header=BB4_5789 Depth=2
	v_and_b32_e32 v36, 0x7fffffff, v3
	v_and_b32_e32 v2, 0x80, v2
                                        ; implicit-def: $vgpr118
	s_mov_b32 s10, exec_lo
	s_delay_alu instid0(VALU_DEP_2)
	v_cmpx_gt_u64_e32 0x43e00001, v[36:37]
	s_xor_b32 s42, exec_lo, s10
	s_cbranch_execz .LBB4_6120
; %bb.6111:                             ;   in Loop: Header=BB4_5789 Depth=2
	v_mov_b32_e32 v118, 0
	s_mov_b32 s43, exec_lo
	v_cmpx_ne_u32_e32 0, v3
	s_cbranch_execz .LBB4_6119
; %bb.6112:                             ;   in Loop: Header=BB4_5789 Depth=2
	v_bfe_u32 v84, v3, 23, 8
	v_and_b32_e32 v3, 0x7fffff, v3
	s_delay_alu instid0(VALU_DEP_2) | instskip(SKIP_1) | instid1(VALU_DEP_3)
	v_sub_nc_u32_e32 v10, 0x79, v84
	v_cmp_gt_u32_e32 vcc_lo, 0x7a, v84
	v_or_b32_e32 v20, 0x800000, v3
	s_delay_alu instid0(VALU_DEP_3) | instskip(SKIP_1) | instid1(VALU_DEP_2)
	v_cndmask_b32_e32 v10, 0, v10, vcc_lo
	v_cmp_eq_u32_e32 vcc_lo, 0, v84
	v_cndmask_b32_e64 v85, v10, 0x78, vcc_lo
	s_delay_alu instid0(VALU_DEP_1) | instskip(SKIP_1) | instid1(VALU_DEP_2)
	v_dual_cndmask_b32 v36, v20, v3, vcc_lo :: v_dual_add_nc_u32 v10, 20, v85
	v_add_nc_u32_e32 v21, 19, v85
	v_lshlrev_b64_e64 v[10:11], v10, -1
	s_delay_alu instid0(VALU_DEP_2) | instskip(NEXT) | instid1(VALU_DEP_2)
	v_lshlrev_b64_e64 v[20:21], v21, 1
	v_bfi_b32 v83, v11, 0, 0
	s_delay_alu instid0(VALU_DEP_3) | instskip(SKIP_1) | instid1(VALU_DEP_2)
	v_bfi_b32 v82, v10, 0, v36
	v_lshrrev_b64 v[10:11], v85, v[36:37]
	v_cmp_eq_u64_e64 s10, v[82:83], v[20:21]
	s_delay_alu instid0(VALU_DEP_2)
	v_mov_b64_e32 v[82:83], v[10:11]
	s_and_saveexec_b32 s44, s10
; %bb.6113:                             ;   in Loop: Header=BB4_5789 Depth=2
	v_bfe_u32 v36, v10, 20, 1
	s_delay_alu instid0(VALU_DEP_1) | instskip(NEXT) | instid1(VALU_DEP_1)
	v_add_nc_u64_e32 v[20:21], v[10:11], v[36:37]
	v_add_nc_u64_e32 v[82:83], -1, v[20:21]
; %bb.6114:                             ;   in Loop: Header=BB4_5789 Depth=2
	s_or_b32 exec_lo, exec_lo, s44
	v_add_nc_u32_e32 v3, 0xffffff81, v84
	v_lshrrev_b32_e32 v11, 23, v10
	s_mov_b32 s10, exec_lo
	s_delay_alu instid0(VALU_DEP_2) | instskip(NEXT) | instid1(VALU_DEP_1)
	v_cndmask_b32_e64 v3, v3, 0xffffff82, vcc_lo
	v_add3_u32 v83, v85, v3, v11
	v_and_b32_e32 v3, 0xfffff, v82
	s_delay_alu instid0(VALU_DEP_1) | instskip(NEXT) | instid1(VALU_DEP_1)
	v_dual_add_nc_u32 v82, 6, v83 :: v_dual_add_nc_u32 v36, v3, v10
                                        ; implicit-def: $vgpr10_vgpr11
                                        ; implicit-def: $vgpr3
	v_cmpx_ne_u32_e32 0, v82
	s_xor_b32 s10, exec_lo, s10
; %bb.6115:                             ;   in Loop: Header=BB4_5789 Depth=2
	s_delay_alu instid0(VALU_DEP_2) | instskip(SKIP_2) | instid1(VALU_DEP_2)
	v_cmp_lt_u64_e32 vcc_lo, 0xffffff, v[36:37]
	v_add_nc_u32_e32 v3, 7, v83
	v_cndmask_b32_e64 v10, 0, 1, vcc_lo
	v_cndmask_b32_e32 v3, v82, v3, vcc_lo
	s_delay_alu instid0(VALU_DEP_2)
	v_lshrrev_b64 v[10:11], v10, v[36:37]
; %bb.6116:                             ;   in Loop: Header=BB4_5789 Depth=2
	s_and_not1_saveexec_b32 s10, s10
; %bb.6117:                             ;   in Loop: Header=BB4_5789 Depth=2
	v_mov_b64_e32 v[10:11], v[36:37]
	v_bfe_u32 v3, v36, 23, 1
; %bb.6118:                             ;   in Loop: Header=BB4_5789 Depth=2
	s_or_b32 exec_lo, exec_lo, s10
	s_delay_alu instid0(VALU_DEP_2) | instskip(NEXT) | instid1(VALU_DEP_2)
	v_lshrrev_b64 v[10:11], 20, v[10:11]
	v_cmp_gt_i32_e32 vcc_lo, 16, v3
	v_min_i32_e32 v20, 15, v3
	v_cmp_eq_u32_e64 s10, 0, v3
	s_delay_alu instid0(VALU_DEP_2) | instskip(SKIP_1) | instid1(VALU_DEP_2)
	v_dual_cndmask_b32 v10, 7, v10, vcc_lo :: v_dual_lshlrev_b32 v20, 3, v20
	v_cndmask_b32_e32 v11, 0, v11, vcc_lo
	v_and_b32_e32 v20, 0xf8, v20
	s_delay_alu instid0(VALU_DEP_2) | instskip(NEXT) | instid1(VALU_DEP_2)
	v_cmp_eq_u64_e32 vcc_lo, 0, v[10:11]
	v_and_or_b32 v3, v10, 7, v20
	s_and_b32 s10, s10, vcc_lo
	s_delay_alu instid0(VALU_DEP_1) | instid1(SALU_CYCLE_1)
	v_cndmask_b32_e64 v3, v3, 0, s10
	s_delay_alu instid0(VALU_DEP_1)
	v_or_b32_e32 v118, v3, v2
.LBB4_6119:                             ;   in Loop: Header=BB4_5789 Depth=2
	s_or_b32 exec_lo, exec_lo, s43
                                        ; implicit-def: $vgpr2
.LBB4_6120:                             ;   in Loop: Header=BB4_5789 Depth=2
	s_and_not1_saveexec_b32 s10, s42
; %bb.6121:                             ;   in Loop: Header=BB4_5789 Depth=2
	v_or_b32_e32 v118, 0x7e, v2
; %bb.6122:                             ;   in Loop: Header=BB4_5789 Depth=2
	s_or_b32 exec_lo, exec_lo, s10
                                        ; implicit-def: $vgpr2
.LBB4_6123:                             ;   in Loop: Header=BB4_5789 Depth=2
	s_and_not1_saveexec_b32 s10, s41
; %bb.6124:                             ;   in Loop: Header=BB4_5789 Depth=2
	v_or_b32_e32 v118, 0x7f, v2
; %bb.6125:                             ;   in Loop: Header=BB4_5789 Depth=2
	s_or_b32 exec_lo, exec_lo, s10
	v_dual_mov_b32 v3, 0 :: v_dual_lshrrev_b32 v2, 16, v13
	s_mov_b32 s10, exec_lo
	s_delay_alu instid0(VALU_DEP_1) | instskip(NEXT) | instid1(VALU_DEP_1)
	v_and_b32_e32 v10, 0xff, v2
	v_cmpx_ne_u16_e32 0, v10
	s_cbranch_execz .LBB4_6133
; %bb.6126:                             ;   in Loop: Header=BB4_5789 Depth=2
	v_bfrev_b32_e32 v3, 1
	s_mov_b32 s41, exec_lo
	v_cmpx_ne_u16_e32 0x80, v10
	s_cbranch_execz .LBB4_6132
; %bb.6127:                             ;   in Loop: Header=BB4_5789 Depth=2
	v_bfe_u32 v10, v13, 16, 7
	v_mov_b32_e32 v3, 0x7f800001
	s_mov_b32 s42, exec_lo
	s_delay_alu instid0(VALU_DEP_2)
	v_cmpx_ne_u32_e32 0x7f, v10
	s_cbranch_execz .LBB4_6131
; %bb.6128:                             ;   in Loop: Header=BB4_5789 Depth=2
	v_and_b32_e32 v36, 7, v2
	v_lshrrev_b32_e32 v3, 3, v10
	s_mov_b32 s43, exec_lo
	v_cmpx_gt_u32_e32 8, v10
; %bb.6129:                             ;   in Loop: Header=BB4_5789 Depth=2
	s_delay_alu instid0(VALU_DEP_3) | instskip(NEXT) | instid1(VALU_DEP_1)
	v_clz_i32_u32_e32 v3, v36
	v_min_u32_e32 v3, 32, v3
	s_delay_alu instid0(VALU_DEP_1) | instskip(NEXT) | instid1(VALU_DEP_1)
	v_subrev_nc_u32_e32 v10, 28, v3
	v_lshlrev_b64_e32 v[10:11], v10, v[36:37]
	s_delay_alu instid0(VALU_DEP_1)
	v_dual_sub_nc_u32 v3, 29, v3 :: v_dual_bitop2_b32 v36, 7, v10 bitop3:0x40
; %bb.6130:                             ;   in Loop: Header=BB4_5789 Depth=2
	s_or_b32 exec_lo, exec_lo, s43
	s_delay_alu instid0(VALU_DEP_1) | instskip(NEXT) | instid1(VALU_DEP_2)
	v_dual_lshlrev_b32 v2, 24, v2 :: v_dual_lshlrev_b32 v10, 20, v36
	v_lshl_add_u32 v3, v3, 23, 0x3c000000
	s_delay_alu instid0(VALU_DEP_2) | instskip(NEXT) | instid1(VALU_DEP_1)
	v_and_b32_e32 v2, 0x80000000, v2
	v_or3_b32 v3, v10, v2, v3
.LBB4_6131:                             ;   in Loop: Header=BB4_5789 Depth=2
	s_or_b32 exec_lo, exec_lo, s42
.LBB4_6132:                             ;   in Loop: Header=BB4_5789 Depth=2
	s_delay_alu instid0(SALU_CYCLE_1)
	s_or_b32 exec_lo, exec_lo, s41
.LBB4_6133:                             ;   in Loop: Header=BB4_5789 Depth=2
	s_delay_alu instid0(SALU_CYCLE_1) | instskip(NEXT) | instid1(VALU_DEP_1)
	s_or_b32 exec_lo, exec_lo, s10
	v_mul_f32_e32 v3, s11, v3
                                        ; implicit-def: $vgpr41
	s_mov_b32 s10, exec_lo
	s_delay_alu instid0(VALU_DEP_1) | instskip(SKIP_1) | instid1(VALU_DEP_2)
	v_and_b32_e32 v36, 0x7f800000, v3
	v_lshrrev_b32_e32 v2, 24, v3
	v_cmpx_ne_u64_e32 0x7f800000, v[36:37]
	s_xor_b32 s41, exec_lo, s10
	s_cbranch_execz .LBB4_6147
; %bb.6134:                             ;   in Loop: Header=BB4_5789 Depth=2
	v_and_b32_e32 v36, 0x7fffffff, v3
	v_and_b32_e32 v2, 0x80, v2
                                        ; implicit-def: $vgpr41
	s_mov_b32 s10, exec_lo
	s_delay_alu instid0(VALU_DEP_2)
	v_cmpx_gt_u64_e32 0x43e00001, v[36:37]
	s_xor_b32 s42, exec_lo, s10
	s_cbranch_execz .LBB4_6144
; %bb.6135:                             ;   in Loop: Header=BB4_5789 Depth=2
	v_mov_b32_e32 v41, 0
	s_mov_b32 s43, exec_lo
	v_cmpx_ne_u32_e32 0, v3
	s_cbranch_execz .LBB4_6143
; %bb.6136:                             ;   in Loop: Header=BB4_5789 Depth=2
	v_bfe_u32 v84, v3, 23, 8
	v_and_b32_e32 v3, 0x7fffff, v3
	s_delay_alu instid0(VALU_DEP_2) | instskip(SKIP_1) | instid1(VALU_DEP_3)
	v_sub_nc_u32_e32 v10, 0x79, v84
	v_cmp_gt_u32_e32 vcc_lo, 0x7a, v84
	v_or_b32_e32 v20, 0x800000, v3
	s_delay_alu instid0(VALU_DEP_3) | instskip(SKIP_1) | instid1(VALU_DEP_2)
	v_cndmask_b32_e32 v10, 0, v10, vcc_lo
	v_cmp_eq_u32_e32 vcc_lo, 0, v84
	v_cndmask_b32_e64 v85, v10, 0x78, vcc_lo
	s_delay_alu instid0(VALU_DEP_1) | instskip(SKIP_1) | instid1(VALU_DEP_2)
	v_dual_cndmask_b32 v36, v20, v3, vcc_lo :: v_dual_add_nc_u32 v10, 20, v85
	v_add_nc_u32_e32 v21, 19, v85
	v_lshlrev_b64_e64 v[10:11], v10, -1
	s_delay_alu instid0(VALU_DEP_2) | instskip(NEXT) | instid1(VALU_DEP_2)
	v_lshlrev_b64_e64 v[20:21], v21, 1
	v_bfi_b32 v83, v11, 0, 0
	s_delay_alu instid0(VALU_DEP_3) | instskip(SKIP_1) | instid1(VALU_DEP_2)
	v_bfi_b32 v82, v10, 0, v36
	v_lshrrev_b64 v[10:11], v85, v[36:37]
	v_cmp_eq_u64_e64 s10, v[82:83], v[20:21]
	s_delay_alu instid0(VALU_DEP_2)
	v_mov_b64_e32 v[82:83], v[10:11]
	s_and_saveexec_b32 s44, s10
; %bb.6137:                             ;   in Loop: Header=BB4_5789 Depth=2
	v_bfe_u32 v36, v10, 20, 1
	s_delay_alu instid0(VALU_DEP_1) | instskip(NEXT) | instid1(VALU_DEP_1)
	v_add_nc_u64_e32 v[20:21], v[10:11], v[36:37]
	v_add_nc_u64_e32 v[82:83], -1, v[20:21]
; %bb.6138:                             ;   in Loop: Header=BB4_5789 Depth=2
	s_or_b32 exec_lo, exec_lo, s44
	v_add_nc_u32_e32 v3, 0xffffff81, v84
	v_lshrrev_b32_e32 v11, 23, v10
	s_mov_b32 s10, exec_lo
	s_delay_alu instid0(VALU_DEP_2) | instskip(NEXT) | instid1(VALU_DEP_1)
	v_cndmask_b32_e64 v3, v3, 0xffffff82, vcc_lo
	v_add3_u32 v83, v85, v3, v11
	v_and_b32_e32 v3, 0xfffff, v82
	s_delay_alu instid0(VALU_DEP_1) | instskip(NEXT) | instid1(VALU_DEP_1)
	v_dual_add_nc_u32 v82, 6, v83 :: v_dual_add_nc_u32 v36, v3, v10
                                        ; implicit-def: $vgpr10_vgpr11
                                        ; implicit-def: $vgpr3
	v_cmpx_ne_u32_e32 0, v82
	s_xor_b32 s10, exec_lo, s10
; %bb.6139:                             ;   in Loop: Header=BB4_5789 Depth=2
	s_delay_alu instid0(VALU_DEP_2) | instskip(SKIP_2) | instid1(VALU_DEP_2)
	v_cmp_lt_u64_e32 vcc_lo, 0xffffff, v[36:37]
	v_add_nc_u32_e32 v3, 7, v83
	v_cndmask_b32_e64 v10, 0, 1, vcc_lo
	v_cndmask_b32_e32 v3, v82, v3, vcc_lo
	s_delay_alu instid0(VALU_DEP_2)
	v_lshrrev_b64 v[10:11], v10, v[36:37]
; %bb.6140:                             ;   in Loop: Header=BB4_5789 Depth=2
	s_and_not1_saveexec_b32 s10, s10
; %bb.6141:                             ;   in Loop: Header=BB4_5789 Depth=2
	v_mov_b64_e32 v[10:11], v[36:37]
	v_bfe_u32 v3, v36, 23, 1
; %bb.6142:                             ;   in Loop: Header=BB4_5789 Depth=2
	s_or_b32 exec_lo, exec_lo, s10
	s_delay_alu instid0(VALU_DEP_2) | instskip(NEXT) | instid1(VALU_DEP_2)
	v_lshrrev_b64 v[10:11], 20, v[10:11]
	v_cmp_gt_i32_e32 vcc_lo, 16, v3
	v_min_i32_e32 v20, 15, v3
	v_cmp_eq_u32_e64 s10, 0, v3
	s_delay_alu instid0(VALU_DEP_2) | instskip(SKIP_1) | instid1(VALU_DEP_2)
	v_dual_cndmask_b32 v10, 7, v10, vcc_lo :: v_dual_lshlrev_b32 v20, 3, v20
	v_cndmask_b32_e32 v11, 0, v11, vcc_lo
	v_and_b32_e32 v20, 0xf8, v20
	s_delay_alu instid0(VALU_DEP_2) | instskip(NEXT) | instid1(VALU_DEP_2)
	v_cmp_eq_u64_e32 vcc_lo, 0, v[10:11]
	v_and_or_b32 v3, v10, 7, v20
	s_and_b32 s10, s10, vcc_lo
	s_delay_alu instid0(VALU_DEP_1) | instid1(SALU_CYCLE_1)
	v_cndmask_b32_e64 v3, v3, 0, s10
	s_delay_alu instid0(VALU_DEP_1)
	v_or_b32_e32 v41, v3, v2
.LBB4_6143:                             ;   in Loop: Header=BB4_5789 Depth=2
	s_or_b32 exec_lo, exec_lo, s43
                                        ; implicit-def: $vgpr2
.LBB4_6144:                             ;   in Loop: Header=BB4_5789 Depth=2
	s_and_not1_saveexec_b32 s10, s42
; %bb.6145:                             ;   in Loop: Header=BB4_5789 Depth=2
	v_or_b32_e32 v41, 0x7e, v2
; %bb.6146:                             ;   in Loop: Header=BB4_5789 Depth=2
	s_or_b32 exec_lo, exec_lo, s10
                                        ; implicit-def: $vgpr2
.LBB4_6147:                             ;   in Loop: Header=BB4_5789 Depth=2
	s_and_not1_saveexec_b32 s10, s41
; %bb.6148:                             ;   in Loop: Header=BB4_5789 Depth=2
	v_or_b32_e32 v41, 0x7f, v2
; %bb.6149:                             ;   in Loop: Header=BB4_5789 Depth=2
	s_or_b32 exec_lo, exec_lo, s10
	v_mov_b32_e32 v3, 0
	s_mov_b32 s10, exec_lo
	v_cmpx_lt_u64_e64 s[12:13], v[12:13]
	s_cbranch_execz .LBB4_6157
; %bb.6150:                             ;   in Loop: Header=BB4_5789 Depth=2
	v_lshrrev_b32_e32 v2, 24, v13
	v_bfrev_b32_e32 v3, 1
	s_mov_b32 s41, exec_lo
	s_delay_alu instid0(VALU_DEP_2)
	v_cmpx_ne_u32_e32 0x80, v2
	s_cbranch_execz .LBB4_6156
; %bb.6151:                             ;   in Loop: Header=BB4_5789 Depth=2
	v_bfe_u32 v10, v13, 24, 7
	v_mov_b32_e32 v3, 0x7f800001
	s_mov_b32 s42, exec_lo
	s_delay_alu instid0(VALU_DEP_2)
	v_cmpx_ne_u32_e32 0x7f, v10
	s_cbranch_execz .LBB4_6155
; %bb.6152:                             ;   in Loop: Header=BB4_5789 Depth=2
	v_and_b32_e32 v36, 7, v2
	v_lshrrev_b32_e32 v3, 3, v10
	s_mov_b32 s43, exec_lo
	v_cmpx_gt_u32_e32 8, v10
; %bb.6153:                             ;   in Loop: Header=BB4_5789 Depth=2
	s_delay_alu instid0(VALU_DEP_3) | instskip(NEXT) | instid1(VALU_DEP_1)
	v_clz_i32_u32_e32 v3, v36
	v_min_u32_e32 v3, 32, v3
	s_delay_alu instid0(VALU_DEP_1) | instskip(NEXT) | instid1(VALU_DEP_1)
	v_subrev_nc_u32_e32 v10, 28, v3
	v_lshlrev_b64_e32 v[10:11], v10, v[36:37]
	s_delay_alu instid0(VALU_DEP_1)
	v_dual_sub_nc_u32 v3, 29, v3 :: v_dual_bitop2_b32 v36, 7, v10 bitop3:0x40
; %bb.6154:                             ;   in Loop: Header=BB4_5789 Depth=2
	s_or_b32 exec_lo, exec_lo, s43
	s_delay_alu instid0(VALU_DEP_1) | instskip(NEXT) | instid1(VALU_DEP_2)
	v_dual_lshlrev_b32 v2, 24, v2 :: v_dual_lshlrev_b32 v10, 20, v36
	v_lshl_add_u32 v3, v3, 23, 0x3c000000
	s_delay_alu instid0(VALU_DEP_2) | instskip(NEXT) | instid1(VALU_DEP_1)
	v_and_b32_e32 v2, 0x80000000, v2
	v_or3_b32 v3, v10, v2, v3
.LBB4_6155:                             ;   in Loop: Header=BB4_5789 Depth=2
	s_or_b32 exec_lo, exec_lo, s42
.LBB4_6156:                             ;   in Loop: Header=BB4_5789 Depth=2
	s_delay_alu instid0(SALU_CYCLE_1)
	s_or_b32 exec_lo, exec_lo, s41
.LBB4_6157:                             ;   in Loop: Header=BB4_5789 Depth=2
	s_delay_alu instid0(SALU_CYCLE_1) | instskip(NEXT) | instid1(VALU_DEP_1)
	s_or_b32 exec_lo, exec_lo, s10
	v_mul_f32_e32 v3, s11, v3
                                        ; implicit-def: $vgpr44
	s_mov_b32 s10, exec_lo
	s_delay_alu instid0(VALU_DEP_1) | instskip(SKIP_1) | instid1(VALU_DEP_2)
	v_and_b32_e32 v36, 0x7f800000, v3
	v_lshrrev_b32_e32 v2, 24, v3
	v_cmpx_ne_u64_e32 0x7f800000, v[36:37]
	s_xor_b32 s11, exec_lo, s10
	s_cbranch_execz .LBB4_6171
; %bb.6158:                             ;   in Loop: Header=BB4_5789 Depth=2
	v_and_b32_e32 v36, 0x7fffffff, v3
	v_and_b32_e32 v2, 0x80, v2
                                        ; implicit-def: $vgpr44
	s_mov_b32 s10, exec_lo
	s_delay_alu instid0(VALU_DEP_2)
	v_cmpx_gt_u64_e32 0x43e00001, v[36:37]
	s_xor_b32 s41, exec_lo, s10
	s_cbranch_execz .LBB4_6168
; %bb.6159:                             ;   in Loop: Header=BB4_5789 Depth=2
	v_mov_b32_e32 v44, 0
	s_mov_b32 s42, exec_lo
	v_cmpx_ne_u32_e32 0, v3
	s_cbranch_execz .LBB4_6167
; %bb.6160:                             ;   in Loop: Header=BB4_5789 Depth=2
	v_bfe_u32 v82, v3, 23, 8
	v_and_b32_e32 v3, 0x7fffff, v3
	s_delay_alu instid0(VALU_DEP_2) | instskip(SKIP_1) | instid1(VALU_DEP_3)
	v_sub_nc_u32_e32 v10, 0x79, v82
	v_cmp_gt_u32_e32 vcc_lo, 0x7a, v82
	v_or_b32_e32 v12, 0x800000, v3
	s_delay_alu instid0(VALU_DEP_3) | instskip(SKIP_1) | instid1(VALU_DEP_2)
	v_cndmask_b32_e32 v10, 0, v10, vcc_lo
	v_cmp_eq_u32_e32 vcc_lo, 0, v82
	v_cndmask_b32_e64 v83, v10, 0x78, vcc_lo
	s_delay_alu instid0(VALU_DEP_4) | instskip(NEXT) | instid1(VALU_DEP_2)
	v_cndmask_b32_e32 v36, v12, v3, vcc_lo
	v_dual_add_nc_u32 v10, 20, v83 :: v_dual_add_nc_u32 v13, 19, v83
	s_delay_alu instid0(VALU_DEP_1) | instskip(NEXT) | instid1(VALU_DEP_2)
	v_lshlrev_b64_e64 v[10:11], v10, -1
	v_lshlrev_b64_e64 v[12:13], v13, 1
	s_delay_alu instid0(VALU_DEP_2) | instskip(NEXT) | instid1(VALU_DEP_3)
	v_bfi_b32 v21, v11, 0, 0
	v_bfi_b32 v20, v10, 0, v36
	v_lshrrev_b64 v[10:11], v83, v[36:37]
	s_delay_alu instid0(VALU_DEP_2) | instskip(NEXT) | instid1(VALU_DEP_2)
	v_cmp_eq_u64_e64 s10, v[20:21], v[12:13]
	v_mov_b64_e32 v[12:13], v[10:11]
	s_and_saveexec_b32 s43, s10
; %bb.6161:                             ;   in Loop: Header=BB4_5789 Depth=2
	v_bfe_u32 v36, v10, 20, 1
	s_delay_alu instid0(VALU_DEP_1) | instskip(NEXT) | instid1(VALU_DEP_1)
	v_add_nc_u64_e32 v[12:13], v[10:11], v[36:37]
	v_add_nc_u64_e32 v[12:13], -1, v[12:13]
; %bb.6162:                             ;   in Loop: Header=BB4_5789 Depth=2
	s_or_b32 exec_lo, exec_lo, s43
	v_add_nc_u32_e32 v3, 0xffffff81, v82
	v_lshrrev_b32_e32 v11, 23, v10
	s_mov_b32 s10, exec_lo
	s_delay_alu instid0(VALU_DEP_2) | instskip(NEXT) | instid1(VALU_DEP_1)
	v_cndmask_b32_e64 v3, v3, 0xffffff82, vcc_lo
	v_add3_u32 v13, v83, v3, v11
	v_and_b32_e32 v3, 0xfffff, v12
	s_delay_alu instid0(VALU_DEP_1) | instskip(NEXT) | instid1(VALU_DEP_1)
	v_dual_add_nc_u32 v12, 6, v13 :: v_dual_add_nc_u32 v36, v3, v10
                                        ; implicit-def: $vgpr10_vgpr11
                                        ; implicit-def: $vgpr3
	v_cmpx_ne_u32_e32 0, v12
	s_xor_b32 s10, exec_lo, s10
; %bb.6163:                             ;   in Loop: Header=BB4_5789 Depth=2
	s_delay_alu instid0(VALU_DEP_2) | instskip(SKIP_2) | instid1(VALU_DEP_2)
	v_cmp_lt_u64_e32 vcc_lo, 0xffffff, v[36:37]
	v_add_nc_u32_e32 v3, 7, v13
	v_cndmask_b32_e64 v10, 0, 1, vcc_lo
	v_cndmask_b32_e32 v3, v12, v3, vcc_lo
	s_delay_alu instid0(VALU_DEP_2)
	v_lshrrev_b64 v[10:11], v10, v[36:37]
; %bb.6164:                             ;   in Loop: Header=BB4_5789 Depth=2
	s_and_not1_saveexec_b32 s10, s10
; %bb.6165:                             ;   in Loop: Header=BB4_5789 Depth=2
	v_mov_b64_e32 v[10:11], v[36:37]
	v_bfe_u32 v3, v36, 23, 1
; %bb.6166:                             ;   in Loop: Header=BB4_5789 Depth=2
	s_or_b32 exec_lo, exec_lo, s10
	s_delay_alu instid0(VALU_DEP_2) | instskip(NEXT) | instid1(VALU_DEP_2)
	v_lshrrev_b64 v[10:11], 20, v[10:11]
	v_cmp_gt_i32_e32 vcc_lo, 16, v3
	v_min_i32_e32 v12, 15, v3
	v_cmp_eq_u32_e64 s10, 0, v3
	s_delay_alu instid0(VALU_DEP_2) | instskip(SKIP_1) | instid1(VALU_DEP_2)
	v_dual_cndmask_b32 v10, 7, v10, vcc_lo :: v_dual_lshlrev_b32 v12, 3, v12
	v_cndmask_b32_e32 v11, 0, v11, vcc_lo
	v_and_b32_e32 v12, 0xf8, v12
	s_delay_alu instid0(VALU_DEP_2) | instskip(NEXT) | instid1(VALU_DEP_2)
	v_cmp_eq_u64_e32 vcc_lo, 0, v[10:11]
	v_and_or_b32 v3, v10, 7, v12
	s_and_b32 s10, s10, vcc_lo
	s_delay_alu instid0(VALU_DEP_1) | instid1(SALU_CYCLE_1)
	v_cndmask_b32_e64 v3, v3, 0, s10
	s_delay_alu instid0(VALU_DEP_1)
	v_or_b32_e32 v44, v3, v2
.LBB4_6167:                             ;   in Loop: Header=BB4_5789 Depth=2
	s_or_b32 exec_lo, exec_lo, s42
                                        ; implicit-def: $vgpr2
.LBB4_6168:                             ;   in Loop: Header=BB4_5789 Depth=2
	s_and_not1_saveexec_b32 s10, s41
; %bb.6169:                             ;   in Loop: Header=BB4_5789 Depth=2
	v_or_b32_e32 v44, 0x7e, v2
; %bb.6170:                             ;   in Loop: Header=BB4_5789 Depth=2
	s_or_b32 exec_lo, exec_lo, s10
                                        ; implicit-def: $vgpr2
.LBB4_6171:                             ;   in Loop: Header=BB4_5789 Depth=2
	s_and_not1_saveexec_b32 s10, s11
; %bb.6172:                             ;   in Loop: Header=BB4_5789 Depth=2
	v_or_b32_e32 v44, 0x7f, v2
; %bb.6173:                             ;   in Loop: Header=BB4_5789 Depth=2
	s_or_b32 exec_lo, exec_lo, s10
	global_load_b128 v[10:13], v[80:81], off th:TH_LOAD_NT
	v_lshl_or_b32 v2, v115, 8, v30
	v_dual_lshlrev_b32 v3, 16, v117 :: v_dual_lshlrev_b32 v20, 24, v40
	s_mov_b32 s10, exec_lo
	s_delay_alu instid0(VALU_DEP_1)
	v_or3_b32 v36, v3, v20, v2
	v_mov_b32_e32 v3, 0
	s_wait_xcnt 0x0
	v_cmpx_ne_u32_e32 0, v30
	s_cbranch_execz .LBB4_6179
; %bb.6174:                             ;   in Loop: Header=BB4_5789 Depth=2
	v_bfrev_b32_e32 v3, 1
	s_mov_b32 s11, exec_lo
	v_cmpx_ne_u32_e32 0x80, v30
	s_cbranch_execz .LBB4_6178
; %bb.6175:                             ;   in Loop: Header=BB4_5789 Depth=2
	v_and_b32_e32 v82, 0x7f, v30
	v_mov_b32_e32 v3, 0x7f800001
	s_mov_b32 s41, exec_lo
	s_delay_alu instid0(VALU_DEP_2)
	v_cmpx_ne_u32_e32 0x7f, v82
	s_cbranch_execz .LBB4_6177
; %bb.6176:                             ;   in Loop: Header=BB4_5789 Depth=2
	v_cmp_gt_u32_e32 vcc_lo, 8, v82
	v_and_b32_e32 v3, 7, v30
	s_delay_alu instid0(VALU_DEP_1) | instskip(NEXT) | instid1(VALU_DEP_1)
	v_clz_i32_u32_e32 v3, v3
	v_min_u32_e32 v3, 32, v3
	v_lshrrev_b32_e32 v20, 3, v82
	s_delay_alu instid0(VALU_DEP_2) | instskip(SKIP_1) | instid1(VALU_DEP_1)
	v_subrev_nc_u32_e32 v21, 28, v3
	v_sub_nc_u32_e32 v3, 29, v3
	v_dual_cndmask_b32 v3, v20, v3 :: v_dual_cndmask_b32 v20, 0, v21
	s_delay_alu instid0(VALU_DEP_1) | instskip(SKIP_1) | instid1(VALU_DEP_3)
	v_lshlrev_b64_e32 v[20:21], v20, v[36:37]
	v_lshlrev_b32_e32 v21, 24, v36
	v_lshl_add_u32 v3, v3, 23, 0x3c000000
	s_delay_alu instid0(VALU_DEP_2) | instskip(NEXT) | instid1(VALU_DEP_4)
	v_and_b32_e32 v21, 0x80000000, v21
	v_lshlrev_b32_e32 v20, 20, v20
	s_delay_alu instid0(VALU_DEP_1) | instskip(NEXT) | instid1(VALU_DEP_1)
	v_and_b32_e32 v20, 0x700000, v20
	v_or3_b32 v3, v20, v21, v3
.LBB4_6177:                             ;   in Loop: Header=BB4_5789 Depth=2
	s_or_b32 exec_lo, exec_lo, s41
.LBB4_6178:                             ;   in Loop: Header=BB4_5789 Depth=2
	s_delay_alu instid0(SALU_CYCLE_1)
	s_or_b32 exec_lo, exec_lo, s11
.LBB4_6179:                             ;   in Loop: Header=BB4_5789 Depth=2
	s_delay_alu instid0(SALU_CYCLE_1) | instskip(SKIP_4) | instid1(VALU_DEP_1)
	s_or_b32 exec_lo, exec_lo, s10
	s_wait_loadcnt 0x0
	v_and_b32_e32 v82, 0xff, v10
	s_mov_b32 s10, 0
	s_mov_b32 s11, exec_lo
	v_cmpx_lt_i16_e32 0x7f, v82
	s_xor_b32 s11, exec_lo, s11
	s_cbranch_execnz .LBB4_6210
; %bb.6180:                             ;   in Loop: Header=BB4_5789 Depth=2
	s_or_saveexec_b32 s11, s11
	v_bfrev_b32_e32 v30, 1
	s_xor_b32 exec_lo, exec_lo, s11
	s_cbranch_execnz .LBB4_6213
.LBB4_6181:                             ;   in Loop: Header=BB4_5789 Depth=2
	s_or_b32 exec_lo, exec_lo, s11
	s_and_saveexec_b32 s11, s10
	s_cbranch_execz .LBB4_6183
.LBB4_6182:                             ;   in Loop: Header=BB4_5789 Depth=2
	v_and_b32_e32 v20, 7, v10
	v_and_b32_e32 v30, 0x7f, v10
	v_bfe_u32 v21, v10, 3, 4
	s_delay_alu instid0(VALU_DEP_3) | instskip(NEXT) | instid1(VALU_DEP_3)
	v_clz_i32_u32_e32 v20, v20
	v_cmp_gt_u32_e32 vcc_lo, 8, v30
	s_delay_alu instid0(VALU_DEP_2) | instskip(NEXT) | instid1(VALU_DEP_1)
	v_min_u32_e32 v20, 32, v20
	v_subrev_nc_u32_e32 v82, 28, v20
	v_sub_nc_u32_e32 v20, 29, v20
	s_delay_alu instid0(VALU_DEP_1) | instskip(SKIP_1) | instid1(VALU_DEP_2)
	v_dual_cndmask_b32 v83, v21, v20 :: v_dual_cndmask_b32 v20, 0, v82
	v_cmp_ne_u32_e32 vcc_lo, 0x7f, v30
	v_lshl_add_u32 v82, v83, 23, 0x3c000000
	s_delay_alu instid0(VALU_DEP_3) | instskip(SKIP_1) | instid1(VALU_DEP_1)
	v_lshlrev_b64_e32 v[20:21], v20, v[10:11]
	v_lshlrev_b32_e32 v21, 24, v10
	v_and_b32_e32 v21, 0x80000000, v21
	s_delay_alu instid0(VALU_DEP_3) | instskip(NEXT) | instid1(VALU_DEP_1)
	v_lshlrev_b32_e32 v20, 20, v20
	v_and_b32_e32 v20, 0x700000, v20
	s_delay_alu instid0(VALU_DEP_1) | instskip(NEXT) | instid1(VALU_DEP_1)
	v_or3_b32 v20, v20, v21, v82
	v_cndmask_b32_e32 v30, 0x7f800001, v20, vcc_lo
.LBB4_6183:                             ;   in Loop: Header=BB4_5789 Depth=2
	s_or_b32 exec_lo, exec_lo, s11
	s_delay_alu instid0(VALU_DEP_1) | instskip(SKIP_1) | instid1(VALU_DEP_1)
	v_dual_add_f32 v30, v3, v30 :: v_dual_mov_b32 v21, v37
                                        ; implicit-def: $vgpr115
	s_mov_b32 s10, exec_lo
	v_and_b32_e32 v20, 0x7f800000, v30
	v_lshrrev_b32_e32 v3, 24, v30
	s_delay_alu instid0(VALU_DEP_2)
	v_cmpx_ne_u64_e32 0x7f800000, v[20:21]
	s_xor_b32 s11, exec_lo, s10
	s_cbranch_execz .LBB4_6197
; %bb.6184:                             ;   in Loop: Header=BB4_5789 Depth=2
	v_and_b32_e32 v20, 0x7fffffff, v30
	v_mov_b32_e32 v21, v37
	v_and_b32_e32 v3, 0x80, v3
                                        ; implicit-def: $vgpr115
	s_mov_b32 s10, exec_lo
	s_delay_alu instid0(VALU_DEP_2)
	v_cmpx_gt_u64_e32 0x43e00001, v[20:21]
	s_xor_b32 s41, exec_lo, s10
	s_cbranch_execz .LBB4_6194
; %bb.6185:                             ;   in Loop: Header=BB4_5789 Depth=2
	v_mov_b32_e32 v115, 0
	s_mov_b32 s42, exec_lo
	v_cmpx_ne_u32_e32 0, v30
	s_cbranch_execz .LBB4_6193
; %bb.6186:                             ;   in Loop: Header=BB4_5789 Depth=2
	v_bfe_u32 v113, v30, 23, 8
	v_and_b32_e32 v30, 0x7fffff, v30
	s_delay_alu instid0(VALU_DEP_2) | instskip(SKIP_1) | instid1(VALU_DEP_3)
	v_dual_mov_b32 v83, v37 :: v_dual_sub_nc_u32 v20, 0x79, v113
	v_cmp_gt_u32_e32 vcc_lo, 0x7a, v113
	v_or_b32_e32 v82, 0x800000, v30
	s_delay_alu instid0(VALU_DEP_3) | instskip(SKIP_1) | instid1(VALU_DEP_2)
	v_cndmask_b32_e32 v20, 0, v20, vcc_lo
	v_cmp_eq_u32_e32 vcc_lo, 0, v113
	v_cndmask_b32_e64 v115, v20, 0x78, vcc_lo
	s_delay_alu instid0(VALU_DEP_1) | instskip(SKIP_1) | instid1(VALU_DEP_2)
	v_dual_cndmask_b32 v82, v82, v30, vcc_lo :: v_dual_add_nc_u32 v20, 20, v115
	v_add_nc_u32_e32 v84, 19, v115
	v_lshlrev_b64_e64 v[20:21], v20, -1
	s_delay_alu instid0(VALU_DEP_2) | instskip(NEXT) | instid1(VALU_DEP_2)
	v_lshlrev_b64_e64 v[84:85], v84, 1
	v_bfi_b32 v20, v20, 0, v82
	v_lshrrev_b64 v[82:83], v115, v[82:83]
	s_delay_alu instid0(VALU_DEP_4) | instskip(NEXT) | instid1(VALU_DEP_1)
	v_bfi_b32 v21, v21, 0, 0
	v_cmp_eq_u64_e64 s10, v[20:21], v[84:85]
	s_delay_alu instid0(VALU_DEP_3)
	v_mov_b64_e32 v[84:85], v[82:83]
	s_and_saveexec_b32 s43, s10
; %bb.6187:                             ;   in Loop: Header=BB4_5789 Depth=2
	v_bfe_u32 v20, v82, 20, 1
	v_mov_b32_e32 v21, v37
	s_delay_alu instid0(VALU_DEP_1) | instskip(NEXT) | instid1(VALU_DEP_1)
	v_add_nc_u64_e32 v[20:21], v[82:83], v[20:21]
	v_add_nc_u64_e32 v[84:85], -1, v[20:21]
; %bb.6188:                             ;   in Loop: Header=BB4_5789 Depth=2
	s_or_b32 exec_lo, exec_lo, s43
	v_dual_mov_b32 v83, v37 :: v_dual_add_nc_u32 v20, 0xffffff81, v113
	v_lshrrev_b32_e32 v21, 23, v82
	s_mov_b32 s10, exec_lo
                                        ; implicit-def: $vgpr30
	s_delay_alu instid0(VALU_DEP_2) | instskip(NEXT) | instid1(VALU_DEP_1)
	v_cndmask_b32_e64 v20, v20, 0xffffff82, vcc_lo
	v_add3_u32 v85, v115, v20, v21
	v_and_b32_e32 v20, 0xfffff, v84
	s_delay_alu instid0(VALU_DEP_1) | instskip(NEXT) | instid1(VALU_DEP_1)
	v_dual_add_nc_u32 v84, 6, v85 :: v_dual_add_nc_u32 v82, v20, v82
	v_cmpx_ne_u32_e32 0, v84
	s_xor_b32 s10, exec_lo, s10
; %bb.6189:                             ;   in Loop: Header=BB4_5789 Depth=2
	s_delay_alu instid0(VALU_DEP_2) | instskip(SKIP_1) | instid1(VALU_DEP_1)
	v_cmp_lt_u64_e32 vcc_lo, 0xffffff, v[82:83]
	v_add_nc_u32_e32 v20, 7, v85
	v_cndmask_b32_e32 v30, v84, v20, vcc_lo
	v_cndmask_b32_e64 v20, 0, 1, vcc_lo
	s_delay_alu instid0(VALU_DEP_1)
	v_lshrrev_b64 v[82:83], v20, v[82:83]
; %bb.6190:                             ;   in Loop: Header=BB4_5789 Depth=2
	s_and_not1_saveexec_b32 s10, s10
; %bb.6191:                             ;   in Loop: Header=BB4_5789 Depth=2
	s_delay_alu instid0(VALU_DEP_1)
	v_bfe_u32 v30, v82, 23, 1
; %bb.6192:                             ;   in Loop: Header=BB4_5789 Depth=2
	s_or_b32 exec_lo, exec_lo, s10
	s_delay_alu instid0(VALU_DEP_2) | instskip(NEXT) | instid1(VALU_DEP_2)
	v_lshrrev_b64 v[20:21], 20, v[82:83]
	v_cmp_gt_i32_e32 vcc_lo, 16, v30
	v_min_i32_e32 v82, 15, v30
	v_cmp_eq_u32_e64 s10, 0, v30
	s_delay_alu instid0(VALU_DEP_2) | instskip(SKIP_1) | instid1(VALU_DEP_2)
	v_dual_cndmask_b32 v21, 0, v21 :: v_dual_lshlrev_b32 v82, 3, v82
	v_cndmask_b32_e32 v20, 7, v20, vcc_lo
	v_and_b32_e32 v82, 0xf8, v82
	s_delay_alu instid0(VALU_DEP_2) | instskip(NEXT) | instid1(VALU_DEP_2)
	v_cmp_eq_u64_e32 vcc_lo, 0, v[20:21]
	v_and_or_b32 v20, v20, 7, v82
	s_and_b32 s10, s10, vcc_lo
	s_delay_alu instid0(VALU_DEP_1) | instid1(SALU_CYCLE_1)
	v_cndmask_b32_e64 v20, v20, 0, s10
	s_delay_alu instid0(VALU_DEP_1)
	v_or_b32_e32 v115, v20, v3
.LBB4_6193:                             ;   in Loop: Header=BB4_5789 Depth=2
	s_or_b32 exec_lo, exec_lo, s42
                                        ; implicit-def: $vgpr3
.LBB4_6194:                             ;   in Loop: Header=BB4_5789 Depth=2
	s_and_not1_saveexec_b32 s10, s41
; %bb.6195:                             ;   in Loop: Header=BB4_5789 Depth=2
	v_or_b32_e32 v115, 0x7e, v3
; %bb.6196:                             ;   in Loop: Header=BB4_5789 Depth=2
	s_or_b32 exec_lo, exec_lo, s10
                                        ; implicit-def: $vgpr3
.LBB4_6197:                             ;   in Loop: Header=BB4_5789 Depth=2
	s_and_not1_saveexec_b32 s10, s11
; %bb.6198:                             ;   in Loop: Header=BB4_5789 Depth=2
	v_or_b32_e32 v115, 0x7f, v3
; %bb.6199:                             ;   in Loop: Header=BB4_5789 Depth=2
	s_or_b32 exec_lo, exec_lo, s10
	v_lshrrev_b16 v30, 8, v2
	v_mov_b32_e32 v3, 0
	s_mov_b32 s10, exec_lo
	s_delay_alu instid0(VALU_DEP_2)
	v_cmpx_ne_u16_e32 0, v30
	s_cbranch_execz .LBB4_6207
; %bb.6200:                             ;   in Loop: Header=BB4_5789 Depth=2
	v_bfrev_b32_e32 v3, 1
	s_mov_b32 s11, exec_lo
	v_cmpx_ne_u16_e32 0x80, v30
	s_cbranch_execz .LBB4_6206
; %bb.6201:                             ;   in Loop: Header=BB4_5789 Depth=2
	v_and_b32_e32 v82, 0xffff, v30
	v_mov_b32_e32 v3, 0x7f800001
	s_mov_b32 s41, exec_lo
	s_delay_alu instid0(VALU_DEP_2) | instskip(NEXT) | instid1(VALU_DEP_1)
	v_and_b32_e32 v30, 0x7f, v82
	v_cmpx_ne_u32_e32 0x7f, v30
	s_cbranch_execz .LBB4_6205
; %bb.6202:                             ;   in Loop: Header=BB4_5789 Depth=2
	v_dual_mov_b32 v83, v37 :: v_dual_bitop2_b32 v82, 7, v82 bitop3:0x40
	v_lshrrev_b32_e32 v3, 3, v30
	s_mov_b32 s42, exec_lo
	v_cmpx_gt_u32_e32 8, v30
; %bb.6203:                             ;   in Loop: Header=BB4_5789 Depth=2
	s_delay_alu instid0(VALU_DEP_3) | instskip(NEXT) | instid1(VALU_DEP_1)
	v_clz_i32_u32_e32 v3, v82
	v_min_u32_e32 v3, 32, v3
	s_delay_alu instid0(VALU_DEP_1) | instskip(NEXT) | instid1(VALU_DEP_1)
	v_subrev_nc_u32_e32 v20, 28, v3
	v_lshlrev_b64_e32 v[20:21], v20, v[82:83]
	s_delay_alu instid0(VALU_DEP_1)
	v_dual_sub_nc_u32 v3, 29, v3 :: v_dual_bitop2_b32 v82, 7, v20 bitop3:0x40
; %bb.6204:                             ;   in Loop: Header=BB4_5789 Depth=2
	s_or_b32 exec_lo, exec_lo, s42
	v_lshlrev_b32_e32 v2, 16, v2
	s_delay_alu instid0(VALU_DEP_2) | instskip(NEXT) | instid1(VALU_DEP_3)
	v_lshlrev_b32_e32 v20, 20, v82
	v_lshl_add_u32 v3, v3, 23, 0x3c000000
	s_delay_alu instid0(VALU_DEP_3) | instskip(NEXT) | instid1(VALU_DEP_1)
	v_and_b32_e32 v2, 0x80000000, v2
	v_or3_b32 v3, v20, v2, v3
.LBB4_6205:                             ;   in Loop: Header=BB4_5789 Depth=2
	s_or_b32 exec_lo, exec_lo, s41
.LBB4_6206:                             ;   in Loop: Header=BB4_5789 Depth=2
	s_delay_alu instid0(SALU_CYCLE_1)
	s_or_b32 exec_lo, exec_lo, s11
.LBB4_6207:                             ;   in Loop: Header=BB4_5789 Depth=2
	s_delay_alu instid0(SALU_CYCLE_1) | instskip(SKIP_3) | instid1(VALU_DEP_1)
	s_or_b32 exec_lo, exec_lo, s10
	v_lshrrev_b16 v2, 8, v10
	s_mov_b32 s11, 0
	s_mov_b32 s10, exec_lo
	v_cmpx_lt_i16_e32 0x7f, v2
	s_xor_b32 s10, exec_lo, s10
	s_cbranch_execnz .LBB4_6214
; %bb.6208:                             ;   in Loop: Header=BB4_5789 Depth=2
	s_or_saveexec_b32 s10, s10
	v_bfrev_b32_e32 v82, 1
	s_xor_b32 exec_lo, exec_lo, s10
	s_cbranch_execnz .LBB4_6217
.LBB4_6209:                             ;   in Loop: Header=BB4_5789 Depth=2
	s_or_b32 exec_lo, exec_lo, s10
	s_and_saveexec_b32 s10, s11
	s_cbranch_execnz .LBB4_6218
	s_branch .LBB4_6221
.LBB4_6210:                             ;   in Loop: Header=BB4_5789 Depth=2
	s_mov_b32 s10, -1
	s_mov_b32 s41, exec_lo
	v_cmpx_eq_u16_e32 0x80, v82
; %bb.6211:                             ;   in Loop: Header=BB4_5789 Depth=2
	s_xor_b32 s10, exec_lo, -1
; %bb.6212:                             ;   in Loop: Header=BB4_5789 Depth=2
	s_or_b32 exec_lo, exec_lo, s41
	s_delay_alu instid0(SALU_CYCLE_1)
	s_and_b32 s10, s10, exec_lo
                                        ; implicit-def: $vgpr82
	s_or_saveexec_b32 s11, s11
	v_bfrev_b32_e32 v30, 1
	s_xor_b32 exec_lo, exec_lo, s11
	s_cbranch_execz .LBB4_6181
.LBB4_6213:                             ;   in Loop: Header=BB4_5789 Depth=2
	v_cmp_ne_u16_e32 vcc_lo, 0, v82
	v_mov_b32_e32 v30, 0
	s_and_not1_b32 s10, s10, exec_lo
	s_and_b32 s41, vcc_lo, exec_lo
	s_delay_alu instid0(SALU_CYCLE_1)
	s_or_b32 s10, s10, s41
	s_or_b32 exec_lo, exec_lo, s11
	s_and_saveexec_b32 s11, s10
	s_cbranch_execnz .LBB4_6182
	s_branch .LBB4_6183
.LBB4_6214:                             ;   in Loop: Header=BB4_5789 Depth=2
	s_mov_b32 s11, -1
	s_mov_b32 s41, exec_lo
	v_cmpx_eq_u16_e32 0x80, v2
; %bb.6215:                             ;   in Loop: Header=BB4_5789 Depth=2
	s_xor_b32 s11, exec_lo, -1
; %bb.6216:                             ;   in Loop: Header=BB4_5789 Depth=2
	s_or_b32 exec_lo, exec_lo, s41
	s_delay_alu instid0(SALU_CYCLE_1)
	s_and_b32 s11, s11, exec_lo
	s_or_saveexec_b32 s10, s10
	v_bfrev_b32_e32 v82, 1
	s_xor_b32 exec_lo, exec_lo, s10
	s_cbranch_execz .LBB4_6209
.LBB4_6217:                             ;   in Loop: Header=BB4_5789 Depth=2
	v_cmp_ne_u16_e32 vcc_lo, 0, v2
	v_mov_b32_e32 v82, 0
	s_and_not1_b32 s11, s11, exec_lo
	s_and_b32 s41, vcc_lo, exec_lo
	s_delay_alu instid0(SALU_CYCLE_1)
	s_or_b32 s11, s11, s41
	s_or_b32 exec_lo, exec_lo, s10
	s_and_saveexec_b32 s10, s11
	s_cbranch_execz .LBB4_6221
.LBB4_6218:                             ;   in Loop: Header=BB4_5789 Depth=2
	v_and_b32_e32 v30, 0xffff, v2
	v_mov_b32_e32 v82, 0x7f800001
	s_mov_b32 s11, exec_lo
	s_delay_alu instid0(VALU_DEP_2) | instskip(NEXT) | instid1(VALU_DEP_1)
	v_and_b32_e32 v83, 0x7f, v30
	v_cmpx_ne_u32_e32 0x7f, v83
	s_cbranch_execz .LBB4_6220
; %bb.6219:                             ;   in Loop: Header=BB4_5789 Depth=2
	v_and_b32_e32 v82, 7, v30
	v_cmp_gt_u32_e32 vcc_lo, 8, v83
	v_lshlrev_b32_e32 v2, 24, v2
	s_delay_alu instid0(VALU_DEP_3) | instskip(NEXT) | instid1(VALU_DEP_2)
	v_clz_i32_u32_e32 v20, v82
	v_and_b32_e32 v2, 0x80000000, v2
	s_delay_alu instid0(VALU_DEP_2) | instskip(NEXT) | instid1(VALU_DEP_1)
	v_min_u32_e32 v84, 32, v20
	v_subrev_nc_u32_e32 v20, 28, v84
	s_delay_alu instid0(VALU_DEP_1) | instskip(SKIP_1) | instid1(VALU_DEP_1)
	v_lshlrev_b64_e32 v[20:21], v20, v[30:31]
	v_dual_lshrrev_b32 v21, 3, v83 :: v_dual_sub_nc_u32 v30, 29, v84
	v_dual_cndmask_b32 v21, v21, v30, vcc_lo :: v_dual_bitop2_b32 v20, 7, v20 bitop3:0x40
	s_delay_alu instid0(VALU_DEP_1) | instskip(NEXT) | instid1(VALU_DEP_2)
	v_cndmask_b32_e32 v20, v82, v20, vcc_lo
	v_lshl_add_u32 v21, v21, 23, 0x3c000000
	s_delay_alu instid0(VALU_DEP_2) | instskip(NEXT) | instid1(VALU_DEP_1)
	v_lshlrev_b32_e32 v20, 20, v20
	v_or3_b32 v82, v20, v2, v21
.LBB4_6220:                             ;   in Loop: Header=BB4_5789 Depth=2
	s_or_b32 exec_lo, exec_lo, s11
.LBB4_6221:                             ;   in Loop: Header=BB4_5789 Depth=2
	s_delay_alu instid0(SALU_CYCLE_1) | instskip(NEXT) | instid1(VALU_DEP_1)
	s_or_b32 exec_lo, exec_lo, s10
	v_dual_add_f32 v3, v3, v82 :: v_dual_mov_b32 v21, v37
                                        ; implicit-def: $vgpr117
	s_mov_b32 s10, exec_lo
	s_delay_alu instid0(VALU_DEP_1) | instskip(SKIP_1) | instid1(VALU_DEP_2)
	v_and_b32_e32 v20, 0x7f800000, v3
	v_lshrrev_b32_e32 v2, 24, v3
	v_cmpx_ne_u64_e32 0x7f800000, v[20:21]
	s_xor_b32 s11, exec_lo, s10
	s_cbranch_execz .LBB4_6235
; %bb.6222:                             ;   in Loop: Header=BB4_5789 Depth=2
	v_and_b32_e32 v20, 0x7fffffff, v3
	v_mov_b32_e32 v21, v37
	v_and_b32_e32 v2, 0x80, v2
                                        ; implicit-def: $vgpr117
	s_mov_b32 s10, exec_lo
	s_delay_alu instid0(VALU_DEP_2)
	v_cmpx_gt_u64_e32 0x43e00001, v[20:21]
	s_xor_b32 s41, exec_lo, s10
	s_cbranch_execz .LBB4_6232
; %bb.6223:                             ;   in Loop: Header=BB4_5789 Depth=2
	v_mov_b32_e32 v117, 0
	s_mov_b32 s42, exec_lo
	v_cmpx_ne_u32_e32 0, v3
	s_cbranch_execz .LBB4_6231
; %bb.6224:                             ;   in Loop: Header=BB4_5789 Depth=2
	v_bfe_u32 v30, v3, 23, 8
	v_and_b32_e32 v3, 0x7fffff, v3
	s_delay_alu instid0(VALU_DEP_2) | instskip(SKIP_1) | instid1(VALU_DEP_3)
	v_dual_mov_b32 v83, v37 :: v_dual_sub_nc_u32 v20, 0x79, v30
	v_cmp_gt_u32_e32 vcc_lo, 0x7a, v30
	v_or_b32_e32 v82, 0x800000, v3
	s_delay_alu instid0(VALU_DEP_3) | instskip(SKIP_1) | instid1(VALU_DEP_2)
	v_cndmask_b32_e32 v20, 0, v20, vcc_lo
	v_cmp_eq_u32_e32 vcc_lo, 0, v30
	v_cndmask_b32_e64 v113, v20, 0x78, vcc_lo
	s_delay_alu instid0(VALU_DEP_1) | instskip(SKIP_1) | instid1(VALU_DEP_2)
	v_dual_cndmask_b32 v82, v82, v3, vcc_lo :: v_dual_add_nc_u32 v20, 20, v113
	v_add_nc_u32_e32 v84, 19, v113
	v_lshlrev_b64_e64 v[20:21], v20, -1
	s_delay_alu instid0(VALU_DEP_2) | instskip(NEXT) | instid1(VALU_DEP_2)
	v_lshlrev_b64_e64 v[84:85], v84, 1
	v_bfi_b32 v20, v20, 0, v82
	v_lshrrev_b64 v[82:83], v113, v[82:83]
	s_delay_alu instid0(VALU_DEP_4) | instskip(NEXT) | instid1(VALU_DEP_1)
	v_bfi_b32 v21, v21, 0, 0
	v_cmp_eq_u64_e64 s10, v[20:21], v[84:85]
	s_delay_alu instid0(VALU_DEP_3)
	v_mov_b64_e32 v[84:85], v[82:83]
	s_and_saveexec_b32 s43, s10
; %bb.6225:                             ;   in Loop: Header=BB4_5789 Depth=2
	v_bfe_u32 v20, v82, 20, 1
	v_mov_b32_e32 v21, v37
	s_delay_alu instid0(VALU_DEP_1) | instskip(NEXT) | instid1(VALU_DEP_1)
	v_add_nc_u64_e32 v[20:21], v[82:83], v[20:21]
	v_add_nc_u64_e32 v[84:85], -1, v[20:21]
; %bb.6226:                             ;   in Loop: Header=BB4_5789 Depth=2
	s_or_b32 exec_lo, exec_lo, s43
	v_add_nc_u32_e32 v3, 0xffffff81, v30
	v_lshrrev_b32_e32 v20, 23, v82
	s_mov_b32 s10, exec_lo
	v_mov_b32_e32 v83, v37
	s_delay_alu instid0(VALU_DEP_3) | instskip(NEXT) | instid1(VALU_DEP_1)
	v_cndmask_b32_e64 v3, v3, 0xffffff82, vcc_lo
	v_add3_u32 v30, v113, v3, v20
	v_and_b32_e32 v3, 0xfffff, v84
	s_delay_alu instid0(VALU_DEP_2) | instskip(NEXT) | instid1(VALU_DEP_2)
	v_add_nc_u32_e32 v84, 6, v30
	v_add_nc_u32_e32 v82, v3, v82
                                        ; implicit-def: $vgpr3
	s_delay_alu instid0(VALU_DEP_2)
	v_cmpx_ne_u32_e32 0, v84
	s_xor_b32 s10, exec_lo, s10
; %bb.6227:                             ;   in Loop: Header=BB4_5789 Depth=2
	s_delay_alu instid0(VALU_DEP_2) | instskip(SKIP_2) | instid1(VALU_DEP_2)
	v_cmp_lt_u64_e32 vcc_lo, 0xffffff, v[82:83]
	v_add_nc_u32_e32 v3, 7, v30
	v_cndmask_b32_e64 v20, 0, 1, vcc_lo
	v_cndmask_b32_e32 v3, v84, v3, vcc_lo
	s_delay_alu instid0(VALU_DEP_2)
	v_lshrrev_b64 v[82:83], v20, v[82:83]
; %bb.6228:                             ;   in Loop: Header=BB4_5789 Depth=2
	s_and_not1_saveexec_b32 s10, s10
; %bb.6229:                             ;   in Loop: Header=BB4_5789 Depth=2
	s_delay_alu instid0(VALU_DEP_1)
	v_bfe_u32 v3, v82, 23, 1
; %bb.6230:                             ;   in Loop: Header=BB4_5789 Depth=2
	s_or_b32 exec_lo, exec_lo, s10
	s_delay_alu instid0(VALU_DEP_2) | instskip(NEXT) | instid1(VALU_DEP_2)
	v_lshrrev_b64 v[20:21], 20, v[82:83]
	v_cmp_gt_i32_e32 vcc_lo, 16, v3
	v_min_i32_e32 v30, 15, v3
	v_cmp_eq_u32_e64 s10, 0, v3
	s_delay_alu instid0(VALU_DEP_2) | instskip(SKIP_1) | instid1(VALU_DEP_2)
	v_dual_cndmask_b32 v21, 0, v21 :: v_dual_lshlrev_b32 v30, 3, v30
	v_cndmask_b32_e32 v20, 7, v20, vcc_lo
	v_and_b32_e32 v30, 0xf8, v30
	s_delay_alu instid0(VALU_DEP_2) | instskip(NEXT) | instid1(VALU_DEP_2)
	v_cmp_eq_u64_e32 vcc_lo, 0, v[20:21]
	v_and_or_b32 v3, v20, 7, v30
	s_and_b32 s10, s10, vcc_lo
	s_delay_alu instid0(VALU_DEP_1) | instid1(SALU_CYCLE_1)
	v_cndmask_b32_e64 v3, v3, 0, s10
	s_delay_alu instid0(VALU_DEP_1)
	v_or_b32_e32 v117, v3, v2
.LBB4_6231:                             ;   in Loop: Header=BB4_5789 Depth=2
	s_or_b32 exec_lo, exec_lo, s42
                                        ; implicit-def: $vgpr2
.LBB4_6232:                             ;   in Loop: Header=BB4_5789 Depth=2
	s_and_not1_saveexec_b32 s10, s41
; %bb.6233:                             ;   in Loop: Header=BB4_5789 Depth=2
	v_or_b32_e32 v117, 0x7e, v2
; %bb.6234:                             ;   in Loop: Header=BB4_5789 Depth=2
	s_or_b32 exec_lo, exec_lo, s10
                                        ; implicit-def: $vgpr2
.LBB4_6235:                             ;   in Loop: Header=BB4_5789 Depth=2
	s_and_not1_saveexec_b32 s10, s11
; %bb.6236:                             ;   in Loop: Header=BB4_5789 Depth=2
	v_or_b32_e32 v117, 0x7f, v2
; %bb.6237:                             ;   in Loop: Header=BB4_5789 Depth=2
	s_or_b32 exec_lo, exec_lo, s10
	v_dual_mov_b32 v2, 0 :: v_dual_lshrrev_b32 v3, 16, v36
	s_mov_b32 s10, exec_lo
	s_delay_alu instid0(VALU_DEP_1) | instskip(NEXT) | instid1(VALU_DEP_1)
	v_and_b32_e32 v30, 0xff, v3
	v_cmpx_ne_u16_e32 0, v30
	s_cbranch_execz .LBB4_6245
; %bb.6238:                             ;   in Loop: Header=BB4_5789 Depth=2
	v_bfrev_b32_e32 v2, 1
	s_mov_b32 s11, exec_lo
	v_cmpx_ne_u16_e32 0x80, v30
	s_cbranch_execz .LBB4_6244
; %bb.6239:                             ;   in Loop: Header=BB4_5789 Depth=2
	v_bfe_u32 v30, v36, 16, 7
	v_mov_b32_e32 v2, 0x7f800001
	s_mov_b32 s41, exec_lo
	s_delay_alu instid0(VALU_DEP_2)
	v_cmpx_ne_u32_e32 0x7f, v30
	s_cbranch_execz .LBB4_6243
; %bb.6240:                             ;   in Loop: Header=BB4_5789 Depth=2
	v_dual_mov_b32 v83, v37 :: v_dual_bitop2_b32 v82, 7, v3 bitop3:0x40
	v_lshrrev_b32_e32 v2, 3, v30
	s_mov_b32 s42, exec_lo
	v_cmpx_gt_u32_e32 8, v30
; %bb.6241:                             ;   in Loop: Header=BB4_5789 Depth=2
	s_delay_alu instid0(VALU_DEP_3) | instskip(NEXT) | instid1(VALU_DEP_1)
	v_clz_i32_u32_e32 v2, v82
	v_min_u32_e32 v2, 32, v2
	s_delay_alu instid0(VALU_DEP_1) | instskip(NEXT) | instid1(VALU_DEP_1)
	v_subrev_nc_u32_e32 v20, 28, v2
	v_lshlrev_b64_e32 v[20:21], v20, v[82:83]
	s_delay_alu instid0(VALU_DEP_1)
	v_dual_sub_nc_u32 v2, 29, v2 :: v_dual_bitop2_b32 v82, 7, v20 bitop3:0x40
; %bb.6242:                             ;   in Loop: Header=BB4_5789 Depth=2
	s_or_b32 exec_lo, exec_lo, s42
	s_delay_alu instid0(VALU_DEP_1) | instskip(NEXT) | instid1(VALU_DEP_2)
	v_dual_lshlrev_b32 v3, 24, v3 :: v_dual_lshlrev_b32 v20, 20, v82
	v_lshl_add_u32 v2, v2, 23, 0x3c000000
	s_delay_alu instid0(VALU_DEP_2) | instskip(NEXT) | instid1(VALU_DEP_1)
	v_and_b32_e32 v3, 0x80000000, v3
	v_or3_b32 v2, v20, v3, v2
.LBB4_6243:                             ;   in Loop: Header=BB4_5789 Depth=2
	s_or_b32 exec_lo, exec_lo, s41
.LBB4_6244:                             ;   in Loop: Header=BB4_5789 Depth=2
	s_delay_alu instid0(SALU_CYCLE_1)
	s_or_b32 exec_lo, exec_lo, s11
.LBB4_6245:                             ;   in Loop: Header=BB4_5789 Depth=2
	s_delay_alu instid0(SALU_CYCLE_1) | instskip(SKIP_3) | instid1(VALU_DEP_1)
	s_or_b32 exec_lo, exec_lo, s10
	v_lshrrev_b32_e32 v30, 16, v10
	s_mov_b32 s11, 0
	s_mov_b32 s10, exec_lo
	v_and_b32_e32 v82, 0xff, v30
	s_delay_alu instid0(VALU_DEP_1)
	v_cmpx_lt_i16_e32 0x7f, v82
	s_xor_b32 s10, exec_lo, s10
	s_cbranch_execnz .LBB4_6248
; %bb.6246:                             ;   in Loop: Header=BB4_5789 Depth=2
	s_or_saveexec_b32 s10, s10
	v_bfrev_b32_e32 v3, 1
	s_xor_b32 exec_lo, exec_lo, s10
	s_cbranch_execnz .LBB4_6251
.LBB4_6247:                             ;   in Loop: Header=BB4_5789 Depth=2
	s_or_b32 exec_lo, exec_lo, s10
	s_and_saveexec_b32 s10, s11
	s_cbranch_execnz .LBB4_6252
	s_branch .LBB4_6255
.LBB4_6248:                             ;   in Loop: Header=BB4_5789 Depth=2
	s_mov_b32 s11, -1
	s_mov_b32 s41, exec_lo
	v_cmpx_eq_u16_e32 0x80, v82
; %bb.6249:                             ;   in Loop: Header=BB4_5789 Depth=2
	s_xor_b32 s11, exec_lo, -1
; %bb.6250:                             ;   in Loop: Header=BB4_5789 Depth=2
	s_or_b32 exec_lo, exec_lo, s41
	s_delay_alu instid0(SALU_CYCLE_1)
	s_and_b32 s11, s11, exec_lo
                                        ; implicit-def: $vgpr82
	s_or_saveexec_b32 s10, s10
	v_bfrev_b32_e32 v3, 1
	s_xor_b32 exec_lo, exec_lo, s10
	s_cbranch_execz .LBB4_6247
.LBB4_6251:                             ;   in Loop: Header=BB4_5789 Depth=2
	v_cmp_ne_u16_e32 vcc_lo, 0, v82
	v_mov_b32_e32 v3, 0
	s_and_not1_b32 s11, s11, exec_lo
	s_and_b32 s41, vcc_lo, exec_lo
	s_delay_alu instid0(SALU_CYCLE_1)
	s_or_b32 s11, s11, s41
	s_or_b32 exec_lo, exec_lo, s10
	s_and_saveexec_b32 s10, s11
	s_cbranch_execz .LBB4_6255
.LBB4_6252:                             ;   in Loop: Header=BB4_5789 Depth=2
	v_and_b32_e32 v82, 0x7f, v30
	v_mov_b32_e32 v3, 0x7f800001
	s_mov_b32 s11, exec_lo
	s_delay_alu instid0(VALU_DEP_2)
	v_cmpx_ne_u32_e32 0x7f, v82
	s_cbranch_execz .LBB4_6254
; %bb.6253:                             ;   in Loop: Header=BB4_5789 Depth=2
	v_and_b32_e32 v3, 7, v30
	v_cmp_gt_u32_e32 vcc_lo, 8, v82
	s_delay_alu instid0(VALU_DEP_2) | instskip(NEXT) | instid1(VALU_DEP_1)
	v_clz_i32_u32_e32 v20, v3
	v_min_u32_e32 v83, 32, v20
	s_delay_alu instid0(VALU_DEP_1) | instskip(SKIP_1) | instid1(VALU_DEP_2)
	v_subrev_nc_u32_e32 v20, 28, v83
	v_sub_nc_u32_e32 v83, 29, v83
	v_lshlrev_b64_e32 v[20:21], v20, v[30:31]
	s_delay_alu instid0(VALU_DEP_1) | instskip(NEXT) | instid1(VALU_DEP_1)
	v_dual_lshrrev_b32 v21, 3, v82 :: v_dual_bitop2_b32 v20, 7, v20 bitop3:0x40
	v_dual_cndmask_b32 v21, v21, v83 :: v_dual_lshlrev_b32 v30, 24, v30
	s_delay_alu instid0(VALU_DEP_2) | instskip(NEXT) | instid1(VALU_DEP_2)
	v_cndmask_b32_e32 v3, v3, v20, vcc_lo
	v_and_b32_e32 v20, 0x80000000, v30
	s_delay_alu instid0(VALU_DEP_3) | instskip(NEXT) | instid1(VALU_DEP_3)
	v_lshl_add_u32 v21, v21, 23, 0x3c000000
	v_lshlrev_b32_e32 v3, 20, v3
	s_delay_alu instid0(VALU_DEP_1)
	v_or3_b32 v3, v3, v20, v21
.LBB4_6254:                             ;   in Loop: Header=BB4_5789 Depth=2
	s_or_b32 exec_lo, exec_lo, s11
.LBB4_6255:                             ;   in Loop: Header=BB4_5789 Depth=2
	s_delay_alu instid0(SALU_CYCLE_1) | instskip(NEXT) | instid1(VALU_DEP_1)
	s_or_b32 exec_lo, exec_lo, s10
	v_dual_add_f32 v3, v2, v3 :: v_dual_mov_b32 v21, v37
                                        ; implicit-def: $vgpr40
	s_mov_b32 s10, exec_lo
	s_delay_alu instid0(VALU_DEP_1) | instskip(SKIP_1) | instid1(VALU_DEP_2)
	v_and_b32_e32 v20, 0x7f800000, v3
	v_lshrrev_b32_e32 v2, 24, v3
	v_cmpx_ne_u64_e32 0x7f800000, v[20:21]
	s_xor_b32 s11, exec_lo, s10
	s_cbranch_execz .LBB4_6269
; %bb.6256:                             ;   in Loop: Header=BB4_5789 Depth=2
	v_and_b32_e32 v20, 0x7fffffff, v3
	v_mov_b32_e32 v21, v37
	v_and_b32_e32 v2, 0x80, v2
                                        ; implicit-def: $vgpr40
	s_mov_b32 s10, exec_lo
	s_delay_alu instid0(VALU_DEP_2)
	v_cmpx_gt_u64_e32 0x43e00001, v[20:21]
	s_xor_b32 s41, exec_lo, s10
	s_cbranch_execz .LBB4_6266
; %bb.6257:                             ;   in Loop: Header=BB4_5789 Depth=2
	v_mov_b32_e32 v40, 0
	s_mov_b32 s42, exec_lo
	v_cmpx_ne_u32_e32 0, v3
	s_cbranch_execz .LBB4_6265
; %bb.6258:                             ;   in Loop: Header=BB4_5789 Depth=2
	v_bfe_u32 v30, v3, 23, 8
	v_and_b32_e32 v3, 0x7fffff, v3
	s_delay_alu instid0(VALU_DEP_2) | instskip(SKIP_1) | instid1(VALU_DEP_3)
	v_dual_mov_b32 v83, v37 :: v_dual_sub_nc_u32 v20, 0x79, v30
	v_cmp_gt_u32_e32 vcc_lo, 0x7a, v30
	v_or_b32_e32 v82, 0x800000, v3
	s_delay_alu instid0(VALU_DEP_3) | instskip(SKIP_1) | instid1(VALU_DEP_2)
	v_cndmask_b32_e32 v20, 0, v20, vcc_lo
	v_cmp_eq_u32_e32 vcc_lo, 0, v30
	v_cndmask_b32_e64 v113, v20, 0x78, vcc_lo
	s_delay_alu instid0(VALU_DEP_1) | instskip(SKIP_1) | instid1(VALU_DEP_2)
	v_dual_cndmask_b32 v82, v82, v3, vcc_lo :: v_dual_add_nc_u32 v20, 20, v113
	v_add_nc_u32_e32 v84, 19, v113
	v_lshlrev_b64_e64 v[20:21], v20, -1
	s_delay_alu instid0(VALU_DEP_2) | instskip(NEXT) | instid1(VALU_DEP_2)
	v_lshlrev_b64_e64 v[84:85], v84, 1
	v_bfi_b32 v20, v20, 0, v82
	v_lshrrev_b64 v[82:83], v113, v[82:83]
	s_delay_alu instid0(VALU_DEP_4) | instskip(NEXT) | instid1(VALU_DEP_1)
	v_bfi_b32 v21, v21, 0, 0
	v_cmp_eq_u64_e64 s10, v[20:21], v[84:85]
	s_delay_alu instid0(VALU_DEP_3)
	v_mov_b64_e32 v[84:85], v[82:83]
	s_and_saveexec_b32 s43, s10
; %bb.6259:                             ;   in Loop: Header=BB4_5789 Depth=2
	v_bfe_u32 v20, v82, 20, 1
	v_mov_b32_e32 v21, v37
	s_delay_alu instid0(VALU_DEP_1) | instskip(NEXT) | instid1(VALU_DEP_1)
	v_add_nc_u64_e32 v[20:21], v[82:83], v[20:21]
	v_add_nc_u64_e32 v[84:85], -1, v[20:21]
; %bb.6260:                             ;   in Loop: Header=BB4_5789 Depth=2
	s_or_b32 exec_lo, exec_lo, s43
	v_add_nc_u32_e32 v3, 0xffffff81, v30
	v_lshrrev_b32_e32 v20, 23, v82
	s_mov_b32 s10, exec_lo
	v_mov_b32_e32 v83, v37
	s_delay_alu instid0(VALU_DEP_3) | instskip(NEXT) | instid1(VALU_DEP_1)
	v_cndmask_b32_e64 v3, v3, 0xffffff82, vcc_lo
	v_add3_u32 v30, v113, v3, v20
	v_and_b32_e32 v3, 0xfffff, v84
	s_delay_alu instid0(VALU_DEP_2) | instskip(NEXT) | instid1(VALU_DEP_2)
	v_add_nc_u32_e32 v84, 6, v30
	v_add_nc_u32_e32 v82, v3, v82
                                        ; implicit-def: $vgpr3
	s_delay_alu instid0(VALU_DEP_2)
	v_cmpx_ne_u32_e32 0, v84
	s_xor_b32 s10, exec_lo, s10
; %bb.6261:                             ;   in Loop: Header=BB4_5789 Depth=2
	s_delay_alu instid0(VALU_DEP_2) | instskip(SKIP_2) | instid1(VALU_DEP_2)
	v_cmp_lt_u64_e32 vcc_lo, 0xffffff, v[82:83]
	v_add_nc_u32_e32 v3, 7, v30
	v_cndmask_b32_e64 v20, 0, 1, vcc_lo
	v_cndmask_b32_e32 v3, v84, v3, vcc_lo
	s_delay_alu instid0(VALU_DEP_2)
	v_lshrrev_b64 v[82:83], v20, v[82:83]
; %bb.6262:                             ;   in Loop: Header=BB4_5789 Depth=2
	s_and_not1_saveexec_b32 s10, s10
; %bb.6263:                             ;   in Loop: Header=BB4_5789 Depth=2
	s_delay_alu instid0(VALU_DEP_1)
	v_bfe_u32 v3, v82, 23, 1
; %bb.6264:                             ;   in Loop: Header=BB4_5789 Depth=2
	s_or_b32 exec_lo, exec_lo, s10
	s_delay_alu instid0(VALU_DEP_2) | instskip(NEXT) | instid1(VALU_DEP_2)
	v_lshrrev_b64 v[20:21], 20, v[82:83]
	v_cmp_gt_i32_e32 vcc_lo, 16, v3
	v_min_i32_e32 v30, 15, v3
	v_cmp_eq_u32_e64 s10, 0, v3
	s_delay_alu instid0(VALU_DEP_2) | instskip(SKIP_1) | instid1(VALU_DEP_2)
	v_dual_cndmask_b32 v21, 0, v21 :: v_dual_lshlrev_b32 v30, 3, v30
	v_cndmask_b32_e32 v20, 7, v20, vcc_lo
	v_and_b32_e32 v30, 0xf8, v30
	s_delay_alu instid0(VALU_DEP_2) | instskip(NEXT) | instid1(VALU_DEP_2)
	v_cmp_eq_u64_e32 vcc_lo, 0, v[20:21]
	v_and_or_b32 v3, v20, 7, v30
	s_and_b32 s10, s10, vcc_lo
	s_delay_alu instid0(VALU_DEP_1) | instid1(SALU_CYCLE_1)
	v_cndmask_b32_e64 v3, v3, 0, s10
	s_delay_alu instid0(VALU_DEP_1)
	v_or_b32_e32 v40, v3, v2
.LBB4_6265:                             ;   in Loop: Header=BB4_5789 Depth=2
	s_or_b32 exec_lo, exec_lo, s42
                                        ; implicit-def: $vgpr2
.LBB4_6266:                             ;   in Loop: Header=BB4_5789 Depth=2
	s_and_not1_saveexec_b32 s10, s41
; %bb.6267:                             ;   in Loop: Header=BB4_5789 Depth=2
	v_or_b32_e32 v40, 0x7e, v2
; %bb.6268:                             ;   in Loop: Header=BB4_5789 Depth=2
	s_or_b32 exec_lo, exec_lo, s10
                                        ; implicit-def: $vgpr2
.LBB4_6269:                             ;   in Loop: Header=BB4_5789 Depth=2
	s_and_not1_saveexec_b32 s10, s11
; %bb.6270:                             ;   in Loop: Header=BB4_5789 Depth=2
	v_or_b32_e32 v40, 0x7f, v2
; %bb.6271:                             ;   in Loop: Header=BB4_5789 Depth=2
	s_or_b32 exec_lo, exec_lo, s10
	v_mov_b32_e32 v2, 0
	s_mov_b32 s10, exec_lo
	v_cmpx_lt_u32_e32 0xffffff, v36
	s_cbranch_execz .LBB4_6279
; %bb.6272:                             ;   in Loop: Header=BB4_5789 Depth=2
	v_lshrrev_b32_e32 v3, 24, v36
	v_bfrev_b32_e32 v2, 1
	s_mov_b32 s11, exec_lo
	s_delay_alu instid0(VALU_DEP_2)
	v_cmpx_ne_u32_e32 0x80, v3
	s_cbranch_execz .LBB4_6278
; %bb.6273:                             ;   in Loop: Header=BB4_5789 Depth=2
	v_bfe_u32 v30, v36, 24, 7
	v_mov_b32_e32 v2, 0x7f800001
	s_mov_b32 s41, exec_lo
	s_delay_alu instid0(VALU_DEP_2)
	v_cmpx_ne_u32_e32 0x7f, v30
	s_cbranch_execz .LBB4_6277
; %bb.6274:                             ;   in Loop: Header=BB4_5789 Depth=2
	v_dual_lshrrev_b32 v2, 3, v30 :: v_dual_bitop2_b32 v36, 7, v3 bitop3:0x40
	s_mov_b32 s42, exec_lo
	v_cmpx_gt_u32_e32 8, v30
; %bb.6275:                             ;   in Loop: Header=BB4_5789 Depth=2
	s_delay_alu instid0(VALU_DEP_2) | instskip(NEXT) | instid1(VALU_DEP_1)
	v_clz_i32_u32_e32 v2, v36
	v_min_u32_e32 v2, 32, v2
	s_delay_alu instid0(VALU_DEP_1) | instskip(NEXT) | instid1(VALU_DEP_1)
	v_subrev_nc_u32_e32 v20, 28, v2
	v_lshlrev_b64_e32 v[20:21], v20, v[36:37]
	s_delay_alu instid0(VALU_DEP_1)
	v_dual_sub_nc_u32 v2, 29, v2 :: v_dual_bitop2_b32 v36, 7, v20 bitop3:0x40
; %bb.6276:                             ;   in Loop: Header=BB4_5789 Depth=2
	s_or_b32 exec_lo, exec_lo, s42
	s_delay_alu instid0(VALU_DEP_1) | instskip(NEXT) | instid1(VALU_DEP_2)
	v_dual_lshlrev_b32 v3, 24, v3 :: v_dual_lshlrev_b32 v20, 20, v36
	v_lshl_add_u32 v2, v2, 23, 0x3c000000
	s_delay_alu instid0(VALU_DEP_2) | instskip(NEXT) | instid1(VALU_DEP_1)
	v_and_b32_e32 v3, 0x80000000, v3
	v_or3_b32 v2, v20, v3, v2
.LBB4_6277:                             ;   in Loop: Header=BB4_5789 Depth=2
	s_or_b32 exec_lo, exec_lo, s41
.LBB4_6278:                             ;   in Loop: Header=BB4_5789 Depth=2
	s_delay_alu instid0(SALU_CYCLE_1)
	s_or_b32 exec_lo, exec_lo, s11
.LBB4_6279:                             ;   in Loop: Header=BB4_5789 Depth=2
	s_delay_alu instid0(SALU_CYCLE_1) | instskip(SKIP_3) | instid1(VALU_DEP_3)
	s_or_b32 exec_lo, exec_lo, s10
	v_lshrrev_b32_e32 v30, 24, v10
	v_bfe_u32 v3, v10, 24, 7
	v_cmp_gt_u32_e64 s11, 0x1000000, v10
	v_cmp_eq_u32_e32 vcc_lo, 0x80, v30
	s_delay_alu instid0(VALU_DEP_3) | instskip(SKIP_2) | instid1(VALU_DEP_1)
	v_cmp_eq_u32_e64 s10, 0x7f, v3
	v_cndmask_b32_e32 v20, 0x7f800001, v101, vcc_lo
	s_or_b32 s10, vcc_lo, s10
	v_cndmask_b32_e64 v36, v20, 0, s11
	s_nor_b32 s11, s11, s10
	s_delay_alu instid0(SALU_CYCLE_1)
	s_and_saveexec_b32 s10, s11
	s_cbranch_execz .LBB4_6281
; %bb.6280:                             ;   in Loop: Header=BB4_5789 Depth=2
	v_and_b32_e32 v36, 7, v30
	v_cmp_gt_u32_e32 vcc_lo, 8, v3
	s_delay_alu instid0(VALU_DEP_2) | instskip(NEXT) | instid1(VALU_DEP_1)
	v_clz_i32_u32_e32 v20, v36
	v_min_u32_e32 v82, 32, v20
	s_delay_alu instid0(VALU_DEP_1) | instskip(NEXT) | instid1(VALU_DEP_1)
	v_subrev_nc_u32_e32 v20, 28, v82
	v_lshlrev_b64_e32 v[20:21], v20, v[30:31]
	v_dual_lshrrev_b32 v21, 3, v3 :: v_dual_sub_nc_u32 v82, 29, v82
	s_delay_alu instid0(VALU_DEP_2) | instskip(NEXT) | instid1(VALU_DEP_1)
	v_dual_lshlrev_b32 v20, 24, v30 :: v_dual_bitop2_b32 v3, 7, v20 bitop3:0x40
	v_dual_cndmask_b32 v3, v36, v3, vcc_lo :: v_dual_cndmask_b32 v21, v21, v82, vcc_lo
	s_delay_alu instid0(VALU_DEP_2) | instskip(NEXT) | instid1(VALU_DEP_2)
	v_and_b32_e32 v20, 0x80000000, v20
	v_lshlrev_b32_e32 v3, 20, v3
	s_delay_alu instid0(VALU_DEP_3) | instskip(NEXT) | instid1(VALU_DEP_1)
	v_lshl_add_u32 v21, v21, 23, 0x3c000000
	v_or3_b32 v36, v3, v20, v21
.LBB4_6281:                             ;   in Loop: Header=BB4_5789 Depth=2
	s_or_b32 exec_lo, exec_lo, s10
	s_delay_alu instid0(VALU_DEP_1) | instskip(SKIP_1) | instid1(VALU_DEP_1)
	v_add_f32_e32 v3, v2, v36
                                        ; implicit-def: $vgpr43
	s_mov_b32 s10, exec_lo
	v_and_b32_e32 v36, 0x7f800000, v3
	v_lshrrev_b32_e32 v2, 24, v3
	s_delay_alu instid0(VALU_DEP_2)
	v_cmpx_ne_u64_e32 0x7f800000, v[36:37]
	s_xor_b32 s11, exec_lo, s10
	s_cbranch_execz .LBB4_6295
; %bb.6282:                             ;   in Loop: Header=BB4_5789 Depth=2
	v_and_b32_e32 v36, 0x7fffffff, v3
	v_and_b32_e32 v2, 0x80, v2
                                        ; implicit-def: $vgpr43
	s_mov_b32 s10, exec_lo
	s_delay_alu instid0(VALU_DEP_2)
	v_cmpx_gt_u64_e32 0x43e00001, v[36:37]
	s_xor_b32 s41, exec_lo, s10
	s_cbranch_execz .LBB4_6292
; %bb.6283:                             ;   in Loop: Header=BB4_5789 Depth=2
	v_mov_b32_e32 v43, 0
	s_mov_b32 s42, exec_lo
	v_cmpx_ne_u32_e32 0, v3
	s_cbranch_execz .LBB4_6291
; %bb.6284:                             ;   in Loop: Header=BB4_5789 Depth=2
	v_bfe_u32 v30, v3, 23, 8
	v_and_b32_e32 v3, 0x7fffff, v3
	s_delay_alu instid0(VALU_DEP_2) | instskip(SKIP_1) | instid1(VALU_DEP_3)
	v_sub_nc_u32_e32 v20, 0x79, v30
	v_cmp_gt_u32_e32 vcc_lo, 0x7a, v30
	v_or_b32_e32 v36, 0x800000, v3
	s_delay_alu instid0(VALU_DEP_3) | instskip(SKIP_1) | instid1(VALU_DEP_2)
	v_cndmask_b32_e32 v20, 0, v20, vcc_lo
	v_cmp_eq_u32_e32 vcc_lo, 0, v30
	v_cndmask_b32_e64 v113, v20, 0x78, vcc_lo
	s_delay_alu instid0(VALU_DEP_1) | instskip(SKIP_1) | instid1(VALU_DEP_2)
	v_dual_cndmask_b32 v36, v36, v3, vcc_lo :: v_dual_add_nc_u32 v20, 20, v113
	v_add_nc_u32_e32 v82, 19, v113
	v_lshlrev_b64_e64 v[20:21], v20, -1
	s_delay_alu instid0(VALU_DEP_2) | instskip(NEXT) | instid1(VALU_DEP_4)
	v_lshlrev_b64_e64 v[84:85], v82, 1
	v_lshrrev_b64 v[82:83], v113, v[36:37]
	s_delay_alu instid0(VALU_DEP_3) | instskip(NEXT) | instid1(VALU_DEP_4)
	v_bfi_b32 v21, v21, 0, 0
	v_bfi_b32 v20, v20, 0, v36
	s_delay_alu instid0(VALU_DEP_1) | instskip(NEXT) | instid1(VALU_DEP_4)
	v_cmp_eq_u64_e64 s10, v[20:21], v[84:85]
	v_mov_b64_e32 v[84:85], v[82:83]
	s_and_saveexec_b32 s43, s10
; %bb.6285:                             ;   in Loop: Header=BB4_5789 Depth=2
	v_bfe_u32 v36, v82, 20, 1
	s_delay_alu instid0(VALU_DEP_1) | instskip(NEXT) | instid1(VALU_DEP_1)
	v_add_nc_u64_e32 v[20:21], v[82:83], v[36:37]
	v_add_nc_u64_e32 v[84:85], -1, v[20:21]
; %bb.6286:                             ;   in Loop: Header=BB4_5789 Depth=2
	s_or_b32 exec_lo, exec_lo, s43
	v_add_nc_u32_e32 v3, 0xffffff81, v30
	v_lshrrev_b32_e32 v20, 23, v82
	s_mov_b32 s10, exec_lo
	s_delay_alu instid0(VALU_DEP_2) | instskip(NEXT) | instid1(VALU_DEP_1)
	v_cndmask_b32_e64 v3, v3, 0xffffff82, vcc_lo
	v_add3_u32 v30, v113, v3, v20
	v_and_b32_e32 v3, 0xfffff, v84
	s_delay_alu instid0(VALU_DEP_2) | instskip(NEXT) | instid1(VALU_DEP_2)
	v_add_nc_u32_e32 v84, 6, v30
	v_add_nc_u32_e32 v36, v3, v82
                                        ; implicit-def: $vgpr82_vgpr83
                                        ; implicit-def: $vgpr3
	s_delay_alu instid0(VALU_DEP_2)
	v_cmpx_ne_u32_e32 0, v84
	s_xor_b32 s10, exec_lo, s10
; %bb.6287:                             ;   in Loop: Header=BB4_5789 Depth=2
	s_delay_alu instid0(VALU_DEP_2) | instskip(SKIP_2) | instid1(VALU_DEP_2)
	v_cmp_lt_u64_e32 vcc_lo, 0xffffff, v[36:37]
	v_add_nc_u32_e32 v3, 7, v30
	v_cndmask_b32_e64 v20, 0, 1, vcc_lo
	v_cndmask_b32_e32 v3, v84, v3, vcc_lo
	s_delay_alu instid0(VALU_DEP_2)
	v_lshrrev_b64 v[82:83], v20, v[36:37]
; %bb.6288:                             ;   in Loop: Header=BB4_5789 Depth=2
	s_and_not1_saveexec_b32 s10, s10
; %bb.6289:                             ;   in Loop: Header=BB4_5789 Depth=2
	v_mov_b64_e32 v[82:83], v[36:37]
	v_bfe_u32 v3, v36, 23, 1
; %bb.6290:                             ;   in Loop: Header=BB4_5789 Depth=2
	s_or_b32 exec_lo, exec_lo, s10
	s_delay_alu instid0(VALU_DEP_2) | instskip(NEXT) | instid1(VALU_DEP_2)
	v_lshrrev_b64 v[20:21], 20, v[82:83]
	v_cmp_gt_i32_e32 vcc_lo, 16, v3
	v_min_i32_e32 v30, 15, v3
	v_cmp_eq_u32_e64 s10, 0, v3
	s_delay_alu instid0(VALU_DEP_2) | instskip(SKIP_1) | instid1(VALU_DEP_2)
	v_dual_cndmask_b32 v21, 0, v21 :: v_dual_lshlrev_b32 v30, 3, v30
	v_cndmask_b32_e32 v20, 7, v20, vcc_lo
	v_and_b32_e32 v30, 0xf8, v30
	s_delay_alu instid0(VALU_DEP_2) | instskip(NEXT) | instid1(VALU_DEP_2)
	v_cmp_eq_u64_e32 vcc_lo, 0, v[20:21]
	v_and_or_b32 v3, v20, 7, v30
	s_and_b32 s10, s10, vcc_lo
	s_delay_alu instid0(VALU_DEP_1) | instid1(SALU_CYCLE_1)
	v_cndmask_b32_e64 v3, v3, 0, s10
	s_delay_alu instid0(VALU_DEP_1)
	v_or_b32_e32 v43, v3, v2
.LBB4_6291:                             ;   in Loop: Header=BB4_5789 Depth=2
	s_or_b32 exec_lo, exec_lo, s42
                                        ; implicit-def: $vgpr2
.LBB4_6292:                             ;   in Loop: Header=BB4_5789 Depth=2
	s_and_not1_saveexec_b32 s10, s41
; %bb.6293:                             ;   in Loop: Header=BB4_5789 Depth=2
	v_or_b32_e32 v43, 0x7e, v2
; %bb.6294:                             ;   in Loop: Header=BB4_5789 Depth=2
	s_or_b32 exec_lo, exec_lo, s10
                                        ; implicit-def: $vgpr2
.LBB4_6295:                             ;   in Loop: Header=BB4_5789 Depth=2
	s_and_not1_saveexec_b32 s10, s11
; %bb.6296:                             ;   in Loop: Header=BB4_5789 Depth=2
	v_or_b32_e32 v43, 0x7f, v2
; %bb.6297:                             ;   in Loop: Header=BB4_5789 Depth=2
	s_or_b32 exec_lo, exec_lo, s10
	v_lshl_or_b32 v2, v87, 8, v86
	v_dual_lshlrev_b32 v3, 16, v47 :: v_dual_lshlrev_b32 v20, 24, v56
	s_mov_b32 s10, exec_lo
	s_delay_alu instid0(VALU_DEP_1)
	v_or3_b32 v36, v3, v20, v2
	v_mov_b32_e32 v3, 0
	v_cmpx_ne_u32_e32 0, v86
	s_cbranch_execz .LBB4_6303
; %bb.6298:                             ;   in Loop: Header=BB4_5789 Depth=2
	v_bfrev_b32_e32 v3, 1
	s_mov_b32 s11, exec_lo
	v_cmpx_ne_u32_e32 0x80, v86
	s_cbranch_execz .LBB4_6302
; %bb.6299:                             ;   in Loop: Header=BB4_5789 Depth=2
	v_and_b32_e32 v30, 0x7f, v86
	v_mov_b32_e32 v3, 0x7f800001
	s_mov_b32 s41, exec_lo
	s_delay_alu instid0(VALU_DEP_2)
	v_cmpx_ne_u32_e32 0x7f, v30
	s_cbranch_execz .LBB4_6301
; %bb.6300:                             ;   in Loop: Header=BB4_5789 Depth=2
	v_cmp_gt_u32_e32 vcc_lo, 8, v30
	v_and_b32_e32 v3, 7, v86
	s_delay_alu instid0(VALU_DEP_1) | instskip(NEXT) | instid1(VALU_DEP_1)
	v_clz_i32_u32_e32 v3, v3
	v_min_u32_e32 v3, 32, v3
	v_lshrrev_b32_e32 v20, 3, v30
	s_delay_alu instid0(VALU_DEP_2) | instskip(SKIP_1) | instid1(VALU_DEP_1)
	v_subrev_nc_u32_e32 v21, 28, v3
	v_sub_nc_u32_e32 v3, 29, v3
	v_dual_cndmask_b32 v3, v20, v3 :: v_dual_cndmask_b32 v20, 0, v21
	s_delay_alu instid0(VALU_DEP_1) | instskip(SKIP_1) | instid1(VALU_DEP_3)
	v_lshlrev_b64_e32 v[20:21], v20, v[36:37]
	v_lshlrev_b32_e32 v21, 24, v36
	v_lshl_add_u32 v3, v3, 23, 0x3c000000
	s_delay_alu instid0(VALU_DEP_2) | instskip(NEXT) | instid1(VALU_DEP_4)
	v_and_b32_e32 v21, 0x80000000, v21
	v_lshlrev_b32_e32 v20, 20, v20
	s_delay_alu instid0(VALU_DEP_1) | instskip(NEXT) | instid1(VALU_DEP_1)
	v_and_b32_e32 v20, 0x700000, v20
	v_or3_b32 v3, v20, v21, v3
.LBB4_6301:                             ;   in Loop: Header=BB4_5789 Depth=2
	s_or_b32 exec_lo, exec_lo, s41
.LBB4_6302:                             ;   in Loop: Header=BB4_5789 Depth=2
	s_delay_alu instid0(SALU_CYCLE_1)
	s_or_b32 exec_lo, exec_lo, s11
.LBB4_6303:                             ;   in Loop: Header=BB4_5789 Depth=2
	s_delay_alu instid0(SALU_CYCLE_1) | instskip(SKIP_4) | instid1(VALU_DEP_2)
	s_or_b32 exec_lo, exec_lo, s10
	v_and_b32_e32 v83, 0xff, v11
	v_mov_b32_e32 v82, v11
	s_mov_b32 s10, 0
	s_mov_b32 s11, exec_lo
	v_cmpx_lt_i16_e32 0x7f, v83
	s_xor_b32 s11, exec_lo, s11
	s_cbranch_execnz .LBB4_6334
; %bb.6304:                             ;   in Loop: Header=BB4_5789 Depth=2
	s_or_saveexec_b32 s11, s11
	v_bfrev_b32_e32 v30, 1
	s_xor_b32 exec_lo, exec_lo, s11
	s_cbranch_execnz .LBB4_6337
.LBB4_6305:                             ;   in Loop: Header=BB4_5789 Depth=2
	s_or_b32 exec_lo, exec_lo, s11
	v_mov_b32_e32 v83, v37
	s_and_saveexec_b32 s11, s10
	s_cbranch_execz .LBB4_6307
.LBB4_6306:                             ;   in Loop: Header=BB4_5789 Depth=2
	v_and_b32_e32 v20, 7, v11
	v_and_b32_e32 v30, 0x7f, v11
	v_bfe_u32 v21, v11, 3, 4
	s_delay_alu instid0(VALU_DEP_3) | instskip(NEXT) | instid1(VALU_DEP_3)
	v_clz_i32_u32_e32 v20, v20
	v_cmp_gt_u32_e32 vcc_lo, 8, v30
	s_delay_alu instid0(VALU_DEP_2) | instskip(NEXT) | instid1(VALU_DEP_1)
	v_min_u32_e32 v20, 32, v20
	v_subrev_nc_u32_e32 v84, 28, v20
	v_sub_nc_u32_e32 v20, 29, v20
	s_delay_alu instid0(VALU_DEP_1) | instskip(NEXT) | instid1(VALU_DEP_3)
	v_cndmask_b32_e32 v85, v21, v20, vcc_lo
	v_cndmask_b32_e32 v20, 0, v84, vcc_lo
	v_cmp_ne_u32_e32 vcc_lo, 0x7f, v30
	s_delay_alu instid0(VALU_DEP_2) | instskip(SKIP_1) | instid1(VALU_DEP_1)
	v_lshlrev_b64_e32 v[20:21], v20, v[82:83]
	v_lshlrev_b32_e32 v21, 24, v82
	v_and_b32_e32 v21, 0x80000000, v21
	s_delay_alu instid0(VALU_DEP_3) | instskip(SKIP_1) | instid1(VALU_DEP_2)
	v_lshlrev_b32_e32 v20, 20, v20
	v_lshl_add_u32 v83, v85, 23, 0x3c000000
	v_and_b32_e32 v20, 0x700000, v20
	s_delay_alu instid0(VALU_DEP_1) | instskip(NEXT) | instid1(VALU_DEP_1)
	v_or3_b32 v20, v20, v21, v83
	v_cndmask_b32_e32 v30, 0x7f800001, v20, vcc_lo
.LBB4_6307:                             ;   in Loop: Header=BB4_5789 Depth=2
	s_or_b32 exec_lo, exec_lo, s11
	s_delay_alu instid0(VALU_DEP_1) | instskip(SKIP_1) | instid1(VALU_DEP_1)
	v_dual_add_f32 v30, v3, v30 :: v_dual_mov_b32 v21, v37
                                        ; implicit-def: $vgpr86
	s_mov_b32 s10, exec_lo
	v_and_b32_e32 v20, 0x7f800000, v30
	v_lshrrev_b32_e32 v3, 24, v30
	s_delay_alu instid0(VALU_DEP_2)
	v_cmpx_ne_u64_e32 0x7f800000, v[20:21]
	s_xor_b32 s11, exec_lo, s10
	s_cbranch_execz .LBB4_6321
; %bb.6308:                             ;   in Loop: Header=BB4_5789 Depth=2
	v_and_b32_e32 v20, 0x7fffffff, v30
	v_mov_b32_e32 v21, v37
	v_and_b32_e32 v3, 0x80, v3
                                        ; implicit-def: $vgpr86
	s_mov_b32 s10, exec_lo
	s_delay_alu instid0(VALU_DEP_2)
	v_cmpx_gt_u64_e32 0x43e00001, v[20:21]
	s_xor_b32 s41, exec_lo, s10
	s_cbranch_execz .LBB4_6318
; %bb.6309:                             ;   in Loop: Header=BB4_5789 Depth=2
	v_mov_b32_e32 v86, 0
	s_mov_b32 s42, exec_lo
	v_cmpx_ne_u32_e32 0, v30
	s_cbranch_execz .LBB4_6317
; %bb.6310:                             ;   in Loop: Header=BB4_5789 Depth=2
	v_bfe_u32 v83, v30, 23, 8
	v_and_b32_e32 v30, 0x7fffff, v30
	s_delay_alu instid0(VALU_DEP_2) | instskip(SKIP_1) | instid1(VALU_DEP_3)
	v_dual_mov_b32 v85, v37 :: v_dual_sub_nc_u32 v20, 0x79, v83
	v_cmp_gt_u32_e32 vcc_lo, 0x7a, v83
	v_or_b32_e32 v84, 0x800000, v30
	s_delay_alu instid0(VALU_DEP_3) | instskip(SKIP_1) | instid1(VALU_DEP_2)
	v_cndmask_b32_e32 v20, 0, v20, vcc_lo
	v_cmp_eq_u32_e32 vcc_lo, 0, v83
	v_cndmask_b32_e64 v113, v20, 0x78, vcc_lo
	s_delay_alu instid0(VALU_DEP_1) | instskip(SKIP_1) | instid1(VALU_DEP_2)
	v_dual_cndmask_b32 v84, v84, v30, vcc_lo :: v_dual_add_nc_u32 v20, 20, v113
	v_add_nc_u32_e32 v86, 19, v113
	v_lshlrev_b64_e64 v[20:21], v20, -1
	s_delay_alu instid0(VALU_DEP_2) | instskip(NEXT) | instid1(VALU_DEP_2)
	v_lshlrev_b64_e64 v[86:87], v86, 1
	v_bfi_b32 v20, v20, 0, v84
	v_lshrrev_b64 v[84:85], v113, v[84:85]
	s_delay_alu instid0(VALU_DEP_4) | instskip(NEXT) | instid1(VALU_DEP_1)
	v_bfi_b32 v21, v21, 0, 0
	v_cmp_eq_u64_e64 s10, v[20:21], v[86:87]
	s_delay_alu instid0(VALU_DEP_3)
	v_mov_b64_e32 v[86:87], v[84:85]
	s_and_saveexec_b32 s43, s10
; %bb.6311:                             ;   in Loop: Header=BB4_5789 Depth=2
	v_bfe_u32 v20, v84, 20, 1
	v_mov_b32_e32 v21, v37
	s_delay_alu instid0(VALU_DEP_1) | instskip(NEXT) | instid1(VALU_DEP_1)
	v_add_nc_u64_e32 v[20:21], v[84:85], v[20:21]
	v_add_nc_u64_e32 v[86:87], -1, v[20:21]
; %bb.6312:                             ;   in Loop: Header=BB4_5789 Depth=2
	s_or_b32 exec_lo, exec_lo, s43
	v_dual_mov_b32 v85, v37 :: v_dual_add_nc_u32 v20, 0xffffff81, v83
	v_lshrrev_b32_e32 v21, 23, v84
	s_mov_b32 s10, exec_lo
                                        ; implicit-def: $vgpr30
	s_delay_alu instid0(VALU_DEP_2) | instskip(NEXT) | instid1(VALU_DEP_1)
	v_cndmask_b32_e64 v20, v20, 0xffffff82, vcc_lo
	v_add3_u32 v83, v113, v20, v21
	v_and_b32_e32 v20, 0xfffff, v86
	s_delay_alu instid0(VALU_DEP_1) | instskip(NEXT) | instid1(VALU_DEP_1)
	v_dual_add_nc_u32 v86, 6, v83 :: v_dual_add_nc_u32 v84, v20, v84
	v_cmpx_ne_u32_e32 0, v86
	s_xor_b32 s10, exec_lo, s10
; %bb.6313:                             ;   in Loop: Header=BB4_5789 Depth=2
	s_delay_alu instid0(VALU_DEP_2) | instskip(SKIP_1) | instid1(VALU_DEP_1)
	v_cmp_lt_u64_e32 vcc_lo, 0xffffff, v[84:85]
	v_add_nc_u32_e32 v20, 7, v83
	v_cndmask_b32_e32 v30, v86, v20, vcc_lo
	v_cndmask_b32_e64 v20, 0, 1, vcc_lo
	s_delay_alu instid0(VALU_DEP_1)
	v_lshrrev_b64 v[84:85], v20, v[84:85]
; %bb.6314:                             ;   in Loop: Header=BB4_5789 Depth=2
	s_and_not1_saveexec_b32 s10, s10
; %bb.6315:                             ;   in Loop: Header=BB4_5789 Depth=2
	s_delay_alu instid0(VALU_DEP_1)
	v_bfe_u32 v30, v84, 23, 1
; %bb.6316:                             ;   in Loop: Header=BB4_5789 Depth=2
	s_or_b32 exec_lo, exec_lo, s10
	s_delay_alu instid0(VALU_DEP_2) | instskip(NEXT) | instid1(VALU_DEP_2)
	v_lshrrev_b64 v[20:21], 20, v[84:85]
	v_cmp_gt_i32_e32 vcc_lo, 16, v30
	v_min_i32_e32 v83, 15, v30
	v_cmp_eq_u32_e64 s10, 0, v30
	s_delay_alu instid0(VALU_DEP_2) | instskip(SKIP_1) | instid1(VALU_DEP_2)
	v_dual_cndmask_b32 v21, 0, v21, vcc_lo :: v_dual_lshlrev_b32 v83, 3, v83
	v_cndmask_b32_e32 v20, 7, v20, vcc_lo
	v_and_b32_e32 v83, 0xf8, v83
	s_delay_alu instid0(VALU_DEP_2) | instskip(NEXT) | instid1(VALU_DEP_2)
	v_cmp_eq_u64_e32 vcc_lo, 0, v[20:21]
	v_and_or_b32 v20, v20, 7, v83
	s_and_b32 s10, s10, vcc_lo
	s_delay_alu instid0(VALU_DEP_1) | instid1(SALU_CYCLE_1)
	v_cndmask_b32_e64 v20, v20, 0, s10
	s_delay_alu instid0(VALU_DEP_1)
	v_or_b32_e32 v86, v20, v3
.LBB4_6317:                             ;   in Loop: Header=BB4_5789 Depth=2
	s_or_b32 exec_lo, exec_lo, s42
                                        ; implicit-def: $vgpr3
.LBB4_6318:                             ;   in Loop: Header=BB4_5789 Depth=2
	s_and_not1_saveexec_b32 s10, s41
; %bb.6319:                             ;   in Loop: Header=BB4_5789 Depth=2
	v_or_b32_e32 v86, 0x7e, v3
; %bb.6320:                             ;   in Loop: Header=BB4_5789 Depth=2
	s_or_b32 exec_lo, exec_lo, s10
                                        ; implicit-def: $vgpr3
.LBB4_6321:                             ;   in Loop: Header=BB4_5789 Depth=2
	s_and_not1_saveexec_b32 s10, s11
; %bb.6322:                             ;   in Loop: Header=BB4_5789 Depth=2
	v_or_b32_e32 v86, 0x7f, v3
; %bb.6323:                             ;   in Loop: Header=BB4_5789 Depth=2
	s_or_b32 exec_lo, exec_lo, s10
	v_lshrrev_b16 v30, 8, v2
	v_mov_b32_e32 v3, 0
	s_mov_b32 s10, exec_lo
	s_delay_alu instid0(VALU_DEP_2)
	v_cmpx_ne_u16_e32 0, v30
	s_cbranch_execz .LBB4_6331
; %bb.6324:                             ;   in Loop: Header=BB4_5789 Depth=2
	v_bfrev_b32_e32 v3, 1
	s_mov_b32 s11, exec_lo
	v_cmpx_ne_u16_e32 0x80, v30
	s_cbranch_execz .LBB4_6330
; %bb.6325:                             ;   in Loop: Header=BB4_5789 Depth=2
	v_and_b32_e32 v83, 0xffff, v30
	v_mov_b32_e32 v3, 0x7f800001
	s_mov_b32 s41, exec_lo
	s_delay_alu instid0(VALU_DEP_2) | instskip(NEXT) | instid1(VALU_DEP_1)
	v_and_b32_e32 v30, 0x7f, v83
	v_cmpx_ne_u32_e32 0x7f, v30
	s_cbranch_execz .LBB4_6329
; %bb.6326:                             ;   in Loop: Header=BB4_5789 Depth=2
	v_dual_mov_b32 v85, v37 :: v_dual_bitop2_b32 v84, 7, v83 bitop3:0x40
	v_lshrrev_b32_e32 v3, 3, v30
	s_mov_b32 s42, exec_lo
	v_cmpx_gt_u32_e32 8, v30
; %bb.6327:                             ;   in Loop: Header=BB4_5789 Depth=2
	s_delay_alu instid0(VALU_DEP_3) | instskip(NEXT) | instid1(VALU_DEP_1)
	v_clz_i32_u32_e32 v3, v84
	v_min_u32_e32 v3, 32, v3
	s_delay_alu instid0(VALU_DEP_1) | instskip(NEXT) | instid1(VALU_DEP_1)
	v_subrev_nc_u32_e32 v20, 28, v3
	v_lshlrev_b64_e32 v[20:21], v20, v[84:85]
	s_delay_alu instid0(VALU_DEP_1)
	v_dual_sub_nc_u32 v3, 29, v3 :: v_dual_bitop2_b32 v84, 7, v20 bitop3:0x40
; %bb.6328:                             ;   in Loop: Header=BB4_5789 Depth=2
	s_or_b32 exec_lo, exec_lo, s42
	s_delay_alu instid0(VALU_DEP_1) | instskip(NEXT) | instid1(VALU_DEP_2)
	v_dual_lshlrev_b32 v2, 16, v2 :: v_dual_lshlrev_b32 v20, 20, v84
	v_lshl_add_u32 v3, v3, 23, 0x3c000000
	s_delay_alu instid0(VALU_DEP_2) | instskip(NEXT) | instid1(VALU_DEP_1)
	v_and_b32_e32 v2, 0x80000000, v2
	v_or3_b32 v3, v20, v2, v3
.LBB4_6329:                             ;   in Loop: Header=BB4_5789 Depth=2
	s_or_b32 exec_lo, exec_lo, s41
.LBB4_6330:                             ;   in Loop: Header=BB4_5789 Depth=2
	s_delay_alu instid0(SALU_CYCLE_1)
	s_or_b32 exec_lo, exec_lo, s11
.LBB4_6331:                             ;   in Loop: Header=BB4_5789 Depth=2
	s_delay_alu instid0(SALU_CYCLE_1) | instskip(SKIP_3) | instid1(VALU_DEP_1)
	s_or_b32 exec_lo, exec_lo, s10
	v_lshrrev_b16 v2, 8, v82
	s_mov_b32 s11, 0
	s_mov_b32 s10, exec_lo
	v_cmpx_lt_i16_e32 0x7f, v2
	s_xor_b32 s10, exec_lo, s10
	s_cbranch_execnz .LBB4_6338
; %bb.6332:                             ;   in Loop: Header=BB4_5789 Depth=2
	s_or_saveexec_b32 s10, s10
	v_bfrev_b32_e32 v82, 1
	s_xor_b32 exec_lo, exec_lo, s10
	s_cbranch_execnz .LBB4_6341
.LBB4_6333:                             ;   in Loop: Header=BB4_5789 Depth=2
	s_or_b32 exec_lo, exec_lo, s10
	s_and_saveexec_b32 s10, s11
	s_cbranch_execnz .LBB4_6342
	s_branch .LBB4_6345
.LBB4_6334:                             ;   in Loop: Header=BB4_5789 Depth=2
	s_mov_b32 s10, -1
	s_mov_b32 s41, exec_lo
	v_cmpx_eq_u16_e32 0x80, v83
; %bb.6335:                             ;   in Loop: Header=BB4_5789 Depth=2
	s_xor_b32 s10, exec_lo, -1
; %bb.6336:                             ;   in Loop: Header=BB4_5789 Depth=2
	s_or_b32 exec_lo, exec_lo, s41
	s_delay_alu instid0(SALU_CYCLE_1)
	s_and_b32 s10, s10, exec_lo
                                        ; implicit-def: $vgpr83
	s_or_saveexec_b32 s11, s11
	v_bfrev_b32_e32 v30, 1
	s_xor_b32 exec_lo, exec_lo, s11
	s_cbranch_execz .LBB4_6305
.LBB4_6337:                             ;   in Loop: Header=BB4_5789 Depth=2
	v_cmp_ne_u16_e32 vcc_lo, 0, v83
	v_mov_b32_e32 v30, 0
	s_and_not1_b32 s10, s10, exec_lo
	s_and_b32 s41, vcc_lo, exec_lo
	s_delay_alu instid0(SALU_CYCLE_1)
	s_or_b32 s10, s10, s41
	s_or_b32 exec_lo, exec_lo, s11
	v_mov_b32_e32 v83, v37
	s_and_saveexec_b32 s11, s10
	s_cbranch_execnz .LBB4_6306
	s_branch .LBB4_6307
.LBB4_6338:                             ;   in Loop: Header=BB4_5789 Depth=2
	s_mov_b32 s11, -1
	s_mov_b32 s41, exec_lo
	v_cmpx_eq_u16_e32 0x80, v2
; %bb.6339:                             ;   in Loop: Header=BB4_5789 Depth=2
	s_xor_b32 s11, exec_lo, -1
; %bb.6340:                             ;   in Loop: Header=BB4_5789 Depth=2
	s_or_b32 exec_lo, exec_lo, s41
	s_delay_alu instid0(SALU_CYCLE_1)
	s_and_b32 s11, s11, exec_lo
	s_or_saveexec_b32 s10, s10
	v_bfrev_b32_e32 v82, 1
	s_xor_b32 exec_lo, exec_lo, s10
	s_cbranch_execz .LBB4_6333
.LBB4_6341:                             ;   in Loop: Header=BB4_5789 Depth=2
	v_cmp_ne_u16_e32 vcc_lo, 0, v2
	v_mov_b32_e32 v82, 0
	s_and_not1_b32 s11, s11, exec_lo
	s_and_b32 s41, vcc_lo, exec_lo
	s_delay_alu instid0(SALU_CYCLE_1)
	s_or_b32 s11, s11, s41
	s_or_b32 exec_lo, exec_lo, s10
	s_and_saveexec_b32 s10, s11
	s_cbranch_execz .LBB4_6345
.LBB4_6342:                             ;   in Loop: Header=BB4_5789 Depth=2
	v_and_b32_e32 v30, 0xffff, v2
	v_mov_b32_e32 v82, 0x7f800001
	s_mov_b32 s11, exec_lo
	s_delay_alu instid0(VALU_DEP_2) | instskip(NEXT) | instid1(VALU_DEP_1)
	v_and_b32_e32 v83, 0x7f, v30
	v_cmpx_ne_u32_e32 0x7f, v83
	s_cbranch_execz .LBB4_6344
; %bb.6343:                             ;   in Loop: Header=BB4_5789 Depth=2
	v_and_b32_e32 v82, 7, v30
	v_cmp_gt_u32_e32 vcc_lo, 8, v83
	v_lshlrev_b32_e32 v2, 24, v2
	s_delay_alu instid0(VALU_DEP_3) | instskip(NEXT) | instid1(VALU_DEP_2)
	v_clz_i32_u32_e32 v20, v82
	v_and_b32_e32 v2, 0x80000000, v2
	s_delay_alu instid0(VALU_DEP_2) | instskip(NEXT) | instid1(VALU_DEP_1)
	v_min_u32_e32 v84, 32, v20
	v_subrev_nc_u32_e32 v20, 28, v84
	s_delay_alu instid0(VALU_DEP_1) | instskip(SKIP_1) | instid1(VALU_DEP_1)
	v_lshlrev_b64_e32 v[20:21], v20, v[30:31]
	v_dual_lshrrev_b32 v21, 3, v83 :: v_dual_sub_nc_u32 v30, 29, v84
	v_dual_cndmask_b32 v21, v21, v30, vcc_lo :: v_dual_bitop2_b32 v20, 7, v20 bitop3:0x40
	s_delay_alu instid0(VALU_DEP_1) | instskip(NEXT) | instid1(VALU_DEP_2)
	v_cndmask_b32_e32 v20, v82, v20, vcc_lo
	v_lshl_add_u32 v21, v21, 23, 0x3c000000
	s_delay_alu instid0(VALU_DEP_2) | instskip(NEXT) | instid1(VALU_DEP_1)
	v_lshlrev_b32_e32 v20, 20, v20
	v_or3_b32 v82, v20, v2, v21
.LBB4_6344:                             ;   in Loop: Header=BB4_5789 Depth=2
	s_or_b32 exec_lo, exec_lo, s11
.LBB4_6345:                             ;   in Loop: Header=BB4_5789 Depth=2
	s_delay_alu instid0(SALU_CYCLE_1) | instskip(NEXT) | instid1(VALU_DEP_1)
	s_or_b32 exec_lo, exec_lo, s10
	v_dual_add_f32 v3, v3, v82 :: v_dual_mov_b32 v21, v37
                                        ; implicit-def: $vgpr87
	s_mov_b32 s10, exec_lo
	s_delay_alu instid0(VALU_DEP_1) | instskip(SKIP_1) | instid1(VALU_DEP_2)
	v_and_b32_e32 v20, 0x7f800000, v3
	v_lshrrev_b32_e32 v2, 24, v3
	v_cmpx_ne_u64_e32 0x7f800000, v[20:21]
	s_xor_b32 s11, exec_lo, s10
	s_cbranch_execz .LBB4_6359
; %bb.6346:                             ;   in Loop: Header=BB4_5789 Depth=2
	v_and_b32_e32 v20, 0x7fffffff, v3
	v_mov_b32_e32 v21, v37
	v_and_b32_e32 v2, 0x80, v2
                                        ; implicit-def: $vgpr87
	s_mov_b32 s10, exec_lo
	s_delay_alu instid0(VALU_DEP_2)
	v_cmpx_gt_u64_e32 0x43e00001, v[20:21]
	s_xor_b32 s41, exec_lo, s10
	s_cbranch_execz .LBB4_6356
; %bb.6347:                             ;   in Loop: Header=BB4_5789 Depth=2
	v_mov_b32_e32 v87, 0
	s_mov_b32 s42, exec_lo
	v_cmpx_ne_u32_e32 0, v3
	s_cbranch_execz .LBB4_6355
; %bb.6348:                             ;   in Loop: Header=BB4_5789 Depth=2
	v_bfe_u32 v30, v3, 23, 8
	v_and_b32_e32 v3, 0x7fffff, v3
	s_delay_alu instid0(VALU_DEP_2) | instskip(SKIP_1) | instid1(VALU_DEP_3)
	v_dual_mov_b32 v83, v37 :: v_dual_sub_nc_u32 v20, 0x79, v30
	v_cmp_gt_u32_e32 vcc_lo, 0x7a, v30
	v_or_b32_e32 v82, 0x800000, v3
	s_delay_alu instid0(VALU_DEP_3) | instskip(SKIP_1) | instid1(VALU_DEP_2)
	v_cndmask_b32_e32 v20, 0, v20, vcc_lo
	v_cmp_eq_u32_e32 vcc_lo, 0, v30
	v_cndmask_b32_e64 v87, v20, 0x78, vcc_lo
	s_delay_alu instid0(VALU_DEP_4) | instskip(NEXT) | instid1(VALU_DEP_2)
	v_cndmask_b32_e32 v82, v82, v3, vcc_lo
	v_dual_add_nc_u32 v20, 20, v87 :: v_dual_add_nc_u32 v84, 19, v87
	s_delay_alu instid0(VALU_DEP_1) | instskip(NEXT) | instid1(VALU_DEP_2)
	v_lshlrev_b64_e64 v[20:21], v20, -1
	v_lshlrev_b64_e64 v[84:85], v84, 1
	s_delay_alu instid0(VALU_DEP_2) | instskip(SKIP_1) | instid1(VALU_DEP_4)
	v_bfi_b32 v20, v20, 0, v82
	v_lshrrev_b64 v[82:83], v87, v[82:83]
	v_bfi_b32 v21, v21, 0, 0
	s_delay_alu instid0(VALU_DEP_1) | instskip(NEXT) | instid1(VALU_DEP_3)
	v_cmp_eq_u64_e64 s10, v[20:21], v[84:85]
	v_mov_b64_e32 v[84:85], v[82:83]
	s_and_saveexec_b32 s43, s10
; %bb.6349:                             ;   in Loop: Header=BB4_5789 Depth=2
	v_bfe_u32 v20, v82, 20, 1
	v_mov_b32_e32 v21, v37
	s_delay_alu instid0(VALU_DEP_1) | instskip(NEXT) | instid1(VALU_DEP_1)
	v_add_nc_u64_e32 v[20:21], v[82:83], v[20:21]
	v_add_nc_u64_e32 v[84:85], -1, v[20:21]
; %bb.6350:                             ;   in Loop: Header=BB4_5789 Depth=2
	s_or_b32 exec_lo, exec_lo, s43
	v_add_nc_u32_e32 v3, 0xffffff81, v30
	v_lshrrev_b32_e32 v20, 23, v82
	s_mov_b32 s10, exec_lo
	v_mov_b32_e32 v83, v37
	s_delay_alu instid0(VALU_DEP_3) | instskip(NEXT) | instid1(VALU_DEP_1)
	v_cndmask_b32_e64 v3, v3, 0xffffff82, vcc_lo
	v_add3_u32 v30, v87, v3, v20
	v_and_b32_e32 v3, 0xfffff, v84
	s_delay_alu instid0(VALU_DEP_2) | instskip(NEXT) | instid1(VALU_DEP_2)
	v_add_nc_u32_e32 v84, 6, v30
	v_add_nc_u32_e32 v82, v3, v82
                                        ; implicit-def: $vgpr3
	s_delay_alu instid0(VALU_DEP_2)
	v_cmpx_ne_u32_e32 0, v84
	s_xor_b32 s10, exec_lo, s10
; %bb.6351:                             ;   in Loop: Header=BB4_5789 Depth=2
	s_delay_alu instid0(VALU_DEP_2) | instskip(SKIP_2) | instid1(VALU_DEP_2)
	v_cmp_lt_u64_e32 vcc_lo, 0xffffff, v[82:83]
	v_add_nc_u32_e32 v3, 7, v30
	v_cndmask_b32_e64 v20, 0, 1, vcc_lo
	v_cndmask_b32_e32 v3, v84, v3, vcc_lo
	s_delay_alu instid0(VALU_DEP_2)
	v_lshrrev_b64 v[82:83], v20, v[82:83]
; %bb.6352:                             ;   in Loop: Header=BB4_5789 Depth=2
	s_and_not1_saveexec_b32 s10, s10
; %bb.6353:                             ;   in Loop: Header=BB4_5789 Depth=2
	s_delay_alu instid0(VALU_DEP_1)
	v_bfe_u32 v3, v82, 23, 1
; %bb.6354:                             ;   in Loop: Header=BB4_5789 Depth=2
	s_or_b32 exec_lo, exec_lo, s10
	s_delay_alu instid0(VALU_DEP_2) | instskip(NEXT) | instid1(VALU_DEP_2)
	v_lshrrev_b64 v[20:21], 20, v[82:83]
	v_cmp_gt_i32_e32 vcc_lo, 16, v3
	v_min_i32_e32 v30, 15, v3
	v_cmp_eq_u32_e64 s10, 0, v3
	s_delay_alu instid0(VALU_DEP_2) | instskip(SKIP_1) | instid1(VALU_DEP_2)
	v_dual_cndmask_b32 v21, 0, v21 :: v_dual_lshlrev_b32 v30, 3, v30
	v_cndmask_b32_e32 v20, 7, v20, vcc_lo
	v_and_b32_e32 v30, 0xf8, v30
	s_delay_alu instid0(VALU_DEP_2) | instskip(NEXT) | instid1(VALU_DEP_2)
	v_cmp_eq_u64_e32 vcc_lo, 0, v[20:21]
	v_and_or_b32 v3, v20, 7, v30
	s_and_b32 s10, s10, vcc_lo
	s_delay_alu instid0(VALU_DEP_1) | instid1(SALU_CYCLE_1)
	v_cndmask_b32_e64 v3, v3, 0, s10
	s_delay_alu instid0(VALU_DEP_1)
	v_or_b32_e32 v87, v3, v2
.LBB4_6355:                             ;   in Loop: Header=BB4_5789 Depth=2
	s_or_b32 exec_lo, exec_lo, s42
                                        ; implicit-def: $vgpr2
.LBB4_6356:                             ;   in Loop: Header=BB4_5789 Depth=2
	s_and_not1_saveexec_b32 s10, s41
; %bb.6357:                             ;   in Loop: Header=BB4_5789 Depth=2
	v_or_b32_e32 v87, 0x7e, v2
; %bb.6358:                             ;   in Loop: Header=BB4_5789 Depth=2
	s_or_b32 exec_lo, exec_lo, s10
                                        ; implicit-def: $vgpr2
.LBB4_6359:                             ;   in Loop: Header=BB4_5789 Depth=2
	s_and_not1_saveexec_b32 s10, s11
; %bb.6360:                             ;   in Loop: Header=BB4_5789 Depth=2
	v_or_b32_e32 v87, 0x7f, v2
; %bb.6361:                             ;   in Loop: Header=BB4_5789 Depth=2
	s_or_b32 exec_lo, exec_lo, s10
	v_dual_mov_b32 v2, 0 :: v_dual_lshrrev_b32 v3, 16, v36
	s_mov_b32 s10, exec_lo
	s_delay_alu instid0(VALU_DEP_1) | instskip(NEXT) | instid1(VALU_DEP_1)
	v_and_b32_e32 v30, 0xff, v3
	v_cmpx_ne_u16_e32 0, v30
	s_cbranch_execz .LBB4_6369
; %bb.6362:                             ;   in Loop: Header=BB4_5789 Depth=2
	v_bfrev_b32_e32 v2, 1
	s_mov_b32 s11, exec_lo
	v_cmpx_ne_u16_e32 0x80, v30
	s_cbranch_execz .LBB4_6368
; %bb.6363:                             ;   in Loop: Header=BB4_5789 Depth=2
	v_bfe_u32 v30, v36, 16, 7
	v_mov_b32_e32 v2, 0x7f800001
	s_mov_b32 s41, exec_lo
	s_delay_alu instid0(VALU_DEP_2)
	v_cmpx_ne_u32_e32 0x7f, v30
	s_cbranch_execz .LBB4_6367
; %bb.6364:                             ;   in Loop: Header=BB4_5789 Depth=2
	v_dual_mov_b32 v83, v37 :: v_dual_bitop2_b32 v82, 7, v3 bitop3:0x40
	v_lshrrev_b32_e32 v2, 3, v30
	s_mov_b32 s42, exec_lo
	v_cmpx_gt_u32_e32 8, v30
; %bb.6365:                             ;   in Loop: Header=BB4_5789 Depth=2
	s_delay_alu instid0(VALU_DEP_3) | instskip(NEXT) | instid1(VALU_DEP_1)
	v_clz_i32_u32_e32 v2, v82
	v_min_u32_e32 v2, 32, v2
	s_delay_alu instid0(VALU_DEP_1) | instskip(NEXT) | instid1(VALU_DEP_1)
	v_subrev_nc_u32_e32 v20, 28, v2
	v_lshlrev_b64_e32 v[20:21], v20, v[82:83]
	s_delay_alu instid0(VALU_DEP_1)
	v_dual_sub_nc_u32 v2, 29, v2 :: v_dual_bitop2_b32 v82, 7, v20 bitop3:0x40
; %bb.6366:                             ;   in Loop: Header=BB4_5789 Depth=2
	s_or_b32 exec_lo, exec_lo, s42
	s_delay_alu instid0(VALU_DEP_1) | instskip(NEXT) | instid1(VALU_DEP_2)
	v_dual_lshlrev_b32 v3, 24, v3 :: v_dual_lshlrev_b32 v20, 20, v82
	v_lshl_add_u32 v2, v2, 23, 0x3c000000
	s_delay_alu instid0(VALU_DEP_2) | instskip(NEXT) | instid1(VALU_DEP_1)
	v_and_b32_e32 v3, 0x80000000, v3
	v_or3_b32 v2, v20, v3, v2
.LBB4_6367:                             ;   in Loop: Header=BB4_5789 Depth=2
	s_or_b32 exec_lo, exec_lo, s41
.LBB4_6368:                             ;   in Loop: Header=BB4_5789 Depth=2
	s_delay_alu instid0(SALU_CYCLE_1)
	s_or_b32 exec_lo, exec_lo, s11
.LBB4_6369:                             ;   in Loop: Header=BB4_5789 Depth=2
	s_delay_alu instid0(SALU_CYCLE_1) | instskip(SKIP_3) | instid1(VALU_DEP_1)
	s_or_b32 exec_lo, exec_lo, s10
	v_lshrrev_b32_e32 v30, 16, v11
	s_mov_b32 s11, 0
	s_mov_b32 s10, exec_lo
	v_and_b32_e32 v82, 0xff, v30
	s_delay_alu instid0(VALU_DEP_1)
	v_cmpx_lt_i16_e32 0x7f, v82
	s_xor_b32 s10, exec_lo, s10
	s_cbranch_execnz .LBB4_6372
; %bb.6370:                             ;   in Loop: Header=BB4_5789 Depth=2
	s_or_saveexec_b32 s10, s10
	v_bfrev_b32_e32 v3, 1
	s_xor_b32 exec_lo, exec_lo, s10
	s_cbranch_execnz .LBB4_6375
.LBB4_6371:                             ;   in Loop: Header=BB4_5789 Depth=2
	s_or_b32 exec_lo, exec_lo, s10
	s_and_saveexec_b32 s10, s11
	s_cbranch_execnz .LBB4_6376
	s_branch .LBB4_6379
.LBB4_6372:                             ;   in Loop: Header=BB4_5789 Depth=2
	s_mov_b32 s11, -1
	s_mov_b32 s41, exec_lo
	v_cmpx_eq_u16_e32 0x80, v82
; %bb.6373:                             ;   in Loop: Header=BB4_5789 Depth=2
	s_xor_b32 s11, exec_lo, -1
; %bb.6374:                             ;   in Loop: Header=BB4_5789 Depth=2
	s_or_b32 exec_lo, exec_lo, s41
	s_delay_alu instid0(SALU_CYCLE_1)
	s_and_b32 s11, s11, exec_lo
                                        ; implicit-def: $vgpr82
	s_or_saveexec_b32 s10, s10
	v_bfrev_b32_e32 v3, 1
	s_xor_b32 exec_lo, exec_lo, s10
	s_cbranch_execz .LBB4_6371
.LBB4_6375:                             ;   in Loop: Header=BB4_5789 Depth=2
	v_cmp_ne_u16_e32 vcc_lo, 0, v82
	v_mov_b32_e32 v3, 0
	s_and_not1_b32 s11, s11, exec_lo
	s_and_b32 s41, vcc_lo, exec_lo
	s_delay_alu instid0(SALU_CYCLE_1)
	s_or_b32 s11, s11, s41
	s_or_b32 exec_lo, exec_lo, s10
	s_and_saveexec_b32 s10, s11
	s_cbranch_execz .LBB4_6379
.LBB4_6376:                             ;   in Loop: Header=BB4_5789 Depth=2
	v_and_b32_e32 v82, 0x7f, v30
	v_mov_b32_e32 v3, 0x7f800001
	s_mov_b32 s11, exec_lo
	s_delay_alu instid0(VALU_DEP_2)
	v_cmpx_ne_u32_e32 0x7f, v82
	s_cbranch_execz .LBB4_6378
; %bb.6377:                             ;   in Loop: Header=BB4_5789 Depth=2
	v_and_b32_e32 v3, 7, v30
	v_cmp_gt_u32_e32 vcc_lo, 8, v82
	s_delay_alu instid0(VALU_DEP_2) | instskip(NEXT) | instid1(VALU_DEP_1)
	v_clz_i32_u32_e32 v20, v3
	v_min_u32_e32 v83, 32, v20
	s_delay_alu instid0(VALU_DEP_1) | instskip(SKIP_1) | instid1(VALU_DEP_2)
	v_subrev_nc_u32_e32 v20, 28, v83
	v_sub_nc_u32_e32 v83, 29, v83
	v_lshlrev_b64_e32 v[20:21], v20, v[30:31]
	s_delay_alu instid0(VALU_DEP_1) | instskip(NEXT) | instid1(VALU_DEP_1)
	v_dual_lshrrev_b32 v21, 3, v82 :: v_dual_bitop2_b32 v20, 7, v20 bitop3:0x40
	v_dual_cndmask_b32 v21, v21, v83 :: v_dual_lshlrev_b32 v30, 24, v30
	s_delay_alu instid0(VALU_DEP_2) | instskip(NEXT) | instid1(VALU_DEP_2)
	v_cndmask_b32_e32 v3, v3, v20, vcc_lo
	v_and_b32_e32 v20, 0x80000000, v30
	s_delay_alu instid0(VALU_DEP_3) | instskip(NEXT) | instid1(VALU_DEP_3)
	v_lshl_add_u32 v21, v21, 23, 0x3c000000
	v_lshlrev_b32_e32 v3, 20, v3
	s_delay_alu instid0(VALU_DEP_1)
	v_or3_b32 v3, v3, v20, v21
.LBB4_6378:                             ;   in Loop: Header=BB4_5789 Depth=2
	s_or_b32 exec_lo, exec_lo, s11
.LBB4_6379:                             ;   in Loop: Header=BB4_5789 Depth=2
	s_delay_alu instid0(SALU_CYCLE_1) | instskip(NEXT) | instid1(VALU_DEP_1)
	s_or_b32 exec_lo, exec_lo, s10
	v_dual_add_f32 v3, v2, v3 :: v_dual_mov_b32 v21, v37
                                        ; implicit-def: $vgpr47
	s_mov_b32 s10, exec_lo
	s_delay_alu instid0(VALU_DEP_1) | instskip(SKIP_1) | instid1(VALU_DEP_2)
	v_and_b32_e32 v20, 0x7f800000, v3
	v_lshrrev_b32_e32 v2, 24, v3
	v_cmpx_ne_u64_e32 0x7f800000, v[20:21]
	s_xor_b32 s11, exec_lo, s10
	s_cbranch_execz .LBB4_6393
; %bb.6380:                             ;   in Loop: Header=BB4_5789 Depth=2
	v_and_b32_e32 v20, 0x7fffffff, v3
	v_mov_b32_e32 v21, v37
	v_and_b32_e32 v2, 0x80, v2
                                        ; implicit-def: $vgpr47
	s_mov_b32 s10, exec_lo
	s_delay_alu instid0(VALU_DEP_2)
	v_cmpx_gt_u64_e32 0x43e00001, v[20:21]
	s_xor_b32 s41, exec_lo, s10
	s_cbranch_execz .LBB4_6390
; %bb.6381:                             ;   in Loop: Header=BB4_5789 Depth=2
	v_mov_b32_e32 v47, 0
	s_mov_b32 s42, exec_lo
	v_cmpx_ne_u32_e32 0, v3
	s_cbranch_execz .LBB4_6389
; %bb.6382:                             ;   in Loop: Header=BB4_5789 Depth=2
	v_bfe_u32 v30, v3, 23, 8
	v_and_b32_e32 v3, 0x7fffff, v3
	s_delay_alu instid0(VALU_DEP_2) | instskip(SKIP_1) | instid1(VALU_DEP_3)
	v_dual_mov_b32 v83, v37 :: v_dual_sub_nc_u32 v20, 0x79, v30
	v_cmp_gt_u32_e32 vcc_lo, 0x7a, v30
	v_or_b32_e32 v82, 0x800000, v3
	s_delay_alu instid0(VALU_DEP_3) | instskip(SKIP_1) | instid1(VALU_DEP_2)
	v_cndmask_b32_e32 v20, 0, v20, vcc_lo
	v_cmp_eq_u32_e32 vcc_lo, 0, v30
	v_cndmask_b32_e64 v113, v20, 0x78, vcc_lo
	s_delay_alu instid0(VALU_DEP_1) | instskip(SKIP_1) | instid1(VALU_DEP_2)
	v_dual_cndmask_b32 v82, v82, v3, vcc_lo :: v_dual_add_nc_u32 v20, 20, v113
	v_add_nc_u32_e32 v84, 19, v113
	v_lshlrev_b64_e64 v[20:21], v20, -1
	s_delay_alu instid0(VALU_DEP_2) | instskip(NEXT) | instid1(VALU_DEP_2)
	v_lshlrev_b64_e64 v[84:85], v84, 1
	v_bfi_b32 v20, v20, 0, v82
	v_lshrrev_b64 v[82:83], v113, v[82:83]
	s_delay_alu instid0(VALU_DEP_4) | instskip(NEXT) | instid1(VALU_DEP_1)
	v_bfi_b32 v21, v21, 0, 0
	v_cmp_eq_u64_e64 s10, v[20:21], v[84:85]
	s_delay_alu instid0(VALU_DEP_3)
	v_mov_b64_e32 v[84:85], v[82:83]
	s_and_saveexec_b32 s43, s10
; %bb.6383:                             ;   in Loop: Header=BB4_5789 Depth=2
	v_bfe_u32 v20, v82, 20, 1
	v_mov_b32_e32 v21, v37
	s_delay_alu instid0(VALU_DEP_1) | instskip(NEXT) | instid1(VALU_DEP_1)
	v_add_nc_u64_e32 v[20:21], v[82:83], v[20:21]
	v_add_nc_u64_e32 v[84:85], -1, v[20:21]
; %bb.6384:                             ;   in Loop: Header=BB4_5789 Depth=2
	s_or_b32 exec_lo, exec_lo, s43
	v_add_nc_u32_e32 v3, 0xffffff81, v30
	v_lshrrev_b32_e32 v20, 23, v82
	s_mov_b32 s10, exec_lo
	v_mov_b32_e32 v83, v37
	s_delay_alu instid0(VALU_DEP_3) | instskip(NEXT) | instid1(VALU_DEP_1)
	v_cndmask_b32_e64 v3, v3, 0xffffff82, vcc_lo
	v_add3_u32 v30, v113, v3, v20
	v_and_b32_e32 v3, 0xfffff, v84
	s_delay_alu instid0(VALU_DEP_2) | instskip(NEXT) | instid1(VALU_DEP_2)
	v_add_nc_u32_e32 v84, 6, v30
	v_add_nc_u32_e32 v82, v3, v82
                                        ; implicit-def: $vgpr3
	s_delay_alu instid0(VALU_DEP_2)
	v_cmpx_ne_u32_e32 0, v84
	s_xor_b32 s10, exec_lo, s10
; %bb.6385:                             ;   in Loop: Header=BB4_5789 Depth=2
	s_delay_alu instid0(VALU_DEP_2) | instskip(SKIP_2) | instid1(VALU_DEP_2)
	v_cmp_lt_u64_e32 vcc_lo, 0xffffff, v[82:83]
	v_add_nc_u32_e32 v3, 7, v30
	v_cndmask_b32_e64 v20, 0, 1, vcc_lo
	v_cndmask_b32_e32 v3, v84, v3, vcc_lo
	s_delay_alu instid0(VALU_DEP_2)
	v_lshrrev_b64 v[82:83], v20, v[82:83]
; %bb.6386:                             ;   in Loop: Header=BB4_5789 Depth=2
	s_and_not1_saveexec_b32 s10, s10
; %bb.6387:                             ;   in Loop: Header=BB4_5789 Depth=2
	s_delay_alu instid0(VALU_DEP_1)
	v_bfe_u32 v3, v82, 23, 1
; %bb.6388:                             ;   in Loop: Header=BB4_5789 Depth=2
	s_or_b32 exec_lo, exec_lo, s10
	s_delay_alu instid0(VALU_DEP_2) | instskip(NEXT) | instid1(VALU_DEP_2)
	v_lshrrev_b64 v[20:21], 20, v[82:83]
	v_cmp_gt_i32_e32 vcc_lo, 16, v3
	v_min_i32_e32 v30, 15, v3
	v_cmp_eq_u32_e64 s10, 0, v3
	s_delay_alu instid0(VALU_DEP_2) | instskip(SKIP_1) | instid1(VALU_DEP_2)
	v_dual_cndmask_b32 v21, 0, v21 :: v_dual_lshlrev_b32 v30, 3, v30
	v_cndmask_b32_e32 v20, 7, v20, vcc_lo
	v_and_b32_e32 v30, 0xf8, v30
	s_delay_alu instid0(VALU_DEP_2) | instskip(NEXT) | instid1(VALU_DEP_2)
	v_cmp_eq_u64_e32 vcc_lo, 0, v[20:21]
	v_and_or_b32 v3, v20, 7, v30
	s_and_b32 s10, s10, vcc_lo
	s_delay_alu instid0(VALU_DEP_1) | instid1(SALU_CYCLE_1)
	v_cndmask_b32_e64 v3, v3, 0, s10
	s_delay_alu instid0(VALU_DEP_1)
	v_or_b32_e32 v47, v3, v2
.LBB4_6389:                             ;   in Loop: Header=BB4_5789 Depth=2
	s_or_b32 exec_lo, exec_lo, s42
                                        ; implicit-def: $vgpr2
.LBB4_6390:                             ;   in Loop: Header=BB4_5789 Depth=2
	s_and_not1_saveexec_b32 s10, s41
; %bb.6391:                             ;   in Loop: Header=BB4_5789 Depth=2
	v_or_b32_e32 v47, 0x7e, v2
; %bb.6392:                             ;   in Loop: Header=BB4_5789 Depth=2
	s_or_b32 exec_lo, exec_lo, s10
                                        ; implicit-def: $vgpr2
.LBB4_6393:                             ;   in Loop: Header=BB4_5789 Depth=2
	s_and_not1_saveexec_b32 s10, s11
; %bb.6394:                             ;   in Loop: Header=BB4_5789 Depth=2
	v_or_b32_e32 v47, 0x7f, v2
; %bb.6395:                             ;   in Loop: Header=BB4_5789 Depth=2
	s_or_b32 exec_lo, exec_lo, s10
	v_mov_b32_e32 v2, 0
	s_mov_b32 s10, exec_lo
	v_cmpx_lt_u32_e32 0xffffff, v36
	s_cbranch_execz .LBB4_6403
; %bb.6396:                             ;   in Loop: Header=BB4_5789 Depth=2
	v_lshrrev_b32_e32 v3, 24, v36
	v_bfrev_b32_e32 v2, 1
	s_mov_b32 s11, exec_lo
	s_delay_alu instid0(VALU_DEP_2)
	v_cmpx_ne_u32_e32 0x80, v3
	s_cbranch_execz .LBB4_6402
; %bb.6397:                             ;   in Loop: Header=BB4_5789 Depth=2
	v_bfe_u32 v30, v36, 24, 7
	v_mov_b32_e32 v2, 0x7f800001
	s_mov_b32 s41, exec_lo
	s_delay_alu instid0(VALU_DEP_2)
	v_cmpx_ne_u32_e32 0x7f, v30
	s_cbranch_execz .LBB4_6401
; %bb.6398:                             ;   in Loop: Header=BB4_5789 Depth=2
	v_dual_lshrrev_b32 v2, 3, v30 :: v_dual_bitop2_b32 v36, 7, v3 bitop3:0x40
	s_mov_b32 s42, exec_lo
	s_delay_alu instid0(VALU_DEP_1)
	v_mov_b64_e32 v[82:83], v[36:37]
	v_cmpx_gt_u32_e32 8, v30
; %bb.6399:                             ;   in Loop: Header=BB4_5789 Depth=2
	v_clz_i32_u32_e32 v2, v36
	s_delay_alu instid0(VALU_DEP_1) | instskip(NEXT) | instid1(VALU_DEP_1)
	v_min_u32_e32 v2, 32, v2
	v_subrev_nc_u32_e32 v20, 28, v2
	s_delay_alu instid0(VALU_DEP_1) | instskip(NEXT) | instid1(VALU_DEP_1)
	v_lshlrev_b64_e32 v[20:21], v20, v[36:37]
	v_dual_sub_nc_u32 v2, 29, v2 :: v_dual_bitop2_b32 v82, 7, v20 bitop3:0x40
; %bb.6400:                             ;   in Loop: Header=BB4_5789 Depth=2
	s_or_b32 exec_lo, exec_lo, s42
	s_delay_alu instid0(VALU_DEP_1) | instskip(NEXT) | instid1(VALU_DEP_2)
	v_dual_lshlrev_b32 v3, 24, v3 :: v_dual_lshlrev_b32 v20, 20, v82
	v_lshl_add_u32 v2, v2, 23, 0x3c000000
	s_delay_alu instid0(VALU_DEP_2) | instskip(NEXT) | instid1(VALU_DEP_1)
	v_and_b32_e32 v3, 0x80000000, v3
	v_or3_b32 v2, v20, v3, v2
.LBB4_6401:                             ;   in Loop: Header=BB4_5789 Depth=2
	s_or_b32 exec_lo, exec_lo, s41
.LBB4_6402:                             ;   in Loop: Header=BB4_5789 Depth=2
	s_delay_alu instid0(SALU_CYCLE_1)
	s_or_b32 exec_lo, exec_lo, s11
.LBB4_6403:                             ;   in Loop: Header=BB4_5789 Depth=2
	s_delay_alu instid0(SALU_CYCLE_1) | instskip(SKIP_3) | instid1(VALU_DEP_3)
	s_or_b32 exec_lo, exec_lo, s10
	v_lshrrev_b32_e32 v30, 24, v11
	v_bfe_u32 v3, v11, 24, 7
	v_cmp_gt_u64_e64 s11, s[14:15], v[10:11]
	v_cmp_eq_u32_e64 s10, 0x80, v30
	s_delay_alu instid0(VALU_DEP_3) | instskip(NEXT) | instid1(VALU_DEP_2)
	v_cmp_eq_u32_e32 vcc_lo, 0x7f, v3
	v_cndmask_b32_e64 v20, 0x7f800001, v101, s10
	s_or_b32 s10, s10, vcc_lo
	s_delay_alu instid0(VALU_DEP_1) | instskip(SKIP_1) | instid1(SALU_CYCLE_1)
	v_cndmask_b32_e64 v10, v20, 0, s11
	s_nor_b32 s11, s11, s10
	s_and_saveexec_b32 s10, s11
	s_cbranch_execz .LBB4_6405
; %bb.6404:                             ;   in Loop: Header=BB4_5789 Depth=2
	v_and_b32_e32 v20, 7, v30
	v_cmp_gt_u32_e32 vcc_lo, 8, v3
	s_delay_alu instid0(VALU_DEP_2) | instskip(NEXT) | instid1(VALU_DEP_1)
	v_clz_i32_u32_e32 v10, v20
	v_min_u32_e32 v21, 32, v10
	s_delay_alu instid0(VALU_DEP_1) | instskip(NEXT) | instid1(VALU_DEP_1)
	v_subrev_nc_u32_e32 v10, 28, v21
	v_lshlrev_b64_e32 v[10:11], v10, v[30:31]
	v_dual_lshrrev_b32 v11, 3, v3 :: v_dual_sub_nc_u32 v21, 29, v21
	s_delay_alu instid0(VALU_DEP_2) | instskip(NEXT) | instid1(VALU_DEP_2)
	v_and_b32_e32 v3, 7, v10
	v_dual_cndmask_b32 v11, v11, v21 :: v_dual_lshlrev_b32 v10, 24, v30
	s_delay_alu instid0(VALU_DEP_2) | instskip(NEXT) | instid1(VALU_DEP_2)
	v_cndmask_b32_e32 v3, v20, v3, vcc_lo
	v_and_b32_e32 v10, 0x80000000, v10
	s_delay_alu instid0(VALU_DEP_3) | instskip(NEXT) | instid1(VALU_DEP_3)
	v_lshl_add_u32 v11, v11, 23, 0x3c000000
	v_lshlrev_b32_e32 v3, 20, v3
	s_delay_alu instid0(VALU_DEP_1)
	v_or3_b32 v10, v3, v10, v11
.LBB4_6405:                             ;   in Loop: Header=BB4_5789 Depth=2
	s_or_b32 exec_lo, exec_lo, s10
	s_delay_alu instid0(VALU_DEP_1) | instskip(SKIP_1) | instid1(VALU_DEP_1)
	v_add_f32_e32 v3, v2, v10
                                        ; implicit-def: $vgpr30
	s_mov_b32 s10, exec_lo
	v_and_b32_e32 v36, 0x7f800000, v3
	v_lshrrev_b32_e32 v2, 24, v3
	s_delay_alu instid0(VALU_DEP_2)
	v_cmpx_ne_u64_e32 0x7f800000, v[36:37]
	s_xor_b32 s11, exec_lo, s10
	s_cbranch_execz .LBB4_6419
; %bb.6406:                             ;   in Loop: Header=BB4_5789 Depth=2
	v_and_b32_e32 v36, 0x7fffffff, v3
	v_and_b32_e32 v2, 0x80, v2
                                        ; implicit-def: $vgpr30
	s_mov_b32 s10, exec_lo
	s_delay_alu instid0(VALU_DEP_2)
	v_cmpx_gt_u64_e32 0x43e00001, v[36:37]
	s_xor_b32 s41, exec_lo, s10
	s_cbranch_execz .LBB4_6416
; %bb.6407:                             ;   in Loop: Header=BB4_5789 Depth=2
	v_mov_b32_e32 v30, 0
	s_mov_b32 s42, exec_lo
	v_cmpx_ne_u32_e32 0, v3
	s_cbranch_execz .LBB4_6415
; %bb.6408:                             ;   in Loop: Header=BB4_5789 Depth=2
	v_bfe_u32 v30, v3, 23, 8
	v_and_b32_e32 v3, 0x7fffff, v3
	s_delay_alu instid0(VALU_DEP_2) | instskip(SKIP_1) | instid1(VALU_DEP_3)
	v_sub_nc_u32_e32 v10, 0x79, v30
	v_cmp_gt_u32_e32 vcc_lo, 0x7a, v30
	v_or_b32_e32 v20, 0x800000, v3
	s_delay_alu instid0(VALU_DEP_3) | instskip(SKIP_1) | instid1(VALU_DEP_2)
	v_cndmask_b32_e32 v10, 0, v10, vcc_lo
	v_cmp_eq_u32_e32 vcc_lo, 0, v30
	v_cndmask_b32_e64 v84, v10, 0x78, vcc_lo
	s_delay_alu instid0(VALU_DEP_1) | instskip(SKIP_1) | instid1(VALU_DEP_2)
	v_dual_cndmask_b32 v36, v20, v3, vcc_lo :: v_dual_add_nc_u32 v10, 20, v84
	v_add_nc_u32_e32 v21, 19, v84
	v_lshlrev_b64_e64 v[10:11], v10, -1
	s_delay_alu instid0(VALU_DEP_2) | instskip(NEXT) | instid1(VALU_DEP_2)
	v_lshlrev_b64_e64 v[20:21], v21, 1
	v_bfi_b32 v83, v11, 0, 0
	s_delay_alu instid0(VALU_DEP_3) | instskip(SKIP_1) | instid1(VALU_DEP_2)
	v_bfi_b32 v82, v10, 0, v36
	v_lshrrev_b64 v[10:11], v84, v[36:37]
	v_cmp_eq_u64_e64 s10, v[82:83], v[20:21]
	s_delay_alu instid0(VALU_DEP_2)
	v_mov_b64_e32 v[82:83], v[10:11]
	s_and_saveexec_b32 s43, s10
; %bb.6409:                             ;   in Loop: Header=BB4_5789 Depth=2
	v_bfe_u32 v36, v10, 20, 1
	s_delay_alu instid0(VALU_DEP_1) | instskip(NEXT) | instid1(VALU_DEP_1)
	v_add_nc_u64_e32 v[20:21], v[10:11], v[36:37]
	v_add_nc_u64_e32 v[82:83], -1, v[20:21]
; %bb.6410:                             ;   in Loop: Header=BB4_5789 Depth=2
	s_or_b32 exec_lo, exec_lo, s43
	v_add_nc_u32_e32 v3, 0xffffff81, v30
	v_lshrrev_b32_e32 v11, 23, v10
	s_mov_b32 s10, exec_lo
	s_delay_alu instid0(VALU_DEP_2) | instskip(NEXT) | instid1(VALU_DEP_1)
	v_cndmask_b32_e64 v3, v3, 0xffffff82, vcc_lo
	v_add3_u32 v30, v84, v3, v11
	v_and_b32_e32 v3, 0xfffff, v82
	s_delay_alu instid0(VALU_DEP_2) | instskip(NEXT) | instid1(VALU_DEP_2)
	v_add_nc_u32_e32 v82, 6, v30
	v_add_nc_u32_e32 v36, v3, v10
                                        ; implicit-def: $vgpr10_vgpr11
                                        ; implicit-def: $vgpr3
	s_delay_alu instid0(VALU_DEP_2)
	v_cmpx_ne_u32_e32 0, v82
	s_xor_b32 s10, exec_lo, s10
; %bb.6411:                             ;   in Loop: Header=BB4_5789 Depth=2
	s_delay_alu instid0(VALU_DEP_2) | instskip(SKIP_2) | instid1(VALU_DEP_2)
	v_cmp_lt_u64_e32 vcc_lo, 0xffffff, v[36:37]
	v_add_nc_u32_e32 v3, 7, v30
	v_cndmask_b32_e64 v10, 0, 1, vcc_lo
	v_cndmask_b32_e32 v3, v82, v3, vcc_lo
	s_delay_alu instid0(VALU_DEP_2)
	v_lshrrev_b64 v[10:11], v10, v[36:37]
; %bb.6412:                             ;   in Loop: Header=BB4_5789 Depth=2
	s_and_not1_saveexec_b32 s10, s10
; %bb.6413:                             ;   in Loop: Header=BB4_5789 Depth=2
	v_mov_b64_e32 v[10:11], v[36:37]
	v_bfe_u32 v3, v36, 23, 1
; %bb.6414:                             ;   in Loop: Header=BB4_5789 Depth=2
	s_or_b32 exec_lo, exec_lo, s10
	s_delay_alu instid0(VALU_DEP_2) | instskip(NEXT) | instid1(VALU_DEP_2)
	v_lshrrev_b64 v[10:11], 20, v[10:11]
	v_cmp_gt_i32_e32 vcc_lo, 16, v3
	v_min_i32_e32 v20, 15, v3
	v_cmp_eq_u32_e64 s10, 0, v3
	s_delay_alu instid0(VALU_DEP_2) | instskip(SKIP_1) | instid1(VALU_DEP_2)
	v_dual_cndmask_b32 v10, 7, v10, vcc_lo :: v_dual_lshlrev_b32 v20, 3, v20
	v_cndmask_b32_e32 v11, 0, v11, vcc_lo
	v_and_b32_e32 v20, 0xf8, v20
	s_delay_alu instid0(VALU_DEP_2) | instskip(NEXT) | instid1(VALU_DEP_2)
	v_cmp_eq_u64_e32 vcc_lo, 0, v[10:11]
	v_and_or_b32 v3, v10, 7, v20
	s_and_b32 s10, s10, vcc_lo
	s_delay_alu instid0(VALU_DEP_1) | instid1(SALU_CYCLE_1)
	v_cndmask_b32_e64 v3, v3, 0, s10
	s_delay_alu instid0(VALU_DEP_1)
	v_or_b32_e32 v30, v3, v2
.LBB4_6415:                             ;   in Loop: Header=BB4_5789 Depth=2
	s_or_b32 exec_lo, exec_lo, s42
                                        ; implicit-def: $vgpr2
.LBB4_6416:                             ;   in Loop: Header=BB4_5789 Depth=2
	s_and_not1_saveexec_b32 s10, s41
; %bb.6417:                             ;   in Loop: Header=BB4_5789 Depth=2
	v_or_b32_e32 v30, 0x7e, v2
; %bb.6418:                             ;   in Loop: Header=BB4_5789 Depth=2
	s_or_b32 exec_lo, exec_lo, s10
                                        ; implicit-def: $vgpr2
.LBB4_6419:                             ;   in Loop: Header=BB4_5789 Depth=2
	s_and_not1_saveexec_b32 s10, s11
; %bb.6420:                             ;   in Loop: Header=BB4_5789 Depth=2
	v_or_b32_e32 v30, 0x7f, v2
; %bb.6421:                             ;   in Loop: Header=BB4_5789 Depth=2
	s_or_b32 exec_lo, exec_lo, s10
	v_lshl_or_b32 v2, v42, 8, v119
	v_dual_lshlrev_b32 v3, 16, v45 :: v_dual_lshlrev_b32 v10, 24, v46
	s_mov_b32 s10, exec_lo
	s_delay_alu instid0(VALU_DEP_1)
	v_or3_b32 v36, v3, v10, v2
	v_mov_b32_e32 v3, 0
	v_cmpx_ne_u32_e32 0, v119
	s_cbranch_execz .LBB4_6427
; %bb.6422:                             ;   in Loop: Header=BB4_5789 Depth=2
	v_bfrev_b32_e32 v3, 1
	s_mov_b32 s11, exec_lo
	v_cmpx_ne_u32_e32 0x80, v119
	s_cbranch_execz .LBB4_6426
; %bb.6423:                             ;   in Loop: Header=BB4_5789 Depth=2
	v_and_b32_e32 v10, 0x7f, v119
	v_mov_b32_e32 v3, 0x7f800001
	s_mov_b32 s41, exec_lo
	s_delay_alu instid0(VALU_DEP_2)
	v_cmpx_ne_u32_e32 0x7f, v10
	s_cbranch_execz .LBB4_6425
; %bb.6424:                             ;   in Loop: Header=BB4_5789 Depth=2
	v_dual_lshrrev_b32 v11, 3, v10 :: v_dual_bitop2_b32 v3, 7, v119 bitop3:0x40
	v_cmp_gt_u32_e32 vcc_lo, 8, v10
	s_delay_alu instid0(VALU_DEP_2) | instskip(NEXT) | instid1(VALU_DEP_1)
	v_clz_i32_u32_e32 v3, v3
	v_min_u32_e32 v3, 32, v3
	s_delay_alu instid0(VALU_DEP_1) | instskip(NEXT) | instid1(VALU_DEP_1)
	v_subrev_nc_u32_e32 v20, 28, v3
	v_dual_cndmask_b32 v10, 0, v20 :: v_dual_sub_nc_u32 v3, 29, v3
	s_delay_alu instid0(VALU_DEP_1) | instskip(NEXT) | instid1(VALU_DEP_2)
	v_cndmask_b32_e32 v3, v11, v3, vcc_lo
	v_lshlrev_b64_e32 v[10:11], v10, v[36:37]
	v_lshlrev_b32_e32 v11, 24, v36
	s_delay_alu instid0(VALU_DEP_3) | instskip(NEXT) | instid1(VALU_DEP_2)
	v_lshl_add_u32 v3, v3, 23, 0x3c000000
	v_and_b32_e32 v11, 0x80000000, v11
	s_delay_alu instid0(VALU_DEP_4) | instskip(NEXT) | instid1(VALU_DEP_1)
	v_lshlrev_b32_e32 v10, 20, v10
	v_and_b32_e32 v10, 0x700000, v10
	s_delay_alu instid0(VALU_DEP_1)
	v_or3_b32 v3, v10, v11, v3
.LBB4_6425:                             ;   in Loop: Header=BB4_5789 Depth=2
	s_or_b32 exec_lo, exec_lo, s41
.LBB4_6426:                             ;   in Loop: Header=BB4_5789 Depth=2
	s_delay_alu instid0(SALU_CYCLE_1)
	s_or_b32 exec_lo, exec_lo, s11
.LBB4_6427:                             ;   in Loop: Header=BB4_5789 Depth=2
	s_delay_alu instid0(SALU_CYCLE_1) | instskip(SKIP_3) | instid1(VALU_DEP_1)
	s_or_b32 exec_lo, exec_lo, s10
	v_and_b32_e32 v11, 0xff, v12
	s_mov_b32 s10, 0
	s_mov_b32 s11, exec_lo
	v_cmpx_lt_i16_e32 0x7f, v11
	s_xor_b32 s11, exec_lo, s11
	s_cbranch_execnz .LBB4_6458
; %bb.6428:                             ;   in Loop: Header=BB4_5789 Depth=2
	s_or_saveexec_b32 s11, s11
	v_bfrev_b32_e32 v10, 1
	s_xor_b32 exec_lo, exec_lo, s11
	s_cbranch_execnz .LBB4_6461
.LBB4_6429:                             ;   in Loop: Header=BB4_5789 Depth=2
	s_or_b32 exec_lo, exec_lo, s11
	s_and_saveexec_b32 s11, s10
	s_cbranch_execz .LBB4_6431
.LBB4_6430:                             ;   in Loop: Header=BB4_5789 Depth=2
	v_and_b32_e32 v10, 7, v12
	v_and_b32_e32 v20, 0x7f, v12
	v_bfe_u32 v11, v12, 3, 4
	s_delay_alu instid0(VALU_DEP_3) | instskip(NEXT) | instid1(VALU_DEP_3)
	v_clz_i32_u32_e32 v10, v10
	v_cmp_gt_u32_e32 vcc_lo, 8, v20
	s_delay_alu instid0(VALU_DEP_2) | instskip(NEXT) | instid1(VALU_DEP_1)
	v_min_u32_e32 v10, 32, v10
	v_subrev_nc_u32_e32 v21, 28, v10
	v_sub_nc_u32_e32 v10, 29, v10
	s_delay_alu instid0(VALU_DEP_1) | instskip(SKIP_1) | instid1(VALU_DEP_2)
	v_dual_cndmask_b32 v82, v11, v10, vcc_lo :: v_dual_cndmask_b32 v10, 0, v21, vcc_lo
	v_cmp_ne_u32_e32 vcc_lo, 0x7f, v20
	v_lshl_add_u32 v21, v82, 23, 0x3c000000
	s_delay_alu instid0(VALU_DEP_3) | instskip(SKIP_1) | instid1(VALU_DEP_1)
	v_lshlrev_b64_e32 v[10:11], v10, v[12:13]
	v_lshlrev_b32_e32 v11, 24, v12
	v_and_b32_e32 v11, 0x80000000, v11
	s_delay_alu instid0(VALU_DEP_3) | instskip(NEXT) | instid1(VALU_DEP_1)
	v_lshlrev_b32_e32 v10, 20, v10
	v_and_b32_e32 v10, 0x700000, v10
	s_delay_alu instid0(VALU_DEP_1) | instskip(NEXT) | instid1(VALU_DEP_1)
	v_or3_b32 v10, v10, v11, v21
	v_cndmask_b32_e32 v10, 0x7f800001, v10, vcc_lo
.LBB4_6431:                             ;   in Loop: Header=BB4_5789 Depth=2
	s_or_b32 exec_lo, exec_lo, s11
	s_delay_alu instid0(VALU_DEP_1) | instskip(SKIP_1) | instid1(VALU_DEP_1)
	v_dual_add_f32 v10, v3, v10 :: v_dual_mov_b32 v21, v37
                                        ; implicit-def: $vgpr119
	s_mov_b32 s10, exec_lo
	v_and_b32_e32 v20, 0x7f800000, v10
	v_lshrrev_b32_e32 v3, 24, v10
	s_delay_alu instid0(VALU_DEP_2)
	v_cmpx_ne_u64_e32 0x7f800000, v[20:21]
	s_xor_b32 s11, exec_lo, s10
	s_cbranch_execz .LBB4_6445
; %bb.6432:                             ;   in Loop: Header=BB4_5789 Depth=2
	v_and_b32_e32 v20, 0x7fffffff, v10
	v_mov_b32_e32 v21, v37
	v_and_b32_e32 v3, 0x80, v3
                                        ; implicit-def: $vgpr119
	s_mov_b32 s10, exec_lo
	s_delay_alu instid0(VALU_DEP_2)
	v_cmpx_gt_u64_e32 0x43e00001, v[20:21]
	s_xor_b32 s41, exec_lo, s10
	s_cbranch_execz .LBB4_6442
; %bb.6433:                             ;   in Loop: Header=BB4_5789 Depth=2
	v_mov_b32_e32 v119, 0
	s_mov_b32 s42, exec_lo
	v_cmpx_ne_u32_e32 0, v10
	s_cbranch_execz .LBB4_6441
; %bb.6434:                             ;   in Loop: Header=BB4_5789 Depth=2
	v_bfe_u32 v84, v10, 23, 8
	v_and_b32_e32 v20, 0x7fffff, v10
	s_delay_alu instid0(VALU_DEP_2) | instskip(SKIP_1) | instid1(VALU_DEP_3)
	v_sub_nc_u32_e32 v11, 0x79, v84
	v_cmp_gt_u32_e32 vcc_lo, 0x7a, v84
	v_or_b32_e32 v21, 0x800000, v20
	s_delay_alu instid0(VALU_DEP_3) | instskip(SKIP_1) | instid1(VALU_DEP_2)
	v_cndmask_b32_e32 v11, 0, v11, vcc_lo
	v_cmp_eq_u32_e32 vcc_lo, 0, v84
	v_cndmask_b32_e64 v85, v11, 0x78, vcc_lo
	s_delay_alu instid0(VALU_DEP_4) | instskip(NEXT) | instid1(VALU_DEP_2)
	v_cndmask_b32_e32 v20, v21, v20, vcc_lo
	v_dual_mov_b32 v21, v37 :: v_dual_add_nc_u32 v10, 20, v85
	v_add_nc_u32_e32 v82, 19, v85
	s_delay_alu instid0(VALU_DEP_2) | instskip(NEXT) | instid1(VALU_DEP_2)
	v_lshlrev_b64_e64 v[10:11], v10, -1
	v_lshlrev_b64_e64 v[82:83], v82, 1
	s_delay_alu instid0(VALU_DEP_2) | instskip(NEXT) | instid1(VALU_DEP_3)
	v_bfi_b32 v57, v11, 0, 0
	v_bfi_b32 v56, v10, 0, v20
	v_lshrrev_b64 v[10:11], v85, v[20:21]
	s_delay_alu instid0(VALU_DEP_2) | instskip(NEXT) | instid1(VALU_DEP_2)
	v_cmp_eq_u64_e64 s10, v[56:57], v[82:83]
	v_mov_b64_e32 v[82:83], v[10:11]
	s_and_saveexec_b32 s43, s10
; %bb.6435:                             ;   in Loop: Header=BB4_5789 Depth=2
	v_bfe_u32 v20, v10, 20, 1
	v_mov_b32_e32 v21, v37
	s_delay_alu instid0(VALU_DEP_1) | instskip(NEXT) | instid1(VALU_DEP_1)
	v_add_nc_u64_e32 v[20:21], v[10:11], v[20:21]
	v_add_nc_u64_e32 v[82:83], -1, v[20:21]
; %bb.6436:                             ;   in Loop: Header=BB4_5789 Depth=2
	s_or_b32 exec_lo, exec_lo, s43
	v_add_nc_u32_e32 v11, 0xffffff81, v84
	v_lshrrev_b32_e32 v20, 23, v10
	s_mov_b32 s10, exec_lo
	s_delay_alu instid0(VALU_DEP_2) | instskip(NEXT) | instid1(VALU_DEP_1)
	v_cndmask_b32_e64 v11, v11, 0xffffff82, vcc_lo
	v_add3_u32 v83, v85, v11, v20
	v_and_b32_e32 v11, 0xfffff, v82
                                        ; implicit-def: $vgpr82
	s_delay_alu instid0(VALU_DEP_1) | instskip(SKIP_1) | instid1(VALU_DEP_2)
	v_dual_add_nc_u32 v84, 6, v83 :: v_dual_add_nc_u32 v10, v11, v10
	v_mov_b32_e32 v11, v37
	v_cmpx_ne_u32_e32 0, v84
	s_xor_b32 s10, exec_lo, s10
; %bb.6437:                             ;   in Loop: Header=BB4_5789 Depth=2
	s_delay_alu instid0(VALU_DEP_2) | instskip(SKIP_1) | instid1(VALU_DEP_1)
	v_cmp_lt_u64_e32 vcc_lo, 0xffffff, v[10:11]
	v_add_nc_u32_e32 v20, 7, v83
	v_cndmask_b32_e32 v82, v84, v20, vcc_lo
	v_cndmask_b32_e64 v20, 0, 1, vcc_lo
	s_delay_alu instid0(VALU_DEP_1)
	v_lshrrev_b64 v[10:11], v20, v[10:11]
; %bb.6438:                             ;   in Loop: Header=BB4_5789 Depth=2
	s_and_not1_saveexec_b32 s10, s10
; %bb.6439:                             ;   in Loop: Header=BB4_5789 Depth=2
	s_delay_alu instid0(VALU_DEP_1)
	v_bfe_u32 v82, v10, 23, 1
; %bb.6440:                             ;   in Loop: Header=BB4_5789 Depth=2
	s_or_b32 exec_lo, exec_lo, s10
	s_delay_alu instid0(VALU_DEP_2) | instskip(NEXT) | instid1(VALU_DEP_2)
	v_lshrrev_b64 v[10:11], 20, v[10:11]
	v_cmp_gt_i32_e32 vcc_lo, 16, v82
	v_min_i32_e32 v20, 15, v82
	v_cmp_eq_u32_e64 s10, 0, v82
	s_delay_alu instid0(VALU_DEP_2) | instskip(SKIP_1) | instid1(VALU_DEP_2)
	v_dual_cndmask_b32 v11, 0, v11 :: v_dual_lshlrev_b32 v20, 3, v20
	v_cndmask_b32_e32 v10, 7, v10, vcc_lo
	v_and_b32_e32 v20, 0xf8, v20
	s_delay_alu instid0(VALU_DEP_2) | instskip(NEXT) | instid1(VALU_DEP_2)
	v_cmp_eq_u64_e32 vcc_lo, 0, v[10:11]
	v_and_or_b32 v10, v10, 7, v20
	s_and_b32 s10, s10, vcc_lo
	s_delay_alu instid0(VALU_DEP_1) | instid1(SALU_CYCLE_1)
	v_cndmask_b32_e64 v10, v10, 0, s10
	s_delay_alu instid0(VALU_DEP_1)
	v_or_b32_e32 v119, v10, v3
.LBB4_6441:                             ;   in Loop: Header=BB4_5789 Depth=2
	s_or_b32 exec_lo, exec_lo, s42
                                        ; implicit-def: $vgpr3
.LBB4_6442:                             ;   in Loop: Header=BB4_5789 Depth=2
	s_and_not1_saveexec_b32 s10, s41
; %bb.6443:                             ;   in Loop: Header=BB4_5789 Depth=2
	v_or_b32_e32 v119, 0x7e, v3
; %bb.6444:                             ;   in Loop: Header=BB4_5789 Depth=2
	s_or_b32 exec_lo, exec_lo, s10
                                        ; implicit-def: $vgpr3
.LBB4_6445:                             ;   in Loop: Header=BB4_5789 Depth=2
	s_and_not1_saveexec_b32 s10, s11
; %bb.6446:                             ;   in Loop: Header=BB4_5789 Depth=2
	v_or_b32_e32 v119, 0x7f, v3
; %bb.6447:                             ;   in Loop: Header=BB4_5789 Depth=2
	s_or_b32 exec_lo, exec_lo, s10
	v_lshrrev_b16 v10, 8, v2
	v_mov_b32_e32 v3, 0
	s_mov_b32 s10, exec_lo
	s_delay_alu instid0(VALU_DEP_2)
	v_cmpx_ne_u16_e32 0, v10
	s_cbranch_execz .LBB4_6455
; %bb.6448:                             ;   in Loop: Header=BB4_5789 Depth=2
	v_bfrev_b32_e32 v3, 1
	s_mov_b32 s11, exec_lo
	v_cmpx_ne_u16_e32 0x80, v10
	s_cbranch_execz .LBB4_6454
; %bb.6449:                             ;   in Loop: Header=BB4_5789 Depth=2
	v_and_b32_e32 v10, 0xffff, v10
	v_mov_b32_e32 v3, 0x7f800001
	s_mov_b32 s41, exec_lo
	s_delay_alu instid0(VALU_DEP_2) | instskip(NEXT) | instid1(VALU_DEP_1)
	v_and_b32_e32 v82, 0x7f, v10
	v_cmpx_ne_u32_e32 0x7f, v82
	s_cbranch_execz .LBB4_6453
; %bb.6450:                             ;   in Loop: Header=BB4_5789 Depth=2
	v_dual_mov_b32 v11, v37 :: v_dual_bitop2_b32 v10, 7, v10 bitop3:0x40
	v_lshrrev_b32_e32 v3, 3, v82
	s_mov_b32 s42, exec_lo
	v_cmpx_gt_u32_e32 8, v82
; %bb.6451:                             ;   in Loop: Header=BB4_5789 Depth=2
	s_delay_alu instid0(VALU_DEP_3) | instskip(NEXT) | instid1(VALU_DEP_1)
	v_clz_i32_u32_e32 v3, v10
	v_min_u32_e32 v3, 32, v3
	s_delay_alu instid0(VALU_DEP_1) | instskip(NEXT) | instid1(VALU_DEP_1)
	v_subrev_nc_u32_e32 v20, 28, v3
	v_lshlrev_b64_e32 v[10:11], v20, v[10:11]
	s_delay_alu instid0(VALU_DEP_1)
	v_dual_sub_nc_u32 v3, 29, v3 :: v_dual_bitop2_b32 v10, 7, v10 bitop3:0x40
; %bb.6452:                             ;   in Loop: Header=BB4_5789 Depth=2
	s_or_b32 exec_lo, exec_lo, s42
	v_lshlrev_b32_e32 v2, 16, v2
	s_delay_alu instid0(VALU_DEP_2) | instskip(NEXT) | instid1(VALU_DEP_3)
	v_lshlrev_b32_e32 v10, 20, v10
	v_lshl_add_u32 v3, v3, 23, 0x3c000000
	s_delay_alu instid0(VALU_DEP_3) | instskip(NEXT) | instid1(VALU_DEP_1)
	v_and_b32_e32 v2, 0x80000000, v2
	v_or3_b32 v3, v10, v2, v3
.LBB4_6453:                             ;   in Loop: Header=BB4_5789 Depth=2
	s_or_b32 exec_lo, exec_lo, s41
.LBB4_6454:                             ;   in Loop: Header=BB4_5789 Depth=2
	s_delay_alu instid0(SALU_CYCLE_1)
	s_or_b32 exec_lo, exec_lo, s11
.LBB4_6455:                             ;   in Loop: Header=BB4_5789 Depth=2
	s_delay_alu instid0(SALU_CYCLE_1) | instskip(SKIP_3) | instid1(VALU_DEP_1)
	s_or_b32 exec_lo, exec_lo, s10
	v_lshrrev_b16 v2, 8, v12
	s_mov_b32 s11, 0
	s_mov_b32 s10, exec_lo
	v_cmpx_lt_i16_e32 0x7f, v2
	s_xor_b32 s10, exec_lo, s10
	s_cbranch_execnz .LBB4_6462
; %bb.6456:                             ;   in Loop: Header=BB4_5789 Depth=2
	s_or_saveexec_b32 s10, s10
	v_bfrev_b32_e32 v11, 1
	s_xor_b32 exec_lo, exec_lo, s10
	s_cbranch_execnz .LBB4_6465
.LBB4_6457:                             ;   in Loop: Header=BB4_5789 Depth=2
	s_or_b32 exec_lo, exec_lo, s10
	s_and_saveexec_b32 s10, s11
	s_cbranch_execnz .LBB4_6466
	s_branch .LBB4_6469
.LBB4_6458:                             ;   in Loop: Header=BB4_5789 Depth=2
	s_mov_b32 s10, -1
	s_mov_b32 s41, exec_lo
	v_cmpx_eq_u16_e32 0x80, v11
; %bb.6459:                             ;   in Loop: Header=BB4_5789 Depth=2
	s_xor_b32 s10, exec_lo, -1
; %bb.6460:                             ;   in Loop: Header=BB4_5789 Depth=2
	s_or_b32 exec_lo, exec_lo, s41
	s_delay_alu instid0(SALU_CYCLE_1)
	s_and_b32 s10, s10, exec_lo
                                        ; implicit-def: $vgpr11
	s_or_saveexec_b32 s11, s11
	v_bfrev_b32_e32 v10, 1
	s_xor_b32 exec_lo, exec_lo, s11
	s_cbranch_execz .LBB4_6429
.LBB4_6461:                             ;   in Loop: Header=BB4_5789 Depth=2
	v_cmp_ne_u16_e32 vcc_lo, 0, v11
	v_mov_b32_e32 v10, 0
	s_and_not1_b32 s10, s10, exec_lo
	s_and_b32 s41, vcc_lo, exec_lo
	s_delay_alu instid0(SALU_CYCLE_1)
	s_or_b32 s10, s10, s41
	s_or_b32 exec_lo, exec_lo, s11
	s_and_saveexec_b32 s11, s10
	s_cbranch_execnz .LBB4_6430
	s_branch .LBB4_6431
.LBB4_6462:                             ;   in Loop: Header=BB4_5789 Depth=2
	s_mov_b32 s11, -1
	s_mov_b32 s41, exec_lo
	v_cmpx_eq_u16_e32 0x80, v2
; %bb.6463:                             ;   in Loop: Header=BB4_5789 Depth=2
	s_xor_b32 s11, exec_lo, -1
; %bb.6464:                             ;   in Loop: Header=BB4_5789 Depth=2
	s_or_b32 exec_lo, exec_lo, s41
	s_delay_alu instid0(SALU_CYCLE_1)
	s_and_b32 s11, s11, exec_lo
	s_or_saveexec_b32 s10, s10
	v_bfrev_b32_e32 v11, 1
	s_xor_b32 exec_lo, exec_lo, s10
	s_cbranch_execz .LBB4_6457
.LBB4_6465:                             ;   in Loop: Header=BB4_5789 Depth=2
	v_cmp_ne_u16_e32 vcc_lo, 0, v2
	v_mov_b32_e32 v11, 0
	s_and_not1_b32 s11, s11, exec_lo
	s_and_b32 s41, vcc_lo, exec_lo
	s_delay_alu instid0(SALU_CYCLE_1)
	s_or_b32 s11, s11, s41
	s_or_b32 exec_lo, exec_lo, s10
	s_and_saveexec_b32 s10, s11
	s_cbranch_execz .LBB4_6469
.LBB4_6466:                             ;   in Loop: Header=BB4_5789 Depth=2
	v_and_b32_e32 v10, 0xffff, v2
	v_mov_b32_e32 v11, 0x7f800001
	s_mov_b32 s11, exec_lo
	s_delay_alu instid0(VALU_DEP_2) | instskip(NEXT) | instid1(VALU_DEP_1)
	v_and_b32_e32 v82, 0x7f, v10
	v_cmpx_ne_u32_e32 0x7f, v82
	s_cbranch_execz .LBB4_6468
; %bb.6467:                             ;   in Loop: Header=BB4_5789 Depth=2
	v_and_b32_e32 v20, 7, v10
	v_cmp_gt_u32_e32 vcc_lo, 8, v82
	v_lshlrev_b32_e32 v2, 24, v2
	s_delay_alu instid0(VALU_DEP_3) | instskip(NEXT) | instid1(VALU_DEP_2)
	v_clz_i32_u32_e32 v11, v20
	v_and_b32_e32 v2, 0x80000000, v2
	s_delay_alu instid0(VALU_DEP_2) | instskip(NEXT) | instid1(VALU_DEP_1)
	v_min_u32_e32 v21, 32, v11
	v_subrev_nc_u32_e32 v11, 28, v21
	v_sub_nc_u32_e32 v21, 29, v21
	s_delay_alu instid0(VALU_DEP_2) | instskip(SKIP_1) | instid1(VALU_DEP_1)
	v_lshlrev_b64_e32 v[10:11], v11, v[10:11]
	v_lshrrev_b32_e32 v11, 3, v82
	v_dual_cndmask_b32 v11, v11, v21, vcc_lo :: v_dual_bitop2_b32 v10, 7, v10 bitop3:0x40
	s_delay_alu instid0(VALU_DEP_1) | instskip(NEXT) | instid1(VALU_DEP_2)
	v_lshl_add_u32 v11, v11, 23, 0x3c000000
	v_cndmask_b32_e32 v10, v20, v10, vcc_lo
	s_delay_alu instid0(VALU_DEP_1) | instskip(NEXT) | instid1(VALU_DEP_1)
	v_lshlrev_b32_e32 v10, 20, v10
	v_or3_b32 v11, v10, v2, v11
.LBB4_6468:                             ;   in Loop: Header=BB4_5789 Depth=2
	s_or_b32 exec_lo, exec_lo, s11
.LBB4_6469:                             ;   in Loop: Header=BB4_5789 Depth=2
	s_delay_alu instid0(SALU_CYCLE_1) | instskip(NEXT) | instid1(VALU_DEP_1)
	s_or_b32 exec_lo, exec_lo, s10
	v_dual_add_f32 v3, v3, v11 :: v_dual_mov_b32 v11, v37
                                        ; implicit-def: $vgpr42
	s_mov_b32 s10, exec_lo
	s_delay_alu instid0(VALU_DEP_1) | instskip(SKIP_1) | instid1(VALU_DEP_2)
	v_and_b32_e32 v10, 0x7f800000, v3
	v_lshrrev_b32_e32 v2, 24, v3
	v_cmpx_ne_u64_e32 0x7f800000, v[10:11]
	s_xor_b32 s11, exec_lo, s10
	s_cbranch_execz .LBB4_6483
; %bb.6470:                             ;   in Loop: Header=BB4_5789 Depth=2
	v_and_b32_e32 v10, 0x7fffffff, v3
	v_mov_b32_e32 v11, v37
	v_and_b32_e32 v2, 0x80, v2
                                        ; implicit-def: $vgpr42
	s_mov_b32 s10, exec_lo
	s_delay_alu instid0(VALU_DEP_2)
	v_cmpx_gt_u64_e32 0x43e00001, v[10:11]
	s_xor_b32 s41, exec_lo, s10
	s_cbranch_execz .LBB4_6480
; %bb.6471:                             ;   in Loop: Header=BB4_5789 Depth=2
	v_mov_b32_e32 v42, 0
	s_mov_b32 s42, exec_lo
	v_cmpx_ne_u32_e32 0, v3
	s_cbranch_execz .LBB4_6479
; %bb.6472:                             ;   in Loop: Header=BB4_5789 Depth=2
	v_bfe_u32 v84, v3, 23, 8
	v_and_b32_e32 v3, 0x7fffff, v3
	s_delay_alu instid0(VALU_DEP_2) | instskip(SKIP_1) | instid1(VALU_DEP_3)
	v_dual_mov_b32 v21, v37 :: v_dual_sub_nc_u32 v10, 0x79, v84
	v_cmp_gt_u32_e32 vcc_lo, 0x7a, v84
	v_or_b32_e32 v20, 0x800000, v3
	s_delay_alu instid0(VALU_DEP_3) | instskip(SKIP_1) | instid1(VALU_DEP_2)
	v_cndmask_b32_e32 v10, 0, v10, vcc_lo
	v_cmp_eq_u32_e32 vcc_lo, 0, v84
	v_cndmask_b32_e64 v85, v10, 0x78, vcc_lo
	s_delay_alu instid0(VALU_DEP_1) | instskip(SKIP_1) | instid1(VALU_DEP_2)
	v_dual_cndmask_b32 v20, v20, v3, vcc_lo :: v_dual_add_nc_u32 v10, 20, v85
	v_add_nc_u32_e32 v82, 19, v85
	v_lshlrev_b64_e64 v[10:11], v10, -1
	s_delay_alu instid0(VALU_DEP_2) | instskip(NEXT) | instid1(VALU_DEP_2)
	v_lshlrev_b64_e64 v[82:83], v82, 1
	v_bfi_b32 v57, v11, 0, 0
	s_delay_alu instid0(VALU_DEP_3) | instskip(SKIP_1) | instid1(VALU_DEP_2)
	v_bfi_b32 v56, v10, 0, v20
	v_lshrrev_b64 v[10:11], v85, v[20:21]
	v_cmp_eq_u64_e64 s10, v[56:57], v[82:83]
	s_delay_alu instid0(VALU_DEP_2)
	v_mov_b64_e32 v[82:83], v[10:11]
	s_and_saveexec_b32 s43, s10
; %bb.6473:                             ;   in Loop: Header=BB4_5789 Depth=2
	v_bfe_u32 v20, v10, 20, 1
	v_mov_b32_e32 v21, v37
	s_delay_alu instid0(VALU_DEP_1) | instskip(NEXT) | instid1(VALU_DEP_1)
	v_add_nc_u64_e32 v[20:21], v[10:11], v[20:21]
	v_add_nc_u64_e32 v[82:83], -1, v[20:21]
; %bb.6474:                             ;   in Loop: Header=BB4_5789 Depth=2
	s_or_b32 exec_lo, exec_lo, s43
	v_add_nc_u32_e32 v3, 0xffffff81, v84
	v_lshrrev_b32_e32 v11, 23, v10
	s_mov_b32 s10, exec_lo
	s_delay_alu instid0(VALU_DEP_2) | instskip(NEXT) | instid1(VALU_DEP_1)
	v_cndmask_b32_e64 v3, v3, 0xffffff82, vcc_lo
	v_add3_u32 v83, v85, v3, v11
	v_and_b32_e32 v3, 0xfffff, v82
	s_delay_alu instid0(VALU_DEP_2) | instskip(NEXT) | instid1(VALU_DEP_2)
	v_dual_mov_b32 v11, v37 :: v_dual_add_nc_u32 v82, 6, v83
	v_add_nc_u32_e32 v10, v3, v10
                                        ; implicit-def: $vgpr3
	s_delay_alu instid0(VALU_DEP_2)
	v_cmpx_ne_u32_e32 0, v82
	s_xor_b32 s10, exec_lo, s10
; %bb.6475:                             ;   in Loop: Header=BB4_5789 Depth=2
	s_delay_alu instid0(VALU_DEP_2) | instskip(SKIP_2) | instid1(VALU_DEP_2)
	v_cmp_lt_u64_e32 vcc_lo, 0xffffff, v[10:11]
	v_add_nc_u32_e32 v3, 7, v83
	v_cndmask_b32_e64 v20, 0, 1, vcc_lo
	v_cndmask_b32_e32 v3, v82, v3, vcc_lo
	s_delay_alu instid0(VALU_DEP_2)
	v_lshrrev_b64 v[10:11], v20, v[10:11]
; %bb.6476:                             ;   in Loop: Header=BB4_5789 Depth=2
	s_and_not1_saveexec_b32 s10, s10
; %bb.6477:                             ;   in Loop: Header=BB4_5789 Depth=2
	s_delay_alu instid0(VALU_DEP_1)
	v_bfe_u32 v3, v10, 23, 1
; %bb.6478:                             ;   in Loop: Header=BB4_5789 Depth=2
	s_or_b32 exec_lo, exec_lo, s10
	s_delay_alu instid0(VALU_DEP_2) | instskip(NEXT) | instid1(VALU_DEP_2)
	v_lshrrev_b64 v[10:11], 20, v[10:11]
	v_cmp_gt_i32_e32 vcc_lo, 16, v3
	v_min_i32_e32 v20, 15, v3
	v_cmp_eq_u32_e64 s10, 0, v3
	s_delay_alu instid0(VALU_DEP_2) | instskip(SKIP_1) | instid1(VALU_DEP_2)
	v_dual_cndmask_b32 v10, 7, v10, vcc_lo :: v_dual_lshlrev_b32 v20, 3, v20
	v_cndmask_b32_e32 v11, 0, v11, vcc_lo
	v_and_b32_e32 v20, 0xf8, v20
	s_delay_alu instid0(VALU_DEP_2) | instskip(NEXT) | instid1(VALU_DEP_2)
	v_cmp_eq_u64_e32 vcc_lo, 0, v[10:11]
	v_and_or_b32 v3, v10, 7, v20
	s_and_b32 s10, s10, vcc_lo
	s_delay_alu instid0(VALU_DEP_1) | instid1(SALU_CYCLE_1)
	v_cndmask_b32_e64 v3, v3, 0, s10
	s_delay_alu instid0(VALU_DEP_1)
	v_or_b32_e32 v42, v3, v2
.LBB4_6479:                             ;   in Loop: Header=BB4_5789 Depth=2
	s_or_b32 exec_lo, exec_lo, s42
                                        ; implicit-def: $vgpr2
.LBB4_6480:                             ;   in Loop: Header=BB4_5789 Depth=2
	s_and_not1_saveexec_b32 s10, s41
; %bb.6481:                             ;   in Loop: Header=BB4_5789 Depth=2
	v_or_b32_e32 v42, 0x7e, v2
; %bb.6482:                             ;   in Loop: Header=BB4_5789 Depth=2
	s_or_b32 exec_lo, exec_lo, s10
                                        ; implicit-def: $vgpr2
.LBB4_6483:                             ;   in Loop: Header=BB4_5789 Depth=2
	s_and_not1_saveexec_b32 s10, s11
; %bb.6484:                             ;   in Loop: Header=BB4_5789 Depth=2
	v_or_b32_e32 v42, 0x7f, v2
; %bb.6485:                             ;   in Loop: Header=BB4_5789 Depth=2
	s_or_b32 exec_lo, exec_lo, s10
	v_dual_mov_b32 v2, 0 :: v_dual_lshrrev_b32 v3, 16, v36
	s_mov_b32 s10, exec_lo
	s_delay_alu instid0(VALU_DEP_1) | instskip(NEXT) | instid1(VALU_DEP_1)
	v_and_b32_e32 v10, 0xff, v3
	v_cmpx_ne_u16_e32 0, v10
	s_cbranch_execz .LBB4_6493
; %bb.6486:                             ;   in Loop: Header=BB4_5789 Depth=2
	v_bfrev_b32_e32 v2, 1
	s_mov_b32 s11, exec_lo
	v_cmpx_ne_u16_e32 0x80, v10
	s_cbranch_execz .LBB4_6492
; %bb.6487:                             ;   in Loop: Header=BB4_5789 Depth=2
	v_bfe_u32 v82, v36, 16, 7
	v_mov_b32_e32 v2, 0x7f800001
	s_mov_b32 s41, exec_lo
	s_delay_alu instid0(VALU_DEP_2)
	v_cmpx_ne_u32_e32 0x7f, v82
	s_cbranch_execz .LBB4_6491
; %bb.6488:                             ;   in Loop: Header=BB4_5789 Depth=2
	v_dual_mov_b32 v11, v37 :: v_dual_bitop2_b32 v10, 7, v3 bitop3:0x40
	v_lshrrev_b32_e32 v2, 3, v82
	s_mov_b32 s42, exec_lo
	v_cmpx_gt_u32_e32 8, v82
; %bb.6489:                             ;   in Loop: Header=BB4_5789 Depth=2
	s_delay_alu instid0(VALU_DEP_3) | instskip(NEXT) | instid1(VALU_DEP_1)
	v_clz_i32_u32_e32 v2, v10
	v_min_u32_e32 v2, 32, v2
	s_delay_alu instid0(VALU_DEP_1) | instskip(SKIP_1) | instid1(VALU_DEP_2)
	v_subrev_nc_u32_e32 v20, 28, v2
	v_sub_nc_u32_e32 v2, 29, v2
	v_lshlrev_b64_e32 v[10:11], v20, v[10:11]
	s_delay_alu instid0(VALU_DEP_1)
	v_and_b32_e32 v10, 7, v10
; %bb.6490:                             ;   in Loop: Header=BB4_5789 Depth=2
	s_or_b32 exec_lo, exec_lo, s42
	s_delay_alu instid0(VALU_DEP_1) | instskip(SKIP_1) | instid1(VALU_DEP_2)
	v_dual_lshlrev_b32 v3, 24, v3 :: v_dual_lshlrev_b32 v10, 20, v10
	v_lshl_add_u32 v2, v2, 23, 0x3c000000
	v_and_b32_e32 v3, 0x80000000, v3
	s_delay_alu instid0(VALU_DEP_1)
	v_or3_b32 v2, v10, v3, v2
.LBB4_6491:                             ;   in Loop: Header=BB4_5789 Depth=2
	s_or_b32 exec_lo, exec_lo, s41
.LBB4_6492:                             ;   in Loop: Header=BB4_5789 Depth=2
	s_delay_alu instid0(SALU_CYCLE_1)
	s_or_b32 exec_lo, exec_lo, s11
.LBB4_6493:                             ;   in Loop: Header=BB4_5789 Depth=2
	s_delay_alu instid0(SALU_CYCLE_1) | instskip(SKIP_3) | instid1(VALU_DEP_1)
	s_or_b32 exec_lo, exec_lo, s10
	v_lshrrev_b32_e32 v10, 16, v12
	s_mov_b32 s11, 0
	s_mov_b32 s10, exec_lo
	v_and_b32_e32 v11, 0xff, v10
	s_delay_alu instid0(VALU_DEP_1)
	v_cmpx_lt_i16_e32 0x7f, v11
	s_xor_b32 s10, exec_lo, s10
	s_cbranch_execnz .LBB4_6496
; %bb.6494:                             ;   in Loop: Header=BB4_5789 Depth=2
	s_or_saveexec_b32 s10, s10
	v_bfrev_b32_e32 v3, 1
	s_xor_b32 exec_lo, exec_lo, s10
	s_cbranch_execnz .LBB4_6499
.LBB4_6495:                             ;   in Loop: Header=BB4_5789 Depth=2
	s_or_b32 exec_lo, exec_lo, s10
	s_and_saveexec_b32 s10, s11
	s_cbranch_execnz .LBB4_6500
	s_branch .LBB4_6503
.LBB4_6496:                             ;   in Loop: Header=BB4_5789 Depth=2
	s_mov_b32 s11, -1
	s_mov_b32 s41, exec_lo
	v_cmpx_eq_u16_e32 0x80, v11
; %bb.6497:                             ;   in Loop: Header=BB4_5789 Depth=2
	s_xor_b32 s11, exec_lo, -1
; %bb.6498:                             ;   in Loop: Header=BB4_5789 Depth=2
	s_or_b32 exec_lo, exec_lo, s41
	s_delay_alu instid0(SALU_CYCLE_1)
	s_and_b32 s11, s11, exec_lo
                                        ; implicit-def: $vgpr11
	s_or_saveexec_b32 s10, s10
	v_bfrev_b32_e32 v3, 1
	s_xor_b32 exec_lo, exec_lo, s10
	s_cbranch_execz .LBB4_6495
.LBB4_6499:                             ;   in Loop: Header=BB4_5789 Depth=2
	v_cmp_ne_u16_e32 vcc_lo, 0, v11
	v_mov_b32_e32 v3, 0
	s_and_not1_b32 s11, s11, exec_lo
	s_and_b32 s41, vcc_lo, exec_lo
	s_delay_alu instid0(SALU_CYCLE_1)
	s_or_b32 s11, s11, s41
	s_or_b32 exec_lo, exec_lo, s10
	s_and_saveexec_b32 s10, s11
	s_cbranch_execz .LBB4_6503
.LBB4_6500:                             ;   in Loop: Header=BB4_5789 Depth=2
	v_and_b32_e32 v11, 0x7f, v10
	v_mov_b32_e32 v3, 0x7f800001
	s_mov_b32 s11, exec_lo
	s_delay_alu instid0(VALU_DEP_2)
	v_cmpx_ne_u32_e32 0x7f, v11
	s_cbranch_execz .LBB4_6502
; %bb.6501:                             ;   in Loop: Header=BB4_5789 Depth=2
	v_and_b32_e32 v3, 7, v10
	v_cmp_gt_u32_e32 vcc_lo, 8, v11
	s_delay_alu instid0(VALU_DEP_2) | instskip(NEXT) | instid1(VALU_DEP_1)
	v_clz_i32_u32_e32 v20, v3
	v_min_u32_e32 v82, 32, v20
	s_delay_alu instid0(VALU_DEP_1) | instskip(NEXT) | instid1(VALU_DEP_1)
	v_subrev_nc_u32_e32 v20, 28, v82
	v_lshlrev_b64_e32 v[20:21], v20, v[10:11]
	v_dual_lshrrev_b32 v21, 3, v11 :: v_dual_sub_nc_u32 v82, 29, v82
	s_delay_alu instid0(VALU_DEP_2) | instskip(NEXT) | instid1(VALU_DEP_1)
	v_dual_lshlrev_b32 v10, 24, v10 :: v_dual_bitop2_b32 v11, 7, v20 bitop3:0x40
	v_dual_cndmask_b32 v3, v3, v11 :: v_dual_cndmask_b32 v20, v21, v82
	s_delay_alu instid0(VALU_DEP_2) | instskip(NEXT) | instid1(VALU_DEP_2)
	v_and_b32_e32 v10, 0x80000000, v10
	v_lshlrev_b32_e32 v3, 20, v3
	s_delay_alu instid0(VALU_DEP_3) | instskip(NEXT) | instid1(VALU_DEP_1)
	v_lshl_add_u32 v11, v20, 23, 0x3c000000
	v_or3_b32 v3, v3, v10, v11
.LBB4_6502:                             ;   in Loop: Header=BB4_5789 Depth=2
	s_or_b32 exec_lo, exec_lo, s11
.LBB4_6503:                             ;   in Loop: Header=BB4_5789 Depth=2
	s_delay_alu instid0(SALU_CYCLE_1) | instskip(NEXT) | instid1(VALU_DEP_1)
	s_or_b32 exec_lo, exec_lo, s10
	v_dual_add_f32 v3, v2, v3 :: v_dual_mov_b32 v11, v37
                                        ; implicit-def: $vgpr45
	s_mov_b32 s10, exec_lo
	s_delay_alu instid0(VALU_DEP_1) | instskip(SKIP_1) | instid1(VALU_DEP_2)
	v_and_b32_e32 v10, 0x7f800000, v3
	v_lshrrev_b32_e32 v2, 24, v3
	v_cmpx_ne_u64_e32 0x7f800000, v[10:11]
	s_xor_b32 s11, exec_lo, s10
	s_cbranch_execz .LBB4_6517
; %bb.6504:                             ;   in Loop: Header=BB4_5789 Depth=2
	v_and_b32_e32 v10, 0x7fffffff, v3
	v_mov_b32_e32 v11, v37
	v_and_b32_e32 v2, 0x80, v2
                                        ; implicit-def: $vgpr45
	s_mov_b32 s10, exec_lo
	s_delay_alu instid0(VALU_DEP_2)
	v_cmpx_gt_u64_e32 0x43e00001, v[10:11]
	s_xor_b32 s41, exec_lo, s10
	s_cbranch_execz .LBB4_6514
; %bb.6505:                             ;   in Loop: Header=BB4_5789 Depth=2
	v_mov_b32_e32 v45, 0
	s_mov_b32 s42, exec_lo
	v_cmpx_ne_u32_e32 0, v3
	s_cbranch_execz .LBB4_6513
; %bb.6506:                             ;   in Loop: Header=BB4_5789 Depth=2
	v_bfe_u32 v84, v3, 23, 8
	v_and_b32_e32 v3, 0x7fffff, v3
	s_delay_alu instid0(VALU_DEP_2) | instskip(SKIP_1) | instid1(VALU_DEP_3)
	v_dual_mov_b32 v21, v37 :: v_dual_sub_nc_u32 v10, 0x79, v84
	v_cmp_gt_u32_e32 vcc_lo, 0x7a, v84
	v_or_b32_e32 v20, 0x800000, v3
	s_delay_alu instid0(VALU_DEP_3) | instskip(SKIP_1) | instid1(VALU_DEP_2)
	v_cndmask_b32_e32 v10, 0, v10, vcc_lo
	v_cmp_eq_u32_e32 vcc_lo, 0, v84
	v_cndmask_b32_e64 v85, v10, 0x78, vcc_lo
	s_delay_alu instid0(VALU_DEP_1) | instskip(SKIP_1) | instid1(VALU_DEP_2)
	v_dual_cndmask_b32 v20, v20, v3, vcc_lo :: v_dual_add_nc_u32 v10, 20, v85
	v_add_nc_u32_e32 v82, 19, v85
	v_lshlrev_b64_e64 v[10:11], v10, -1
	s_delay_alu instid0(VALU_DEP_2) | instskip(NEXT) | instid1(VALU_DEP_2)
	v_lshlrev_b64_e64 v[82:83], v82, 1
	v_bfi_b32 v57, v11, 0, 0
	s_delay_alu instid0(VALU_DEP_3) | instskip(SKIP_1) | instid1(VALU_DEP_2)
	v_bfi_b32 v56, v10, 0, v20
	v_lshrrev_b64 v[10:11], v85, v[20:21]
	v_cmp_eq_u64_e64 s10, v[56:57], v[82:83]
	s_delay_alu instid0(VALU_DEP_2)
	v_mov_b64_e32 v[82:83], v[10:11]
	s_and_saveexec_b32 s43, s10
; %bb.6507:                             ;   in Loop: Header=BB4_5789 Depth=2
	v_bfe_u32 v20, v10, 20, 1
	v_mov_b32_e32 v21, v37
	s_delay_alu instid0(VALU_DEP_1) | instskip(NEXT) | instid1(VALU_DEP_1)
	v_add_nc_u64_e32 v[20:21], v[10:11], v[20:21]
	v_add_nc_u64_e32 v[82:83], -1, v[20:21]
; %bb.6508:                             ;   in Loop: Header=BB4_5789 Depth=2
	s_or_b32 exec_lo, exec_lo, s43
	v_add_nc_u32_e32 v3, 0xffffff81, v84
	v_lshrrev_b32_e32 v11, 23, v10
	s_mov_b32 s10, exec_lo
	s_delay_alu instid0(VALU_DEP_2) | instskip(NEXT) | instid1(VALU_DEP_1)
	v_cndmask_b32_e64 v3, v3, 0xffffff82, vcc_lo
	v_add3_u32 v83, v85, v3, v11
	v_and_b32_e32 v3, 0xfffff, v82
	s_delay_alu instid0(VALU_DEP_2) | instskip(NEXT) | instid1(VALU_DEP_2)
	v_dual_mov_b32 v11, v37 :: v_dual_add_nc_u32 v82, 6, v83
	v_add_nc_u32_e32 v10, v3, v10
                                        ; implicit-def: $vgpr3
	s_delay_alu instid0(VALU_DEP_2)
	v_cmpx_ne_u32_e32 0, v82
	s_xor_b32 s10, exec_lo, s10
; %bb.6509:                             ;   in Loop: Header=BB4_5789 Depth=2
	s_delay_alu instid0(VALU_DEP_2) | instskip(SKIP_2) | instid1(VALU_DEP_2)
	v_cmp_lt_u64_e32 vcc_lo, 0xffffff, v[10:11]
	v_add_nc_u32_e32 v3, 7, v83
	v_cndmask_b32_e64 v20, 0, 1, vcc_lo
	v_cndmask_b32_e32 v3, v82, v3, vcc_lo
	s_delay_alu instid0(VALU_DEP_2)
	v_lshrrev_b64 v[10:11], v20, v[10:11]
; %bb.6510:                             ;   in Loop: Header=BB4_5789 Depth=2
	s_and_not1_saveexec_b32 s10, s10
; %bb.6511:                             ;   in Loop: Header=BB4_5789 Depth=2
	s_delay_alu instid0(VALU_DEP_1)
	v_bfe_u32 v3, v10, 23, 1
; %bb.6512:                             ;   in Loop: Header=BB4_5789 Depth=2
	s_or_b32 exec_lo, exec_lo, s10
	s_delay_alu instid0(VALU_DEP_2) | instskip(NEXT) | instid1(VALU_DEP_2)
	v_lshrrev_b64 v[10:11], 20, v[10:11]
	v_cmp_gt_i32_e32 vcc_lo, 16, v3
	v_min_i32_e32 v20, 15, v3
	v_cmp_eq_u32_e64 s10, 0, v3
	s_delay_alu instid0(VALU_DEP_2) | instskip(SKIP_1) | instid1(VALU_DEP_2)
	v_dual_cndmask_b32 v10, 7, v10, vcc_lo :: v_dual_lshlrev_b32 v20, 3, v20
	v_cndmask_b32_e32 v11, 0, v11, vcc_lo
	v_and_b32_e32 v20, 0xf8, v20
	s_delay_alu instid0(VALU_DEP_2) | instskip(NEXT) | instid1(VALU_DEP_2)
	v_cmp_eq_u64_e32 vcc_lo, 0, v[10:11]
	v_and_or_b32 v3, v10, 7, v20
	s_and_b32 s10, s10, vcc_lo
	s_delay_alu instid0(VALU_DEP_1) | instid1(SALU_CYCLE_1)
	v_cndmask_b32_e64 v3, v3, 0, s10
	s_delay_alu instid0(VALU_DEP_1)
	v_or_b32_e32 v45, v3, v2
.LBB4_6513:                             ;   in Loop: Header=BB4_5789 Depth=2
	s_or_b32 exec_lo, exec_lo, s42
                                        ; implicit-def: $vgpr2
.LBB4_6514:                             ;   in Loop: Header=BB4_5789 Depth=2
	s_and_not1_saveexec_b32 s10, s41
; %bb.6515:                             ;   in Loop: Header=BB4_5789 Depth=2
	v_or_b32_e32 v45, 0x7e, v2
; %bb.6516:                             ;   in Loop: Header=BB4_5789 Depth=2
	s_or_b32 exec_lo, exec_lo, s10
                                        ; implicit-def: $vgpr2
.LBB4_6517:                             ;   in Loop: Header=BB4_5789 Depth=2
	s_and_not1_saveexec_b32 s10, s11
; %bb.6518:                             ;   in Loop: Header=BB4_5789 Depth=2
	v_or_b32_e32 v45, 0x7f, v2
; %bb.6519:                             ;   in Loop: Header=BB4_5789 Depth=2
	s_or_b32 exec_lo, exec_lo, s10
	v_mov_b32_e32 v2, 0
	s_mov_b32 s10, exec_lo
	v_cmpx_lt_u32_e32 0xffffff, v36
	s_cbranch_execz .LBB4_6527
; %bb.6520:                             ;   in Loop: Header=BB4_5789 Depth=2
	v_lshrrev_b32_e32 v3, 24, v36
	v_bfrev_b32_e32 v2, 1
	s_mov_b32 s11, exec_lo
	s_delay_alu instid0(VALU_DEP_2)
	v_cmpx_ne_u32_e32 0x80, v3
	s_cbranch_execz .LBB4_6526
; %bb.6521:                             ;   in Loop: Header=BB4_5789 Depth=2
	v_bfe_u32 v10, v36, 24, 7
	v_mov_b32_e32 v2, 0x7f800001
	s_mov_b32 s41, exec_lo
	s_delay_alu instid0(VALU_DEP_2)
	v_cmpx_ne_u32_e32 0x7f, v10
	s_cbranch_execz .LBB4_6525
; %bb.6522:                             ;   in Loop: Header=BB4_5789 Depth=2
	v_dual_lshrrev_b32 v2, 3, v10 :: v_dual_bitop2_b32 v36, 7, v3 bitop3:0x40
	v_cmp_gt_u32_e32 vcc_lo, 8, v10
	s_delay_alu instid0(VALU_DEP_2)
	v_mov_b64_e32 v[10:11], v[36:37]
	s_and_saveexec_b32 s42, vcc_lo
; %bb.6523:                             ;   in Loop: Header=BB4_5789 Depth=2
	v_clz_i32_u32_e32 v2, v36
	s_delay_alu instid0(VALU_DEP_1) | instskip(NEXT) | instid1(VALU_DEP_1)
	v_min_u32_e32 v2, 32, v2
	v_subrev_nc_u32_e32 v10, 28, v2
	v_sub_nc_u32_e32 v2, 29, v2
	s_delay_alu instid0(VALU_DEP_2) | instskip(NEXT) | instid1(VALU_DEP_1)
	v_lshlrev_b64_e32 v[10:11], v10, v[36:37]
	v_and_b32_e32 v10, 7, v10
; %bb.6524:                             ;   in Loop: Header=BB4_5789 Depth=2
	s_or_b32 exec_lo, exec_lo, s42
	s_delay_alu instid0(VALU_DEP_1) | instskip(SKIP_1) | instid1(VALU_DEP_2)
	v_dual_lshlrev_b32 v3, 24, v3 :: v_dual_lshlrev_b32 v10, 20, v10
	v_lshl_add_u32 v2, v2, 23, 0x3c000000
	v_and_b32_e32 v3, 0x80000000, v3
	s_delay_alu instid0(VALU_DEP_1)
	v_or3_b32 v2, v10, v3, v2
.LBB4_6525:                             ;   in Loop: Header=BB4_5789 Depth=2
	s_or_b32 exec_lo, exec_lo, s41
.LBB4_6526:                             ;   in Loop: Header=BB4_5789 Depth=2
	s_delay_alu instid0(SALU_CYCLE_1)
	s_or_b32 exec_lo, exec_lo, s11
.LBB4_6527:                             ;   in Loop: Header=BB4_5789 Depth=2
	s_delay_alu instid0(SALU_CYCLE_1) | instskip(SKIP_3) | instid1(VALU_DEP_3)
	s_or_b32 exec_lo, exec_lo, s10
	v_lshrrev_b32_e32 v10, 24, v12
	v_bfe_u32 v3, v12, 24, 7
	v_cmp_gt_u32_e64 s11, 0x1000000, v12
	v_cmp_eq_u32_e32 vcc_lo, 0x80, v10
	s_delay_alu instid0(VALU_DEP_3) | instskip(SKIP_2) | instid1(VALU_DEP_1)
	v_cmp_eq_u32_e64 s10, 0x7f, v3
	v_cndmask_b32_e32 v11, 0x7f800001, v101, vcc_lo
	s_or_b32 s10, vcc_lo, s10
	v_cndmask_b32_e64 v11, v11, 0, s11
	s_nor_b32 s11, s11, s10
	s_delay_alu instid0(SALU_CYCLE_1)
	s_and_saveexec_b32 s10, s11
	s_cbranch_execz .LBB4_6529
; %bb.6528:                             ;   in Loop: Header=BB4_5789 Depth=2
	v_and_b32_e32 v11, 7, v10
	v_cmp_gt_u32_e32 vcc_lo, 8, v3
	s_delay_alu instid0(VALU_DEP_2) | instskip(NEXT) | instid1(VALU_DEP_1)
	v_clz_i32_u32_e32 v20, v11
	v_min_u32_e32 v36, 32, v20
	s_delay_alu instid0(VALU_DEP_1) | instskip(SKIP_1) | instid1(VALU_DEP_2)
	v_subrev_nc_u32_e32 v20, 28, v36
	v_sub_nc_u32_e32 v36, 29, v36
	v_lshlrev_b64_e32 v[20:21], v20, v[10:11]
	v_dual_lshrrev_b32 v21, 3, v3 :: v_dual_lshlrev_b32 v10, 24, v10
	s_delay_alu instid0(VALU_DEP_1) | instskip(NEXT) | instid1(VALU_DEP_3)
	v_and_b32_e32 v10, 0x80000000, v10
	v_and_b32_e32 v3, 7, v20
	s_delay_alu instid0(VALU_DEP_1) | instskip(NEXT) | instid1(VALU_DEP_1)
	v_dual_cndmask_b32 v20, v21, v36 :: v_dual_cndmask_b32 v3, v11, v3
	v_lshl_add_u32 v11, v20, 23, 0x3c000000
	s_delay_alu instid0(VALU_DEP_2) | instskip(NEXT) | instid1(VALU_DEP_1)
	v_lshlrev_b32_e32 v3, 20, v3
	v_or3_b32 v11, v3, v10, v11
.LBB4_6529:                             ;   in Loop: Header=BB4_5789 Depth=2
	s_or_b32 exec_lo, exec_lo, s10
	s_delay_alu instid0(VALU_DEP_1) | instskip(SKIP_1) | instid1(VALU_DEP_1)
	v_add_f32_e32 v3, v2, v11
                                        ; implicit-def: $vgpr46
	s_mov_b32 s10, exec_lo
	v_and_b32_e32 v36, 0x7f800000, v3
	v_lshrrev_b32_e32 v2, 24, v3
	s_delay_alu instid0(VALU_DEP_2)
	v_cmpx_ne_u64_e32 0x7f800000, v[36:37]
	s_xor_b32 s11, exec_lo, s10
	s_cbranch_execz .LBB4_6543
; %bb.6530:                             ;   in Loop: Header=BB4_5789 Depth=2
	v_and_b32_e32 v36, 0x7fffffff, v3
	v_and_b32_e32 v2, 0x80, v2
                                        ; implicit-def: $vgpr46
	s_mov_b32 s10, exec_lo
	s_delay_alu instid0(VALU_DEP_2)
	v_cmpx_gt_u64_e32 0x43e00001, v[36:37]
	s_xor_b32 s41, exec_lo, s10
	s_cbranch_execz .LBB4_6540
; %bb.6531:                             ;   in Loop: Header=BB4_5789 Depth=2
	v_mov_b32_e32 v46, 0
	s_mov_b32 s42, exec_lo
	v_cmpx_ne_u32_e32 0, v3
	s_cbranch_execz .LBB4_6539
; %bb.6532:                             ;   in Loop: Header=BB4_5789 Depth=2
	v_bfe_u32 v84, v3, 23, 8
	v_and_b32_e32 v3, 0x7fffff, v3
	s_delay_alu instid0(VALU_DEP_2) | instskip(SKIP_1) | instid1(VALU_DEP_3)
	v_sub_nc_u32_e32 v10, 0x79, v84
	v_cmp_gt_u32_e32 vcc_lo, 0x7a, v84
	v_or_b32_e32 v20, 0x800000, v3
	s_delay_alu instid0(VALU_DEP_3) | instskip(SKIP_1) | instid1(VALU_DEP_2)
	v_cndmask_b32_e32 v10, 0, v10, vcc_lo
	v_cmp_eq_u32_e32 vcc_lo, 0, v84
	v_cndmask_b32_e64 v85, v10, 0x78, vcc_lo
	s_delay_alu instid0(VALU_DEP_1) | instskip(SKIP_1) | instid1(VALU_DEP_2)
	v_dual_cndmask_b32 v36, v20, v3, vcc_lo :: v_dual_add_nc_u32 v10, 20, v85
	v_add_nc_u32_e32 v21, 19, v85
	v_lshlrev_b64_e64 v[10:11], v10, -1
	s_delay_alu instid0(VALU_DEP_2) | instskip(NEXT) | instid1(VALU_DEP_2)
	v_lshlrev_b64_e64 v[20:21], v21, 1
	v_bfi_b32 v83, v11, 0, 0
	s_delay_alu instid0(VALU_DEP_3) | instskip(SKIP_1) | instid1(VALU_DEP_2)
	v_bfi_b32 v82, v10, 0, v36
	v_lshrrev_b64 v[10:11], v85, v[36:37]
	v_cmp_eq_u64_e64 s10, v[82:83], v[20:21]
	s_delay_alu instid0(VALU_DEP_2)
	v_mov_b64_e32 v[82:83], v[10:11]
	s_and_saveexec_b32 s43, s10
; %bb.6533:                             ;   in Loop: Header=BB4_5789 Depth=2
	v_bfe_u32 v36, v10, 20, 1
	s_delay_alu instid0(VALU_DEP_1) | instskip(NEXT) | instid1(VALU_DEP_1)
	v_add_nc_u64_e32 v[20:21], v[10:11], v[36:37]
	v_add_nc_u64_e32 v[82:83], -1, v[20:21]
; %bb.6534:                             ;   in Loop: Header=BB4_5789 Depth=2
	s_or_b32 exec_lo, exec_lo, s43
	v_add_nc_u32_e32 v3, 0xffffff81, v84
	v_lshrrev_b32_e32 v11, 23, v10
	s_mov_b32 s10, exec_lo
	s_delay_alu instid0(VALU_DEP_2) | instskip(NEXT) | instid1(VALU_DEP_1)
	v_cndmask_b32_e64 v3, v3, 0xffffff82, vcc_lo
	v_add3_u32 v83, v85, v3, v11
	v_and_b32_e32 v3, 0xfffff, v82
	s_delay_alu instid0(VALU_DEP_1) | instskip(NEXT) | instid1(VALU_DEP_1)
	v_dual_add_nc_u32 v82, 6, v83 :: v_dual_add_nc_u32 v36, v3, v10
                                        ; implicit-def: $vgpr10_vgpr11
                                        ; implicit-def: $vgpr3
	v_cmpx_ne_u32_e32 0, v82
	s_xor_b32 s10, exec_lo, s10
; %bb.6535:                             ;   in Loop: Header=BB4_5789 Depth=2
	s_delay_alu instid0(VALU_DEP_2) | instskip(SKIP_2) | instid1(VALU_DEP_2)
	v_cmp_lt_u64_e32 vcc_lo, 0xffffff, v[36:37]
	v_add_nc_u32_e32 v3, 7, v83
	v_cndmask_b32_e64 v10, 0, 1, vcc_lo
	v_cndmask_b32_e32 v3, v82, v3, vcc_lo
	s_delay_alu instid0(VALU_DEP_2)
	v_lshrrev_b64 v[10:11], v10, v[36:37]
; %bb.6536:                             ;   in Loop: Header=BB4_5789 Depth=2
	s_and_not1_saveexec_b32 s10, s10
; %bb.6537:                             ;   in Loop: Header=BB4_5789 Depth=2
	v_mov_b64_e32 v[10:11], v[36:37]
	v_bfe_u32 v3, v36, 23, 1
; %bb.6538:                             ;   in Loop: Header=BB4_5789 Depth=2
	s_or_b32 exec_lo, exec_lo, s10
	s_delay_alu instid0(VALU_DEP_2) | instskip(NEXT) | instid1(VALU_DEP_2)
	v_lshrrev_b64 v[10:11], 20, v[10:11]
	v_cmp_gt_i32_e32 vcc_lo, 16, v3
	v_min_i32_e32 v20, 15, v3
	v_cmp_eq_u32_e64 s10, 0, v3
	s_delay_alu instid0(VALU_DEP_2) | instskip(SKIP_1) | instid1(VALU_DEP_2)
	v_dual_cndmask_b32 v10, 7, v10, vcc_lo :: v_dual_lshlrev_b32 v20, 3, v20
	v_cndmask_b32_e32 v11, 0, v11, vcc_lo
	v_and_b32_e32 v20, 0xf8, v20
	s_delay_alu instid0(VALU_DEP_2) | instskip(NEXT) | instid1(VALU_DEP_2)
	v_cmp_eq_u64_e32 vcc_lo, 0, v[10:11]
	v_and_or_b32 v3, v10, 7, v20
	s_and_b32 s10, s10, vcc_lo
	s_delay_alu instid0(VALU_DEP_1) | instid1(SALU_CYCLE_1)
	v_cndmask_b32_e64 v3, v3, 0, s10
	s_delay_alu instid0(VALU_DEP_1)
	v_or_b32_e32 v46, v3, v2
.LBB4_6539:                             ;   in Loop: Header=BB4_5789 Depth=2
	s_or_b32 exec_lo, exec_lo, s42
                                        ; implicit-def: $vgpr2
.LBB4_6540:                             ;   in Loop: Header=BB4_5789 Depth=2
	s_and_not1_saveexec_b32 s10, s41
; %bb.6541:                             ;   in Loop: Header=BB4_5789 Depth=2
	v_or_b32_e32 v46, 0x7e, v2
; %bb.6542:                             ;   in Loop: Header=BB4_5789 Depth=2
	s_or_b32 exec_lo, exec_lo, s10
                                        ; implicit-def: $vgpr2
.LBB4_6543:                             ;   in Loop: Header=BB4_5789 Depth=2
	s_and_not1_saveexec_b32 s10, s11
; %bb.6544:                             ;   in Loop: Header=BB4_5789 Depth=2
	v_or_b32_e32 v46, 0x7f, v2
; %bb.6545:                             ;   in Loop: Header=BB4_5789 Depth=2
	s_or_b32 exec_lo, exec_lo, s10
	v_dual_lshlrev_b32 v3, 24, v44 :: v_dual_lshlrev_b32 v10, 16, v41
	v_lshl_or_b32 v2, v118, 8, v116
	s_mov_b32 s10, exec_lo
	s_delay_alu instid0(VALU_DEP_1)
	v_or3_b32 v36, v10, v3, v2
	v_mov_b32_e32 v3, 0
	v_cmpx_ne_u32_e32 0, v116
	s_cbranch_execz .LBB4_6551
; %bb.6546:                             ;   in Loop: Header=BB4_5789 Depth=2
	v_bfrev_b32_e32 v3, 1
	s_mov_b32 s11, exec_lo
	v_cmpx_ne_u32_e32 0x80, v116
	s_cbranch_execz .LBB4_6550
; %bb.6547:                             ;   in Loop: Header=BB4_5789 Depth=2
	v_and_b32_e32 v10, 0x7f, v116
	v_mov_b32_e32 v3, 0x7f800001
	s_mov_b32 s41, exec_lo
	s_delay_alu instid0(VALU_DEP_2)
	v_cmpx_ne_u32_e32 0x7f, v10
	s_cbranch_execz .LBB4_6549
; %bb.6548:                             ;   in Loop: Header=BB4_5789 Depth=2
	v_dual_lshrrev_b32 v11, 3, v10 :: v_dual_bitop2_b32 v3, 7, v116 bitop3:0x40
	v_cmp_gt_u32_e32 vcc_lo, 8, v10
	s_delay_alu instid0(VALU_DEP_2) | instskip(NEXT) | instid1(VALU_DEP_1)
	v_clz_i32_u32_e32 v3, v3
	v_min_u32_e32 v3, 32, v3
	s_delay_alu instid0(VALU_DEP_1) | instskip(NEXT) | instid1(VALU_DEP_1)
	v_subrev_nc_u32_e32 v20, 28, v3
	v_dual_cndmask_b32 v10, 0, v20 :: v_dual_sub_nc_u32 v3, 29, v3
	s_delay_alu instid0(VALU_DEP_1) | instskip(NEXT) | instid1(VALU_DEP_2)
	v_cndmask_b32_e32 v3, v11, v3, vcc_lo
	v_lshlrev_b64_e32 v[10:11], v10, v[36:37]
	v_lshlrev_b32_e32 v11, 24, v36
	s_delay_alu instid0(VALU_DEP_3) | instskip(NEXT) | instid1(VALU_DEP_2)
	v_lshl_add_u32 v3, v3, 23, 0x3c000000
	v_and_b32_e32 v11, 0x80000000, v11
	s_delay_alu instid0(VALU_DEP_4) | instskip(NEXT) | instid1(VALU_DEP_1)
	v_lshlrev_b32_e32 v10, 20, v10
	v_and_b32_e32 v10, 0x700000, v10
	s_delay_alu instid0(VALU_DEP_1)
	v_or3_b32 v3, v10, v11, v3
.LBB4_6549:                             ;   in Loop: Header=BB4_5789 Depth=2
	s_or_b32 exec_lo, exec_lo, s41
.LBB4_6550:                             ;   in Loop: Header=BB4_5789 Depth=2
	s_delay_alu instid0(SALU_CYCLE_1)
	s_or_b32 exec_lo, exec_lo, s11
.LBB4_6551:                             ;   in Loop: Header=BB4_5789 Depth=2
	s_delay_alu instid0(SALU_CYCLE_1) | instskip(SKIP_4) | instid1(VALU_DEP_2)
	s_or_b32 exec_lo, exec_lo, s10
	v_and_b32_e32 v11, 0xff, v13
	v_mov_b32_e32 v10, v13
	s_mov_b32 s10, 0
	s_mov_b32 s11, exec_lo
	v_cmpx_lt_i16_e32 0x7f, v11
	s_xor_b32 s11, exec_lo, s11
	s_cbranch_execnz .LBB4_6582
; %bb.6552:                             ;   in Loop: Header=BB4_5789 Depth=2
	s_or_saveexec_b32 s11, s11
	v_bfrev_b32_e32 v82, 1
	s_xor_b32 exec_lo, exec_lo, s11
	s_cbranch_execnz .LBB4_6585
.LBB4_6553:                             ;   in Loop: Header=BB4_5789 Depth=2
	s_or_b32 exec_lo, exec_lo, s11
	v_mov_b32_e32 v11, v37
	s_and_saveexec_b32 s11, s10
	s_cbranch_execz .LBB4_6555
.LBB4_6554:                             ;   in Loop: Header=BB4_5789 Depth=2
	v_and_b32_e32 v20, 7, v13
	v_and_b32_e32 v82, 0x7f, v13
	v_bfe_u32 v21, v13, 3, 4
	s_delay_alu instid0(VALU_DEP_3) | instskip(NEXT) | instid1(VALU_DEP_3)
	v_clz_i32_u32_e32 v20, v20
	v_cmp_gt_u32_e32 vcc_lo, 8, v82
	s_delay_alu instid0(VALU_DEP_2) | instskip(NEXT) | instid1(VALU_DEP_1)
	v_min_u32_e32 v20, 32, v20
	v_subrev_nc_u32_e32 v83, 28, v20
	v_sub_nc_u32_e32 v20, 29, v20
	s_delay_alu instid0(VALU_DEP_1) | instskip(SKIP_1) | instid1(VALU_DEP_2)
	v_dual_cndmask_b32 v84, v21, v20, vcc_lo :: v_dual_cndmask_b32 v20, 0, v83, vcc_lo
	v_cmp_ne_u32_e32 vcc_lo, 0x7f, v82
	v_lshlrev_b64_e32 v[20:21], v20, v[10:11]
	v_lshlrev_b32_e32 v11, 24, v10
	s_delay_alu instid0(VALU_DEP_4) | instskip(NEXT) | instid1(VALU_DEP_2)
	v_lshl_add_u32 v21, v84, 23, 0x3c000000
	v_and_b32_e32 v11, 0x80000000, v11
	s_delay_alu instid0(VALU_DEP_4) | instskip(NEXT) | instid1(VALU_DEP_1)
	v_lshlrev_b32_e32 v20, 20, v20
	v_and_b32_e32 v20, 0x700000, v20
	s_delay_alu instid0(VALU_DEP_1) | instskip(NEXT) | instid1(VALU_DEP_1)
	v_or3_b32 v11, v20, v11, v21
	v_cndmask_b32_e32 v82, 0x7f800001, v11, vcc_lo
.LBB4_6555:                             ;   in Loop: Header=BB4_5789 Depth=2
	s_or_b32 exec_lo, exec_lo, s11
	s_delay_alu instid0(VALU_DEP_1) | instskip(SKIP_1) | instid1(VALU_DEP_1)
	v_dual_add_f32 v11, v3, v82 :: v_dual_mov_b32 v21, v37
                                        ; implicit-def: $vgpr84
	s_mov_b32 s10, exec_lo
	v_and_b32_e32 v20, 0x7f800000, v11
	v_lshrrev_b32_e32 v3, 24, v11
	s_delay_alu instid0(VALU_DEP_2)
	v_cmpx_ne_u64_e32 0x7f800000, v[20:21]
	s_xor_b32 s11, exec_lo, s10
	s_cbranch_execz .LBB4_6569
; %bb.6556:                             ;   in Loop: Header=BB4_5789 Depth=2
	v_and_b32_e32 v20, 0x7fffffff, v11
	v_mov_b32_e32 v21, v37
	v_and_b32_e32 v3, 0x80, v3
                                        ; implicit-def: $vgpr84
	s_mov_b32 s10, exec_lo
	s_delay_alu instid0(VALU_DEP_2)
	v_cmpx_gt_u64_e32 0x43e00001, v[20:21]
	s_xor_b32 s41, exec_lo, s10
	s_cbranch_execz .LBB4_6566
; %bb.6557:                             ;   in Loop: Header=BB4_5789 Depth=2
	v_mov_b32_e32 v84, 0
	s_mov_b32 s42, exec_lo
	v_cmpx_ne_u32_e32 0, v11
	s_cbranch_execz .LBB4_6565
; %bb.6558:                             ;   in Loop: Header=BB4_5789 Depth=2
	v_bfe_u32 v113, v11, 23, 8
	v_and_b32_e32 v11, 0x7fffff, v11
	s_delay_alu instid0(VALU_DEP_2) | instskip(SKIP_1) | instid1(VALU_DEP_3)
	v_dual_mov_b32 v83, v37 :: v_dual_sub_nc_u32 v20, 0x79, v113
	v_cmp_gt_u32_e32 vcc_lo, 0x7a, v113
	v_or_b32_e32 v82, 0x800000, v11
	s_delay_alu instid0(VALU_DEP_3) | instskip(SKIP_1) | instid1(VALU_DEP_3)
	v_cndmask_b32_e32 v20, 0, v20, vcc_lo
	v_cmp_eq_u32_e32 vcc_lo, 0, v113
	v_cndmask_b32_e32 v82, v82, v11, vcc_lo
	s_delay_alu instid0(VALU_DEP_3) | instskip(NEXT) | instid1(VALU_DEP_1)
	v_cndmask_b32_e64 v116, v20, 0x78, vcc_lo
	v_dual_add_nc_u32 v20, 20, v116 :: v_dual_add_nc_u32 v84, 19, v116
	s_delay_alu instid0(VALU_DEP_1) | instskip(NEXT) | instid1(VALU_DEP_2)
	v_lshlrev_b64_e64 v[20:21], v20, -1
	v_lshlrev_b64_e64 v[84:85], v84, 1
	s_delay_alu instid0(VALU_DEP_2) | instskip(SKIP_1) | instid1(VALU_DEP_4)
	v_bfi_b32 v20, v20, 0, v82
	v_lshrrev_b64 v[82:83], v116, v[82:83]
	v_bfi_b32 v21, v21, 0, 0
	s_delay_alu instid0(VALU_DEP_1) | instskip(NEXT) | instid1(VALU_DEP_3)
	v_cmp_eq_u64_e64 s10, v[20:21], v[84:85]
	v_mov_b64_e32 v[84:85], v[82:83]
	s_and_saveexec_b32 s43, s10
; %bb.6559:                             ;   in Loop: Header=BB4_5789 Depth=2
	v_bfe_u32 v20, v82, 20, 1
	v_mov_b32_e32 v21, v37
	s_delay_alu instid0(VALU_DEP_1) | instskip(NEXT) | instid1(VALU_DEP_1)
	v_add_nc_u64_e32 v[20:21], v[82:83], v[20:21]
	v_add_nc_u64_e32 v[84:85], -1, v[20:21]
; %bb.6560:                             ;   in Loop: Header=BB4_5789 Depth=2
	s_or_b32 exec_lo, exec_lo, s43
	v_add_nc_u32_e32 v11, 0xffffff81, v113
	v_lshrrev_b32_e32 v20, 23, v82
	s_mov_b32 s10, exec_lo
	v_mov_b32_e32 v83, v37
	s_delay_alu instid0(VALU_DEP_3) | instskip(NEXT) | instid1(VALU_DEP_1)
	v_cndmask_b32_e64 v11, v11, 0xffffff82, vcc_lo
	v_add3_u32 v85, v116, v11, v20
	v_and_b32_e32 v11, 0xfffff, v84
	s_delay_alu instid0(VALU_DEP_1) | instskip(NEXT) | instid1(VALU_DEP_1)
	v_dual_add_nc_u32 v84, 6, v85 :: v_dual_add_nc_u32 v82, v11, v82
                                        ; implicit-def: $vgpr11
	v_cmpx_ne_u32_e32 0, v84
	s_xor_b32 s10, exec_lo, s10
; %bb.6561:                             ;   in Loop: Header=BB4_5789 Depth=2
	s_delay_alu instid0(VALU_DEP_2) | instskip(SKIP_2) | instid1(VALU_DEP_2)
	v_cmp_lt_u64_e32 vcc_lo, 0xffffff, v[82:83]
	v_add_nc_u32_e32 v11, 7, v85
	v_cndmask_b32_e64 v20, 0, 1, vcc_lo
	v_cndmask_b32_e32 v11, v84, v11, vcc_lo
	s_delay_alu instid0(VALU_DEP_2)
	v_lshrrev_b64 v[82:83], v20, v[82:83]
; %bb.6562:                             ;   in Loop: Header=BB4_5789 Depth=2
	s_and_not1_saveexec_b32 s10, s10
; %bb.6563:                             ;   in Loop: Header=BB4_5789 Depth=2
	s_delay_alu instid0(VALU_DEP_1)
	v_bfe_u32 v11, v82, 23, 1
; %bb.6564:                             ;   in Loop: Header=BB4_5789 Depth=2
	s_or_b32 exec_lo, exec_lo, s10
	s_delay_alu instid0(VALU_DEP_2) | instskip(NEXT) | instid1(VALU_DEP_2)
	v_lshrrev_b64 v[20:21], 20, v[82:83]
	v_cmp_gt_i32_e32 vcc_lo, 16, v11
	v_min_i32_e32 v82, 15, v11
	v_cmp_eq_u32_e64 s10, 0, v11
	s_delay_alu instid0(VALU_DEP_2) | instskip(SKIP_1) | instid1(VALU_DEP_2)
	v_dual_cndmask_b32 v21, 0, v21 :: v_dual_lshlrev_b32 v82, 3, v82
	v_cndmask_b32_e32 v20, 7, v20, vcc_lo
	v_and_b32_e32 v82, 0xf8, v82
	s_delay_alu instid0(VALU_DEP_2) | instskip(NEXT) | instid1(VALU_DEP_2)
	v_cmp_eq_u64_e32 vcc_lo, 0, v[20:21]
	v_and_or_b32 v11, v20, 7, v82
	s_and_b32 s10, s10, vcc_lo
	s_delay_alu instid0(VALU_DEP_1) | instid1(SALU_CYCLE_1)
	v_cndmask_b32_e64 v11, v11, 0, s10
	s_delay_alu instid0(VALU_DEP_1)
	v_or_b32_e32 v84, v11, v3
.LBB4_6565:                             ;   in Loop: Header=BB4_5789 Depth=2
	s_or_b32 exec_lo, exec_lo, s42
                                        ; implicit-def: $vgpr3
.LBB4_6566:                             ;   in Loop: Header=BB4_5789 Depth=2
	s_and_not1_saveexec_b32 s10, s41
; %bb.6567:                             ;   in Loop: Header=BB4_5789 Depth=2
	v_or_b32_e32 v84, 0x7e, v3
; %bb.6568:                             ;   in Loop: Header=BB4_5789 Depth=2
	s_or_b32 exec_lo, exec_lo, s10
                                        ; implicit-def: $vgpr3
.LBB4_6569:                             ;   in Loop: Header=BB4_5789 Depth=2
	s_and_not1_saveexec_b32 s10, s11
; %bb.6570:                             ;   in Loop: Header=BB4_5789 Depth=2
	v_or_b32_e32 v84, 0x7f, v3
; %bb.6571:                             ;   in Loop: Header=BB4_5789 Depth=2
	s_or_b32 exec_lo, exec_lo, s10
	v_lshrrev_b16 v11, 8, v2
	v_mov_b32_e32 v3, 0
	s_mov_b32 s10, exec_lo
	s_delay_alu instid0(VALU_DEP_2)
	v_cmpx_ne_u16_e32 0, v11
	s_cbranch_execz .LBB4_6579
; %bb.6572:                             ;   in Loop: Header=BB4_5789 Depth=2
	v_bfrev_b32_e32 v3, 1
	s_mov_b32 s11, exec_lo
	v_cmpx_ne_u16_e32 0x80, v11
	s_cbranch_execz .LBB4_6578
; %bb.6573:                             ;   in Loop: Header=BB4_5789 Depth=2
	v_and_b32_e32 v82, 0xffff, v11
	v_mov_b32_e32 v3, 0x7f800001
	s_mov_b32 s41, exec_lo
	s_delay_alu instid0(VALU_DEP_2) | instskip(NEXT) | instid1(VALU_DEP_1)
	v_and_b32_e32 v11, 0x7f, v82
	v_cmpx_ne_u32_e32 0x7f, v11
	s_cbranch_execz .LBB4_6577
; %bb.6574:                             ;   in Loop: Header=BB4_5789 Depth=2
	v_dual_mov_b32 v83, v37 :: v_dual_bitop2_b32 v82, 7, v82 bitop3:0x40
	v_lshrrev_b32_e32 v3, 3, v11
	s_mov_b32 s42, exec_lo
	v_cmpx_gt_u32_e32 8, v11
; %bb.6575:                             ;   in Loop: Header=BB4_5789 Depth=2
	s_delay_alu instid0(VALU_DEP_3) | instskip(NEXT) | instid1(VALU_DEP_1)
	v_clz_i32_u32_e32 v3, v82
	v_min_u32_e32 v3, 32, v3
	s_delay_alu instid0(VALU_DEP_1) | instskip(NEXT) | instid1(VALU_DEP_1)
	v_subrev_nc_u32_e32 v11, 28, v3
	v_lshlrev_b64_e32 v[20:21], v11, v[82:83]
	s_delay_alu instid0(VALU_DEP_1)
	v_dual_sub_nc_u32 v3, 29, v3 :: v_dual_bitop2_b32 v82, 7, v20 bitop3:0x40
; %bb.6576:                             ;   in Loop: Header=BB4_5789 Depth=2
	s_or_b32 exec_lo, exec_lo, s42
	v_lshlrev_b32_e32 v2, 16, v2
	s_delay_alu instid0(VALU_DEP_2) | instskip(NEXT) | instid1(VALU_DEP_3)
	v_lshlrev_b32_e32 v11, 20, v82
	v_lshl_add_u32 v3, v3, 23, 0x3c000000
	s_delay_alu instid0(VALU_DEP_3) | instskip(NEXT) | instid1(VALU_DEP_1)
	v_and_b32_e32 v2, 0x80000000, v2
	v_or3_b32 v3, v11, v2, v3
.LBB4_6577:                             ;   in Loop: Header=BB4_5789 Depth=2
	s_or_b32 exec_lo, exec_lo, s41
.LBB4_6578:                             ;   in Loop: Header=BB4_5789 Depth=2
	s_delay_alu instid0(SALU_CYCLE_1)
	s_or_b32 exec_lo, exec_lo, s11
.LBB4_6579:                             ;   in Loop: Header=BB4_5789 Depth=2
	s_delay_alu instid0(SALU_CYCLE_1) | instskip(SKIP_3) | instid1(VALU_DEP_1)
	s_or_b32 exec_lo, exec_lo, s10
	v_lshrrev_b16 v2, 8, v10
	s_mov_b32 s11, 0
	s_mov_b32 s10, exec_lo
	v_cmpx_lt_i16_e32 0x7f, v2
	s_xor_b32 s10, exec_lo, s10
	s_cbranch_execnz .LBB4_6586
; %bb.6580:                             ;   in Loop: Header=BB4_5789 Depth=2
	s_or_saveexec_b32 s10, s10
	v_bfrev_b32_e32 v11, 1
	s_xor_b32 exec_lo, exec_lo, s10
	s_cbranch_execnz .LBB4_6589
.LBB4_6581:                             ;   in Loop: Header=BB4_5789 Depth=2
	s_or_b32 exec_lo, exec_lo, s10
	s_and_saveexec_b32 s10, s11
	s_cbranch_execnz .LBB4_6590
	s_branch .LBB4_6593
.LBB4_6582:                             ;   in Loop: Header=BB4_5789 Depth=2
	s_mov_b32 s10, -1
	s_mov_b32 s41, exec_lo
	v_cmpx_eq_u16_e32 0x80, v11
; %bb.6583:                             ;   in Loop: Header=BB4_5789 Depth=2
	s_xor_b32 s10, exec_lo, -1
; %bb.6584:                             ;   in Loop: Header=BB4_5789 Depth=2
	s_or_b32 exec_lo, exec_lo, s41
	s_delay_alu instid0(SALU_CYCLE_1)
	s_and_b32 s10, s10, exec_lo
                                        ; implicit-def: $vgpr11
	s_or_saveexec_b32 s11, s11
	v_bfrev_b32_e32 v82, 1
	s_xor_b32 exec_lo, exec_lo, s11
	s_cbranch_execz .LBB4_6553
.LBB4_6585:                             ;   in Loop: Header=BB4_5789 Depth=2
	v_cmp_ne_u16_e32 vcc_lo, 0, v11
	v_mov_b32_e32 v82, 0
	s_and_not1_b32 s10, s10, exec_lo
	s_and_b32 s41, vcc_lo, exec_lo
	s_delay_alu instid0(SALU_CYCLE_1)
	s_or_b32 s10, s10, s41
	s_or_b32 exec_lo, exec_lo, s11
	v_mov_b32_e32 v11, v37
	s_and_saveexec_b32 s11, s10
	s_cbranch_execnz .LBB4_6554
	s_branch .LBB4_6555
.LBB4_6586:                             ;   in Loop: Header=BB4_5789 Depth=2
	s_mov_b32 s11, -1
	s_mov_b32 s41, exec_lo
	v_cmpx_eq_u16_e32 0x80, v2
; %bb.6587:                             ;   in Loop: Header=BB4_5789 Depth=2
	s_xor_b32 s11, exec_lo, -1
; %bb.6588:                             ;   in Loop: Header=BB4_5789 Depth=2
	s_or_b32 exec_lo, exec_lo, s41
	s_delay_alu instid0(SALU_CYCLE_1)
	s_and_b32 s11, s11, exec_lo
	s_or_saveexec_b32 s10, s10
	v_bfrev_b32_e32 v11, 1
	s_xor_b32 exec_lo, exec_lo, s10
	s_cbranch_execz .LBB4_6581
.LBB4_6589:                             ;   in Loop: Header=BB4_5789 Depth=2
	v_cmp_ne_u16_e32 vcc_lo, 0, v2
	v_mov_b32_e32 v11, 0
	s_and_not1_b32 s11, s11, exec_lo
	s_and_b32 s41, vcc_lo, exec_lo
	s_delay_alu instid0(SALU_CYCLE_1)
	s_or_b32 s11, s11, s41
	s_or_b32 exec_lo, exec_lo, s10
	s_and_saveexec_b32 s10, s11
	s_cbranch_execz .LBB4_6593
.LBB4_6590:                             ;   in Loop: Header=BB4_5789 Depth=2
	v_and_b32_e32 v10, 0xffff, v2
	v_mov_b32_e32 v11, 0x7f800001
	s_mov_b32 s11, exec_lo
	s_delay_alu instid0(VALU_DEP_2) | instskip(NEXT) | instid1(VALU_DEP_1)
	v_and_b32_e32 v82, 0x7f, v10
	v_cmpx_ne_u32_e32 0x7f, v82
	s_cbranch_execz .LBB4_6592
; %bb.6591:                             ;   in Loop: Header=BB4_5789 Depth=2
	v_and_b32_e32 v20, 7, v10
	v_cmp_gt_u32_e32 vcc_lo, 8, v82
	v_lshlrev_b32_e32 v2, 24, v2
	s_delay_alu instid0(VALU_DEP_3) | instskip(NEXT) | instid1(VALU_DEP_2)
	v_clz_i32_u32_e32 v11, v20
	v_and_b32_e32 v2, 0x80000000, v2
	s_delay_alu instid0(VALU_DEP_2) | instskip(NEXT) | instid1(VALU_DEP_1)
	v_min_u32_e32 v21, 32, v11
	v_subrev_nc_u32_e32 v11, 28, v21
	v_sub_nc_u32_e32 v21, 29, v21
	s_delay_alu instid0(VALU_DEP_2) | instskip(SKIP_1) | instid1(VALU_DEP_1)
	v_lshlrev_b64_e32 v[10:11], v11, v[10:11]
	v_lshrrev_b32_e32 v11, 3, v82
	v_dual_cndmask_b32 v11, v11, v21, vcc_lo :: v_dual_bitop2_b32 v10, 7, v10 bitop3:0x40
	s_delay_alu instid0(VALU_DEP_1) | instskip(NEXT) | instid1(VALU_DEP_2)
	v_lshl_add_u32 v11, v11, 23, 0x3c000000
	v_cndmask_b32_e32 v10, v20, v10, vcc_lo
	s_delay_alu instid0(VALU_DEP_1) | instskip(NEXT) | instid1(VALU_DEP_1)
	v_lshlrev_b32_e32 v10, 20, v10
	v_or3_b32 v11, v10, v2, v11
.LBB4_6592:                             ;   in Loop: Header=BB4_5789 Depth=2
	s_or_b32 exec_lo, exec_lo, s11
.LBB4_6593:                             ;   in Loop: Header=BB4_5789 Depth=2
	s_delay_alu instid0(SALU_CYCLE_1) | instskip(NEXT) | instid1(VALU_DEP_1)
	s_or_b32 exec_lo, exec_lo, s10
	v_dual_add_f32 v10, v3, v11 :: v_dual_mov_b32 v3, v37
	s_delay_alu instid0(VALU_DEP_1) | instskip(NEXT) | instid1(VALU_DEP_1)
	v_and_b32_e32 v2, 0x7f800000, v10
	v_cmp_ne_u64_e32 vcc_lo, 0x7f800000, v[2:3]
	v_lshrrev_b32_e32 v3, 24, v10
                                        ; implicit-def: $vgpr2
	s_and_saveexec_b32 s10, vcc_lo
	s_delay_alu instid0(SALU_CYCLE_1)
	s_xor_b32 s11, exec_lo, s10
	s_cbranch_execz .LBB4_6607
; %bb.6594:                             ;   in Loop: Header=BB4_5789 Depth=2
	v_and_b32_e32 v20, 0x7fffffff, v10
	v_mov_b32_e32 v21, v37
	v_and_b32_e32 v3, 0x80, v3
                                        ; implicit-def: $vgpr2
	s_mov_b32 s10, exec_lo
	s_delay_alu instid0(VALU_DEP_2)
	v_cmpx_gt_u64_e32 0x43e00001, v[20:21]
	s_xor_b32 s41, exec_lo, s10
	s_cbranch_execz .LBB4_6604
; %bb.6595:                             ;   in Loop: Header=BB4_5789 Depth=2
	v_mov_b32_e32 v2, 0
	s_mov_b32 s42, exec_lo
	v_cmpx_ne_u32_e32 0, v10
	s_cbranch_execz .LBB4_6603
; %bb.6596:                             ;   in Loop: Header=BB4_5789 Depth=2
	v_bfe_u32 v2, v10, 23, 8
	v_and_b32_e32 v20, 0x7fffff, v10
	s_delay_alu instid0(VALU_DEP_2) | instskip(NEXT) | instid1(VALU_DEP_2)
	v_cmp_gt_u32_e32 vcc_lo, 0x7a, v2
	v_or_b32_e32 v21, 0x800000, v20
	v_sub_nc_u32_e32 v11, 0x79, v2
	s_delay_alu instid0(VALU_DEP_1) | instskip(SKIP_1) | instid1(VALU_DEP_2)
	v_cndmask_b32_e32 v11, 0, v11, vcc_lo
	v_cmp_eq_u32_e32 vcc_lo, 0, v2
	v_cndmask_b32_e64 v85, v11, 0x78, vcc_lo
	v_cndmask_b32_e32 v20, v21, v20, vcc_lo
	s_delay_alu instid0(VALU_DEP_2) | instskip(SKIP_1) | instid1(VALU_DEP_2)
	v_dual_mov_b32 v21, v37 :: v_dual_add_nc_u32 v82, 19, v85
	v_add_nc_u32_e32 v10, 20, v85
	v_lshlrev_b64_e64 v[82:83], v82, 1
	s_delay_alu instid0(VALU_DEP_2) | instskip(NEXT) | instid1(VALU_DEP_1)
	v_lshlrev_b64_e64 v[10:11], v10, -1
	v_bfi_b32 v57, v11, 0, 0
	s_delay_alu instid0(VALU_DEP_2) | instskip(SKIP_1) | instid1(VALU_DEP_2)
	v_bfi_b32 v56, v10, 0, v20
	v_lshrrev_b64 v[10:11], v85, v[20:21]
	v_cmp_eq_u64_e64 s10, v[56:57], v[82:83]
	s_delay_alu instid0(VALU_DEP_2)
	v_mov_b64_e32 v[82:83], v[10:11]
	s_and_saveexec_b32 s43, s10
; %bb.6597:                             ;   in Loop: Header=BB4_5789 Depth=2
	v_bfe_u32 v20, v10, 20, 1
	v_mov_b32_e32 v21, v37
	s_delay_alu instid0(VALU_DEP_1) | instskip(NEXT) | instid1(VALU_DEP_1)
	v_add_nc_u64_e32 v[20:21], v[10:11], v[20:21]
	v_add_nc_u64_e32 v[82:83], -1, v[20:21]
; %bb.6598:                             ;   in Loop: Header=BB4_5789 Depth=2
	s_or_b32 exec_lo, exec_lo, s43
	v_add_nc_u32_e32 v2, 0xffffff81, v2
	v_lshrrev_b32_e32 v11, 23, v10
	s_mov_b32 s10, exec_lo
	s_delay_alu instid0(VALU_DEP_2) | instskip(NEXT) | instid1(VALU_DEP_1)
	v_cndmask_b32_e64 v2, v2, 0xffffff82, vcc_lo
	v_add3_u32 v83, v85, v2, v11
	v_and_b32_e32 v2, 0xfffff, v82
	s_delay_alu instid0(VALU_DEP_2) | instskip(NEXT) | instid1(VALU_DEP_2)
	v_dual_mov_b32 v11, v37 :: v_dual_add_nc_u32 v82, 6, v83
	v_add_nc_u32_e32 v10, v2, v10
                                        ; implicit-def: $vgpr2
	s_delay_alu instid0(VALU_DEP_2)
	v_cmpx_ne_u32_e32 0, v82
	s_xor_b32 s10, exec_lo, s10
; %bb.6599:                             ;   in Loop: Header=BB4_5789 Depth=2
	s_delay_alu instid0(VALU_DEP_2) | instskip(SKIP_2) | instid1(VALU_DEP_2)
	v_cmp_lt_u64_e32 vcc_lo, 0xffffff, v[10:11]
	v_add_nc_u32_e32 v2, 7, v83
	v_cndmask_b32_e64 v20, 0, 1, vcc_lo
	v_cndmask_b32_e32 v2, v82, v2, vcc_lo
	s_delay_alu instid0(VALU_DEP_2)
	v_lshrrev_b64 v[10:11], v20, v[10:11]
; %bb.6600:                             ;   in Loop: Header=BB4_5789 Depth=2
	s_and_not1_saveexec_b32 s10, s10
; %bb.6601:                             ;   in Loop: Header=BB4_5789 Depth=2
	s_delay_alu instid0(VALU_DEP_1)
	v_bfe_u32 v2, v10, 23, 1
; %bb.6602:                             ;   in Loop: Header=BB4_5789 Depth=2
	s_or_b32 exec_lo, exec_lo, s10
	s_delay_alu instid0(VALU_DEP_2) | instskip(NEXT) | instid1(VALU_DEP_2)
	v_lshrrev_b64 v[10:11], 20, v[10:11]
	v_cmp_gt_i32_e32 vcc_lo, 16, v2
	v_min_i32_e32 v20, 15, v2
	v_cmp_eq_u32_e64 s10, 0, v2
	s_delay_alu instid0(VALU_DEP_2) | instskip(SKIP_1) | instid1(VALU_DEP_2)
	v_dual_cndmask_b32 v11, 0, v11 :: v_dual_lshlrev_b32 v20, 3, v20
	v_cndmask_b32_e32 v10, 7, v10, vcc_lo
	v_and_b32_e32 v20, 0xf8, v20
	s_delay_alu instid0(VALU_DEP_2) | instskip(NEXT) | instid1(VALU_DEP_2)
	v_cmp_eq_u64_e32 vcc_lo, 0, v[10:11]
	v_and_or_b32 v2, v10, 7, v20
	s_and_b32 s10, s10, vcc_lo
	s_delay_alu instid0(VALU_DEP_1) | instid1(SALU_CYCLE_1)
	v_cndmask_b32_e64 v2, v2, 0, s10
	s_delay_alu instid0(VALU_DEP_1)
	v_or_b32_e32 v2, v2, v3
.LBB4_6603:                             ;   in Loop: Header=BB4_5789 Depth=2
	s_or_b32 exec_lo, exec_lo, s42
                                        ; implicit-def: $vgpr3
.LBB4_6604:                             ;   in Loop: Header=BB4_5789 Depth=2
	s_and_not1_saveexec_b32 s10, s41
; %bb.6605:                             ;   in Loop: Header=BB4_5789 Depth=2
	v_or_b32_e32 v2, 0x7e, v3
; %bb.6606:                             ;   in Loop: Header=BB4_5789 Depth=2
	s_or_b32 exec_lo, exec_lo, s10
                                        ; implicit-def: $vgpr3
.LBB4_6607:                             ;   in Loop: Header=BB4_5789 Depth=2
	s_and_not1_saveexec_b32 s10, s11
; %bb.6608:                             ;   in Loop: Header=BB4_5789 Depth=2
	v_or_b32_e32 v2, 0x7f, v3
; %bb.6609:                             ;   in Loop: Header=BB4_5789 Depth=2
	s_or_b32 exec_lo, exec_lo, s10
	v_dual_mov_b32 v3, 0 :: v_dual_lshrrev_b32 v82, 16, v36
	s_mov_b32 s10, exec_lo
	s_delay_alu instid0(VALU_DEP_1) | instskip(NEXT) | instid1(VALU_DEP_1)
	v_and_b32_e32 v10, 0xff, v82
	v_cmpx_ne_u16_e32 0, v10
	s_cbranch_execz .LBB4_6617
; %bb.6610:                             ;   in Loop: Header=BB4_5789 Depth=2
	v_bfrev_b32_e32 v3, 1
	s_mov_b32 s11, exec_lo
	v_cmpx_ne_u16_e32 0x80, v10
	s_cbranch_execz .LBB4_6616
; %bb.6611:                             ;   in Loop: Header=BB4_5789 Depth=2
	v_bfe_u32 v83, v36, 16, 7
	v_mov_b32_e32 v3, 0x7f800001
	s_mov_b32 s41, exec_lo
	s_delay_alu instid0(VALU_DEP_2)
	v_cmpx_ne_u32_e32 0x7f, v83
	s_cbranch_execz .LBB4_6615
; %bb.6612:                             ;   in Loop: Header=BB4_5789 Depth=2
	v_dual_mov_b32 v11, v37 :: v_dual_bitop2_b32 v10, 7, v82 bitop3:0x40
	v_lshrrev_b32_e32 v3, 3, v83
	s_mov_b32 s42, exec_lo
	v_cmpx_gt_u32_e32 8, v83
; %bb.6613:                             ;   in Loop: Header=BB4_5789 Depth=2
	s_delay_alu instid0(VALU_DEP_3) | instskip(NEXT) | instid1(VALU_DEP_1)
	v_clz_i32_u32_e32 v3, v10
	v_min_u32_e32 v3, 32, v3
	s_delay_alu instid0(VALU_DEP_1) | instskip(NEXT) | instid1(VALU_DEP_1)
	v_subrev_nc_u32_e32 v20, 28, v3
	v_lshlrev_b64_e32 v[10:11], v20, v[10:11]
	s_delay_alu instid0(VALU_DEP_1)
	v_dual_sub_nc_u32 v3, 29, v3 :: v_dual_bitop2_b32 v10, 7, v10 bitop3:0x40
; %bb.6614:                             ;   in Loop: Header=BB4_5789 Depth=2
	s_or_b32 exec_lo, exec_lo, s42
	v_lshlrev_b32_e32 v11, 24, v82
	s_delay_alu instid0(VALU_DEP_2) | instskip(NEXT) | instid1(VALU_DEP_3)
	v_lshlrev_b32_e32 v10, 20, v10
	v_lshl_add_u32 v3, v3, 23, 0x3c000000
	s_delay_alu instid0(VALU_DEP_3) | instskip(NEXT) | instid1(VALU_DEP_1)
	v_and_b32_e32 v11, 0x80000000, v11
	v_or3_b32 v3, v10, v11, v3
.LBB4_6615:                             ;   in Loop: Header=BB4_5789 Depth=2
	s_or_b32 exec_lo, exec_lo, s41
.LBB4_6616:                             ;   in Loop: Header=BB4_5789 Depth=2
	s_delay_alu instid0(SALU_CYCLE_1)
	s_or_b32 exec_lo, exec_lo, s11
.LBB4_6617:                             ;   in Loop: Header=BB4_5789 Depth=2
	s_delay_alu instid0(SALU_CYCLE_1) | instskip(SKIP_3) | instid1(VALU_DEP_1)
	s_or_b32 exec_lo, exec_lo, s10
	v_lshrrev_b32_e32 v10, 16, v13
	s_mov_b32 s11, 0
	s_mov_b32 s10, exec_lo
	v_and_b32_e32 v82, 0xff, v10
	s_delay_alu instid0(VALU_DEP_1)
	v_cmpx_lt_i16_e32 0x7f, v82
	s_xor_b32 s10, exec_lo, s10
	s_cbranch_execnz .LBB4_6620
; %bb.6618:                             ;   in Loop: Header=BB4_5789 Depth=2
	s_or_saveexec_b32 s10, s10
	v_bfrev_b32_e32 v11, 1
	s_xor_b32 exec_lo, exec_lo, s10
	s_cbranch_execnz .LBB4_6623
.LBB4_6619:                             ;   in Loop: Header=BB4_5789 Depth=2
	s_or_b32 exec_lo, exec_lo, s10
	s_and_saveexec_b32 s10, s11
	s_cbranch_execnz .LBB4_6624
	s_branch .LBB4_6627
.LBB4_6620:                             ;   in Loop: Header=BB4_5789 Depth=2
	s_mov_b32 s11, -1
	s_mov_b32 s41, exec_lo
	v_cmpx_eq_u16_e32 0x80, v82
; %bb.6621:                             ;   in Loop: Header=BB4_5789 Depth=2
	s_xor_b32 s11, exec_lo, -1
; %bb.6622:                             ;   in Loop: Header=BB4_5789 Depth=2
	s_or_b32 exec_lo, exec_lo, s41
	s_delay_alu instid0(SALU_CYCLE_1)
	s_and_b32 s11, s11, exec_lo
                                        ; implicit-def: $vgpr82
	s_or_saveexec_b32 s10, s10
	v_bfrev_b32_e32 v11, 1
	s_xor_b32 exec_lo, exec_lo, s10
	s_cbranch_execz .LBB4_6619
.LBB4_6623:                             ;   in Loop: Header=BB4_5789 Depth=2
	v_cmp_ne_u16_e32 vcc_lo, 0, v82
	v_mov_b32_e32 v11, 0
	s_and_not1_b32 s11, s11, exec_lo
	s_and_b32 s41, vcc_lo, exec_lo
	s_delay_alu instid0(SALU_CYCLE_1)
	s_or_b32 s11, s11, s41
	s_or_b32 exec_lo, exec_lo, s10
	s_and_saveexec_b32 s10, s11
	s_cbranch_execz .LBB4_6627
.LBB4_6624:                             ;   in Loop: Header=BB4_5789 Depth=2
	v_and_b32_e32 v82, 0x7f, v10
	v_mov_b32_e32 v11, 0x7f800001
	s_mov_b32 s11, exec_lo
	s_delay_alu instid0(VALU_DEP_2)
	v_cmpx_ne_u32_e32 0x7f, v82
	s_cbranch_execz .LBB4_6626
; %bb.6625:                             ;   in Loop: Header=BB4_5789 Depth=2
	v_and_b32_e32 v11, 7, v10
	v_cmp_gt_u32_e32 vcc_lo, 8, v82
	s_delay_alu instid0(VALU_DEP_2) | instskip(NEXT) | instid1(VALU_DEP_1)
	v_clz_i32_u32_e32 v20, v11
	v_min_u32_e32 v83, 32, v20
	s_delay_alu instid0(VALU_DEP_1) | instskip(SKIP_1) | instid1(VALU_DEP_2)
	v_subrev_nc_u32_e32 v20, 28, v83
	v_sub_nc_u32_e32 v83, 29, v83
	v_lshlrev_b64_e32 v[20:21], v20, v[10:11]
	s_delay_alu instid0(VALU_DEP_1) | instskip(NEXT) | instid1(VALU_DEP_1)
	v_dual_lshrrev_b32 v21, 3, v82 :: v_dual_bitop2_b32 v20, 7, v20 bitop3:0x40
	v_dual_cndmask_b32 v21, v21, v83 :: v_dual_lshlrev_b32 v10, 24, v10
	s_delay_alu instid0(VALU_DEP_2) | instskip(NEXT) | instid1(VALU_DEP_2)
	v_cndmask_b32_e32 v11, v11, v20, vcc_lo
	v_and_b32_e32 v10, 0x80000000, v10
	s_delay_alu instid0(VALU_DEP_3) | instskip(NEXT) | instid1(VALU_DEP_3)
	v_lshl_add_u32 v20, v21, 23, 0x3c000000
	v_lshlrev_b32_e32 v11, 20, v11
	s_delay_alu instid0(VALU_DEP_1)
	v_or3_b32 v11, v11, v10, v20
.LBB4_6626:                             ;   in Loop: Header=BB4_5789 Depth=2
	s_or_b32 exec_lo, exec_lo, s11
.LBB4_6627:                             ;   in Loop: Header=BB4_5789 Depth=2
	s_delay_alu instid0(SALU_CYCLE_1) | instskip(NEXT) | instid1(VALU_DEP_1)
	s_or_b32 exec_lo, exec_lo, s10
	v_dual_add_f32 v10, v3, v11 :: v_dual_mov_b32 v21, v37
                                        ; implicit-def: $vgpr3
	s_mov_b32 s10, exec_lo
	s_delay_alu instid0(VALU_DEP_1) | instskip(SKIP_1) | instid1(VALU_DEP_2)
	v_and_b32_e32 v20, 0x7f800000, v10
	v_lshrrev_b32_e32 v11, 24, v10
	v_cmpx_ne_u64_e32 0x7f800000, v[20:21]
	s_xor_b32 s11, exec_lo, s10
	s_cbranch_execz .LBB4_6641
; %bb.6628:                             ;   in Loop: Header=BB4_5789 Depth=2
	v_and_b32_e32 v20, 0x7fffffff, v10
	v_mov_b32_e32 v21, v37
	v_and_b32_e32 v85, 0x80, v11
                                        ; implicit-def: $vgpr3
	s_mov_b32 s10, exec_lo
	s_delay_alu instid0(VALU_DEP_2)
	v_cmpx_gt_u64_e32 0x43e00001, v[20:21]
	s_xor_b32 s41, exec_lo, s10
	s_cbranch_execz .LBB4_6638
; %bb.6629:                             ;   in Loop: Header=BB4_5789 Depth=2
	v_mov_b32_e32 v3, 0
	s_mov_b32 s42, exec_lo
	v_cmpx_ne_u32_e32 0, v10
	s_cbranch_execz .LBB4_6637
; %bb.6630:                             ;   in Loop: Header=BB4_5789 Depth=2
	v_bfe_u32 v3, v10, 23, 8
	v_and_b32_e32 v20, 0x7fffff, v10
	s_delay_alu instid0(VALU_DEP_2) | instskip(NEXT) | instid1(VALU_DEP_2)
	v_cmp_gt_u32_e32 vcc_lo, 0x7a, v3
	v_or_b32_e32 v21, 0x800000, v20
	v_sub_nc_u32_e32 v11, 0x79, v3
	s_delay_alu instid0(VALU_DEP_1) | instskip(SKIP_1) | instid1(VALU_DEP_2)
	v_cndmask_b32_e32 v11, 0, v11, vcc_lo
	v_cmp_eq_u32_e32 vcc_lo, 0, v3
	v_cndmask_b32_e64 v113, v11, 0x78, vcc_lo
	v_cndmask_b32_e32 v20, v21, v20, vcc_lo
	s_delay_alu instid0(VALU_DEP_2) | instskip(SKIP_1) | instid1(VALU_DEP_2)
	v_dual_mov_b32 v21, v37 :: v_dual_add_nc_u32 v82, 19, v113
	v_add_nc_u32_e32 v10, 20, v113
	v_lshlrev_b64_e64 v[82:83], v82, 1
	s_delay_alu instid0(VALU_DEP_2) | instskip(NEXT) | instid1(VALU_DEP_1)
	v_lshlrev_b64_e64 v[10:11], v10, -1
	v_bfi_b32 v57, v11, 0, 0
	s_delay_alu instid0(VALU_DEP_2) | instskip(SKIP_1) | instid1(VALU_DEP_2)
	v_bfi_b32 v56, v10, 0, v20
	v_lshrrev_b64 v[10:11], v113, v[20:21]
	v_cmp_eq_u64_e64 s10, v[56:57], v[82:83]
	s_delay_alu instid0(VALU_DEP_2)
	v_mov_b64_e32 v[82:83], v[10:11]
	s_and_saveexec_b32 s43, s10
; %bb.6631:                             ;   in Loop: Header=BB4_5789 Depth=2
	v_bfe_u32 v20, v10, 20, 1
	v_mov_b32_e32 v21, v37
	s_delay_alu instid0(VALU_DEP_1) | instskip(NEXT) | instid1(VALU_DEP_1)
	v_add_nc_u64_e32 v[20:21], v[10:11], v[20:21]
	v_add_nc_u64_e32 v[82:83], -1, v[20:21]
; %bb.6632:                             ;   in Loop: Header=BB4_5789 Depth=2
	s_or_b32 exec_lo, exec_lo, s43
	v_add_nc_u32_e32 v3, 0xffffff81, v3
	v_lshrrev_b32_e32 v11, 23, v10
	s_mov_b32 s10, exec_lo
	s_delay_alu instid0(VALU_DEP_2) | instskip(NEXT) | instid1(VALU_DEP_1)
	v_cndmask_b32_e64 v3, v3, 0xffffff82, vcc_lo
	v_add3_u32 v83, v113, v3, v11
	v_and_b32_e32 v3, 0xfffff, v82
	s_delay_alu instid0(VALU_DEP_2) | instskip(NEXT) | instid1(VALU_DEP_2)
	v_dual_mov_b32 v11, v37 :: v_dual_add_nc_u32 v82, 6, v83
	v_add_nc_u32_e32 v10, v3, v10
                                        ; implicit-def: $vgpr3
	s_delay_alu instid0(VALU_DEP_2)
	v_cmpx_ne_u32_e32 0, v82
	s_xor_b32 s10, exec_lo, s10
; %bb.6633:                             ;   in Loop: Header=BB4_5789 Depth=2
	s_delay_alu instid0(VALU_DEP_2) | instskip(SKIP_2) | instid1(VALU_DEP_2)
	v_cmp_lt_u64_e32 vcc_lo, 0xffffff, v[10:11]
	v_add_nc_u32_e32 v3, 7, v83
	v_cndmask_b32_e64 v20, 0, 1, vcc_lo
	v_cndmask_b32_e32 v3, v82, v3, vcc_lo
	s_delay_alu instid0(VALU_DEP_2)
	v_lshrrev_b64 v[10:11], v20, v[10:11]
; %bb.6634:                             ;   in Loop: Header=BB4_5789 Depth=2
	s_and_not1_saveexec_b32 s10, s10
; %bb.6635:                             ;   in Loop: Header=BB4_5789 Depth=2
	s_delay_alu instid0(VALU_DEP_1)
	v_bfe_u32 v3, v10, 23, 1
; %bb.6636:                             ;   in Loop: Header=BB4_5789 Depth=2
	s_or_b32 exec_lo, exec_lo, s10
	s_delay_alu instid0(VALU_DEP_2) | instskip(NEXT) | instid1(VALU_DEP_2)
	v_lshrrev_b64 v[10:11], 20, v[10:11]
	v_cmp_gt_i32_e32 vcc_lo, 16, v3
	v_min_i32_e32 v20, 15, v3
	v_cmp_eq_u32_e64 s10, 0, v3
	s_delay_alu instid0(VALU_DEP_2) | instskip(SKIP_1) | instid1(VALU_DEP_2)
	v_dual_cndmask_b32 v10, 7, v10, vcc_lo :: v_dual_lshlrev_b32 v20, 3, v20
	v_cndmask_b32_e32 v11, 0, v11, vcc_lo
	v_and_b32_e32 v20, 0xf8, v20
	s_delay_alu instid0(VALU_DEP_2) | instskip(NEXT) | instid1(VALU_DEP_2)
	v_cmp_eq_u64_e32 vcc_lo, 0, v[10:11]
	v_and_or_b32 v3, v10, 7, v20
	s_and_b32 s10, s10, vcc_lo
	s_delay_alu instid0(VALU_DEP_1) | instid1(SALU_CYCLE_1)
	v_cndmask_b32_e64 v3, v3, 0, s10
	s_delay_alu instid0(VALU_DEP_1)
	v_or_b32_e32 v3, v3, v85
.LBB4_6637:                             ;   in Loop: Header=BB4_5789 Depth=2
	s_or_b32 exec_lo, exec_lo, s42
                                        ; implicit-def: $vgpr85
.LBB4_6638:                             ;   in Loop: Header=BB4_5789 Depth=2
	s_and_not1_saveexec_b32 s10, s41
; %bb.6639:                             ;   in Loop: Header=BB4_5789 Depth=2
	v_or_b32_e32 v3, 0x7e, v85
; %bb.6640:                             ;   in Loop: Header=BB4_5789 Depth=2
	s_or_b32 exec_lo, exec_lo, s10
                                        ; implicit-def: $vgpr11
.LBB4_6641:                             ;   in Loop: Header=BB4_5789 Depth=2
	s_and_not1_saveexec_b32 s10, s11
; %bb.6642:                             ;   in Loop: Header=BB4_5789 Depth=2
	v_or_b32_e32 v3, 0x7f, v11
; %bb.6643:                             ;   in Loop: Header=BB4_5789 Depth=2
	s_or_b32 exec_lo, exec_lo, s10
	v_mov_b32_e32 v11, 0
	s_mov_b32 s10, exec_lo
	v_cmpx_lt_u32_e32 0xffffff, v36
	s_cbranch_execz .LBB4_6651
; %bb.6644:                             ;   in Loop: Header=BB4_5789 Depth=2
	v_lshrrev_b32_e32 v82, 24, v36
	v_bfrev_b32_e32 v11, 1
	s_mov_b32 s11, exec_lo
	s_delay_alu instid0(VALU_DEP_2)
	v_cmpx_ne_u32_e32 0x80, v82
	s_cbranch_execz .LBB4_6650
; %bb.6645:                             ;   in Loop: Header=BB4_5789 Depth=2
	v_bfe_u32 v10, v36, 24, 7
	v_mov_b32_e32 v11, 0x7f800001
	s_mov_b32 s41, exec_lo
	s_delay_alu instid0(VALU_DEP_2)
	v_cmpx_ne_u32_e32 0x7f, v10
	s_cbranch_execz .LBB4_6649
; %bb.6646:                             ;   in Loop: Header=BB4_5789 Depth=2
	v_and_b32_e32 v36, 7, v82
	v_lshrrev_b32_e32 v83, 3, v10
	v_cmp_gt_u32_e32 vcc_lo, 8, v10
	s_delay_alu instid0(VALU_DEP_3)
	v_mov_b64_e32 v[10:11], v[36:37]
	s_and_saveexec_b32 s42, vcc_lo
; %bb.6647:                             ;   in Loop: Header=BB4_5789 Depth=2
	v_clz_i32_u32_e32 v10, v36
	s_delay_alu instid0(VALU_DEP_1) | instskip(NEXT) | instid1(VALU_DEP_1)
	v_min_u32_e32 v20, 32, v10
	v_subrev_nc_u32_e32 v10, 28, v20
	s_delay_alu instid0(VALU_DEP_1) | instskip(NEXT) | instid1(VALU_DEP_1)
	v_lshlrev_b64_e32 v[10:11], v10, v[36:37]
	v_dual_sub_nc_u32 v83, 29, v20 :: v_dual_bitop2_b32 v10, 7, v10 bitop3:0x40
; %bb.6648:                             ;   in Loop: Header=BB4_5789 Depth=2
	s_or_b32 exec_lo, exec_lo, s42
	v_lshlrev_b32_e32 v11, 24, v82
	s_delay_alu instid0(VALU_DEP_2) | instskip(NEXT) | instid1(VALU_DEP_3)
	v_lshlrev_b32_e32 v10, 20, v10
	v_lshl_add_u32 v20, v83, 23, 0x3c000000
	s_delay_alu instid0(VALU_DEP_3) | instskip(NEXT) | instid1(VALU_DEP_1)
	v_and_b32_e32 v11, 0x80000000, v11
	v_or3_b32 v11, v10, v11, v20
.LBB4_6649:                             ;   in Loop: Header=BB4_5789 Depth=2
	s_or_b32 exec_lo, exec_lo, s41
.LBB4_6650:                             ;   in Loop: Header=BB4_5789 Depth=2
	s_delay_alu instid0(SALU_CYCLE_1)
	s_or_b32 exec_lo, exec_lo, s11
.LBB4_6651:                             ;   in Loop: Header=BB4_5789 Depth=2
	s_delay_alu instid0(SALU_CYCLE_1) | instskip(SKIP_3) | instid1(VALU_DEP_3)
	s_or_b32 exec_lo, exec_lo, s10
	v_lshrrev_b32_e32 v10, 24, v13
	v_bfe_u32 v36, v13, 24, 7
	v_cmp_gt_u64_e64 s11, s[14:15], v[12:13]
	v_cmp_eq_u32_e64 s10, 0x80, v10
	s_delay_alu instid0(VALU_DEP_3) | instskip(NEXT) | instid1(VALU_DEP_2)
	v_cmp_eq_u32_e32 vcc_lo, 0x7f, v36
	v_cndmask_b32_e64 v20, 0x7f800001, v101, s10
	s_or_b32 s10, s10, vcc_lo
	s_delay_alu instid0(VALU_DEP_1) | instskip(SKIP_1) | instid1(SALU_CYCLE_1)
	v_cndmask_b32_e64 v12, v20, 0, s11
	s_nor_b32 s11, s11, s10
	s_and_saveexec_b32 s10, s11
	s_cbranch_execz .LBB4_6653
; %bb.6652:                             ;   in Loop: Header=BB4_5789 Depth=2
	v_and_b32_e32 v20, 7, v10
	v_cmp_gt_u32_e32 vcc_lo, 8, v36
	s_delay_alu instid0(VALU_DEP_2) | instskip(NEXT) | instid1(VALU_DEP_1)
	v_clz_i32_u32_e32 v12, v20
	v_min_u32_e32 v21, 32, v12
	s_delay_alu instid0(VALU_DEP_1) | instskip(NEXT) | instid1(VALU_DEP_1)
	v_subrev_nc_u32_e32 v12, 28, v21
	v_lshlrev_b64_e32 v[12:13], v12, v[10:11]
	v_dual_lshrrev_b32 v13, 3, v36 :: v_dual_sub_nc_u32 v21, 29, v21
	s_delay_alu instid0(VALU_DEP_2) | instskip(NEXT) | instid1(VALU_DEP_1)
	v_dual_lshlrev_b32 v10, 24, v10 :: v_dual_bitop2_b32 v12, 7, v12 bitop3:0x40
	v_dual_cndmask_b32 v13, v13, v21 :: v_dual_cndmask_b32 v12, v20, v12
	s_delay_alu instid0(VALU_DEP_2) | instskip(NEXT) | instid1(VALU_DEP_2)
	v_and_b32_e32 v10, 0x80000000, v10
	v_lshl_add_u32 v13, v13, 23, 0x3c000000
	s_delay_alu instid0(VALU_DEP_3) | instskip(NEXT) | instid1(VALU_DEP_1)
	v_lshlrev_b32_e32 v12, 20, v12
	v_or3_b32 v12, v12, v10, v13
.LBB4_6653:                             ;   in Loop: Header=BB4_5789 Depth=2
	s_or_b32 exec_lo, exec_lo, s10
	s_delay_alu instid0(VALU_DEP_1) | instskip(SKIP_1) | instid1(VALU_DEP_1)
	v_add_f32_e32 v11, v11, v12
                                        ; implicit-def: $vgpr10
	s_mov_b32 s10, exec_lo
	v_and_b32_e32 v36, 0x7f800000, v11
	v_lshrrev_b32_e32 v12, 24, v11
	s_delay_alu instid0(VALU_DEP_2)
	v_cmpx_ne_u64_e32 0x7f800000, v[36:37]
	s_xor_b32 s11, exec_lo, s10
	s_cbranch_execz .LBB4_6667
; %bb.6654:                             ;   in Loop: Header=BB4_5789 Depth=2
	v_and_b32_e32 v36, 0x7fffffff, v11
	v_and_b32_e32 v82, 0x80, v12
                                        ; implicit-def: $vgpr10
	s_mov_b32 s10, exec_lo
	s_delay_alu instid0(VALU_DEP_2)
	v_cmpx_gt_u64_e32 0x43e00001, v[36:37]
	s_xor_b32 s41, exec_lo, s10
	s_cbranch_execz .LBB4_6664
; %bb.6655:                             ;   in Loop: Header=BB4_5789 Depth=2
	v_mov_b32_e32 v10, 0
	s_mov_b32 s42, exec_lo
	v_cmpx_ne_u32_e32 0, v11
	s_cbranch_execz .LBB4_6663
; %bb.6656:                             ;   in Loop: Header=BB4_5789 Depth=2
	v_bfe_u32 v83, v11, 23, 8
	v_and_b32_e32 v12, 0x7fffff, v11
	s_delay_alu instid0(VALU_DEP_2) | instskip(SKIP_1) | instid1(VALU_DEP_3)
	v_sub_nc_u32_e32 v10, 0x79, v83
	v_cmp_gt_u32_e32 vcc_lo, 0x7a, v83
	v_or_b32_e32 v13, 0x800000, v12
	s_delay_alu instid0(VALU_DEP_3) | instskip(SKIP_1) | instid1(VALU_DEP_2)
	v_cndmask_b32_e32 v10, 0, v10, vcc_lo
	v_cmp_eq_u32_e32 vcc_lo, 0, v83
	v_cndmask_b32_e64 v85, v10, 0x78, vcc_lo
	s_delay_alu instid0(VALU_DEP_1) | instskip(SKIP_1) | instid1(VALU_DEP_2)
	v_dual_cndmask_b32 v36, v13, v12, vcc_lo :: v_dual_add_nc_u32 v10, 20, v85
	v_add_nc_u32_e32 v20, 19, v85
	v_lshlrev_b64_e64 v[10:11], v10, -1
	s_delay_alu instid0(VALU_DEP_2) | instskip(NEXT) | instid1(VALU_DEP_2)
	v_lshlrev_b64_e64 v[12:13], v20, 1
	v_bfi_b32 v21, v11, 0, 0
	s_delay_alu instid0(VALU_DEP_3) | instskip(SKIP_1) | instid1(VALU_DEP_2)
	v_bfi_b32 v20, v10, 0, v36
	v_lshrrev_b64 v[10:11], v85, v[36:37]
	v_cmp_eq_u64_e64 s10, v[20:21], v[12:13]
	s_delay_alu instid0(VALU_DEP_2)
	v_mov_b64_e32 v[12:13], v[10:11]
	s_and_saveexec_b32 s43, s10
; %bb.6657:                             ;   in Loop: Header=BB4_5789 Depth=2
	v_bfe_u32 v36, v10, 20, 1
	s_delay_alu instid0(VALU_DEP_1) | instskip(NEXT) | instid1(VALU_DEP_1)
	v_add_nc_u64_e32 v[12:13], v[10:11], v[36:37]
	v_add_nc_u64_e32 v[12:13], -1, v[12:13]
; %bb.6658:                             ;   in Loop: Header=BB4_5789 Depth=2
	s_or_b32 exec_lo, exec_lo, s43
	v_add_nc_u32_e32 v11, 0xffffff81, v83
	v_lshrrev_b32_e32 v13, 23, v10
	s_mov_b32 s10, exec_lo
	s_delay_alu instid0(VALU_DEP_2) | instskip(NEXT) | instid1(VALU_DEP_1)
	v_cndmask_b32_e64 v11, v11, 0xffffff82, vcc_lo
	v_add3_u32 v13, v85, v11, v13
	v_and_b32_e32 v11, 0xfffff, v12
                                        ; implicit-def: $vgpr12
	s_delay_alu instid0(VALU_DEP_1) | instskip(NEXT) | instid1(VALU_DEP_1)
	v_dual_add_nc_u32 v83, 6, v13 :: v_dual_add_nc_u32 v36, v11, v10
                                        ; implicit-def: $vgpr10_vgpr11
	v_cmpx_ne_u32_e32 0, v83
	s_xor_b32 s10, exec_lo, s10
; %bb.6659:                             ;   in Loop: Header=BB4_5789 Depth=2
	s_delay_alu instid0(VALU_DEP_2) | instskip(SKIP_1) | instid1(VALU_DEP_1)
	v_cmp_lt_u64_e32 vcc_lo, 0xffffff, v[36:37]
	v_add_nc_u32_e32 v10, 7, v13
	v_cndmask_b32_e32 v12, v83, v10, vcc_lo
	v_cndmask_b32_e64 v10, 0, 1, vcc_lo
	s_delay_alu instid0(VALU_DEP_1)
	v_lshrrev_b64 v[10:11], v10, v[36:37]
; %bb.6660:                             ;   in Loop: Header=BB4_5789 Depth=2
	s_and_not1_saveexec_b32 s10, s10
; %bb.6661:                             ;   in Loop: Header=BB4_5789 Depth=2
	v_mov_b64_e32 v[10:11], v[36:37]
	v_bfe_u32 v12, v36, 23, 1
; %bb.6662:                             ;   in Loop: Header=BB4_5789 Depth=2
	s_or_b32 exec_lo, exec_lo, s10
	s_delay_alu instid0(VALU_DEP_2) | instskip(NEXT) | instid1(VALU_DEP_2)
	v_lshrrev_b64 v[10:11], 20, v[10:11]
	v_cmp_gt_i32_e32 vcc_lo, 16, v12
	v_min_i32_e32 v13, 15, v12
	v_cmp_eq_u32_e64 s10, 0, v12
	s_delay_alu instid0(VALU_DEP_2) | instskip(SKIP_1) | instid1(VALU_DEP_2)
	v_dual_cndmask_b32 v11, 0, v11, vcc_lo :: v_dual_lshlrev_b32 v13, 3, v13
	v_cndmask_b32_e32 v10, 7, v10, vcc_lo
	v_and_b32_e32 v13, 0xf8, v13
	s_delay_alu instid0(VALU_DEP_2) | instskip(NEXT) | instid1(VALU_DEP_2)
	v_cmp_eq_u64_e32 vcc_lo, 0, v[10:11]
	v_and_or_b32 v10, v10, 7, v13
	s_and_b32 s10, s10, vcc_lo
	s_delay_alu instid0(VALU_DEP_1) | instid1(SALU_CYCLE_1)
	v_cndmask_b32_e64 v10, v10, 0, s10
	s_delay_alu instid0(VALU_DEP_1)
	v_or_b32_e32 v10, v10, v82
.LBB4_6663:                             ;   in Loop: Header=BB4_5789 Depth=2
	s_or_b32 exec_lo, exec_lo, s42
                                        ; implicit-def: $vgpr82
.LBB4_6664:                             ;   in Loop: Header=BB4_5789 Depth=2
	s_and_not1_saveexec_b32 s10, s41
; %bb.6665:                             ;   in Loop: Header=BB4_5789 Depth=2
	v_or_b32_e32 v10, 0x7e, v82
; %bb.6666:                             ;   in Loop: Header=BB4_5789 Depth=2
	s_or_b32 exec_lo, exec_lo, s10
                                        ; implicit-def: $vgpr12
.LBB4_6667:                             ;   in Loop: Header=BB4_5789 Depth=2
	s_and_not1_saveexec_b32 s10, s11
	s_cbranch_execz .LBB4_5788
; %bb.6668:                             ;   in Loop: Header=BB4_5789 Depth=2
	v_or_b32_e32 v10, 0x7f, v12
	s_branch .LBB4_5788
.LBB4_6669:                             ;   in Loop: Header=BB4_3957 Depth=1
	s_or_b32 exec_lo, exec_lo, s28
.LBB4_6670:                             ;   in Loop: Header=BB4_3957 Depth=1
	s_delay_alu instid0(SALU_CYCLE_1) | instskip(NEXT) | instid1(VALU_DEP_2)
	s_or_b32 exec_lo, exec_lo, s27
	v_cmp_lt_i32_e32 vcc_lo, 0, v103
	v_and_b32_e32 v3, 0x1f0, v102
	v_cndmask_b32_e32 v10, 0, v38, vcc_lo
	v_and_b32_e32 v2, 15, v102
	s_delay_alu instid0(VALU_DEP_1) | instskip(NEXT) | instid1(VALU_DEP_3)
	v_dual_cndmask_b32 v81, v97, v2, s7 :: v_dual_cndmask_b32 v2, 0, v3, s7
	v_sub_nc_u32_e32 v3, v10, v103
	s_delay_alu instid0(VALU_DEP_2) | instskip(NEXT) | instid1(VALU_DEP_3)
	v_cmp_ne_u32_e32 vcc_lo, 0, v81
	v_and_or_b32 v80, 0x3ffffe00, v102, v2
	s_delay_alu instid0(VALU_DEP_3)
	v_lshl_add_u32 v82, v3, 5, v96
	s_and_b32 s7, vcc_lo, exec_lo
.LBB4_6671:                             ;   in Loop: Header=BB4_3957 Depth=1
	s_or_b32 exec_lo, exec_lo, s26
	s_and_saveexec_b32 s26, s7
	s_cbranch_execz .LBB4_7776
.LBB4_6672:                             ;   in Loop: Header=BB4_3957 Depth=1
	v_dual_ashrrev_i32 v2, 31, v82 :: v_dual_lshrrev_b32 v3, 9, v81
	s_mov_b32 s27, exec_lo
	s_delay_alu instid0(VALU_DEP_1) | instskip(NEXT) | instid1(VALU_DEP_1)
	v_lshrrev_b32_e32 v2, 27, v2
	v_add_nc_u32_e32 v2, v82, v2
	s_delay_alu instid0(VALU_DEP_1) | instskip(NEXT) | instid1(VALU_DEP_1)
	v_ashrrev_i32_e32 v30, 5, v2
	v_sub_nc_u32_e32 v83, v3, v30
	s_delay_alu instid0(VALU_DEP_1)
	v_cmpx_lt_i32_e32 0, v83
	s_cbranch_execz .LBB4_7704
; %bb.6673:                             ;   in Loop: Header=BB4_3957 Depth=1
	v_and_b32_e32 v10, 0xffffffe0, v2
	s_trap 2
	ds_load_b64 v[2:3], v0
	v_lshlrev_b32_e32 v11, 9, v30
	v_add_nc_u64_e32 v[16:17], 0x1e0, v[70:71]
	v_sub_nc_u32_e32 v10, v82, v10
	s_mov_b32 s28, 0
	s_delay_alu instid0(VALU_DEP_1) | instskip(NEXT) | instid1(VALU_DEP_1)
	v_add3_u32 v14, v80, v10, v11
	v_ashrrev_i32_e32 v15, 31, v14
	s_delay_alu instid0(VALU_DEP_1)
	v_add_nc_u64_e32 v[10:11], v[14:15], v[68:69]
	s_wait_dscnt 0x0
	v_add_nc_u64_e32 v[12:13], v[2:3], v[14:15]
	v_add_nc_u64_e32 v[14:15], v[16:17], v[14:15]
	s_branch .LBB4_6675
.LBB4_6674:                             ;   in Loop: Header=BB4_6675 Depth=2
	s_or_b32 exec_lo, exec_lo, s7
	v_sub_nc_u32_e32 v83, v83, v38
	s_clause 0xf
	flat_store_b8 v[14:15], v85 offset:-480 th:TH_STORE_NT
	flat_store_b8 v[14:15], v114 offset:-448 th:TH_STORE_NT
	;; [unrolled: 1-line block ×15, first 2 shown]
	flat_store_b8 v[14:15], v17 th:TH_STORE_NT
	v_add_nc_u64_e32 v[10:11], v[10:11], v[52:53]
	v_add_nc_u64_e32 v[12:13], v[12:13], v[52:53]
	v_cmp_gt_i32_e32 vcc_lo, 1, v83
	s_wait_xcnt 0x0
	v_add_nc_u64_e32 v[14:15], v[14:15], v[52:53]
	s_or_b32 s28, vcc_lo, s28
	s_delay_alu instid0(SALU_CYCLE_1)
	s_and_not1_b32 exec_lo, exec_lo, s28
	s_cbranch_execz .LBB4_7703
.LBB4_6675:                             ;   Parent Loop BB4_3957 Depth=1
                                        ; =>  This Inner Loop Header: Depth=2
	s_trap 2
	ds_load_b64 v[16:17], v0
	s_mov_b32 s29, 0
	s_wait_dscnt 0x0
	v_and_b32_e32 v2, 0xff, v16
	v_readfirstlane_b32 s10, v16
	v_readfirstlane_b32 s11, v17
	s_delay_alu instid0(VALU_DEP_3)
	v_cmp_eq_u32_e32 vcc_lo, 0, v2
	s_cbranch_vccnz .LBB4_6679
; %bb.6676:                             ;   in Loop: Header=BB4_6675 Depth=2
	v_cmp_eq_u32_e32 vcc_lo, 0x80, v2
	s_brev_b32 s29, 1
	s_cbranch_vccnz .LBB4_6679
; %bb.6677:                             ;   in Loop: Header=BB4_6675 Depth=2
	s_and_b32 s7, s10, 0x7f
	s_mov_b32 s29, 0x7f800001
	s_cmp_eq_u32 s7, 0x7f
	s_cbranch_scc1 .LBB4_6679
; %bb.6678:                             ;   in Loop: Header=BB4_6675 Depth=2
	s_and_b32 s29, s10, 7
	s_lshr_b32 s40, s7, 3
	s_clz_i32_u32 s29, s29
	s_delay_alu instid0(SALU_CYCLE_1) | instskip(NEXT) | instid1(SALU_CYCLE_1)
	s_min_u32 s29, s29, 32
	s_sub_co_i32 s41, s29, 28
	s_sub_co_i32 s29, 29, s29
	s_cmp_lt_u32 s7, 8
	s_cselect_b32 s7, s41, 0
	s_cselect_b32 s29, s29, s40
	s_lshl_b64 s[40:41], s[10:11], s7
	s_lshl_b32 s7, s10, 24
	s_lshl_b32 s10, s40, 20
	;; [unrolled: 1-line block ×3, first 2 shown]
	s_and_b32 s10, s10, 0x700000
	s_and_b32 s7, s7, 0x80000000
	s_add_co_i32 s11, s11, 0x3c000000
	s_or_b32 s7, s10, s7
	s_delay_alu instid0(SALU_CYCLE_1)
	s_or_b32 s29, s11, s7
.LBB4_6679:                             ;   in Loop: Header=BB4_6675 Depth=2
	flat_load_u8 v2, v[10:11] th:TH_LOAD_NT
	v_mov_b32_e32 v3, 0
	s_mov_b32 s7, exec_lo
	s_wait_loadcnt_dscnt 0x0
	v_cmpx_ne_u16_e32 0, v2
	s_cbranch_execz .LBB4_6687
; %bb.6680:                             ;   in Loop: Header=BB4_6675 Depth=2
	v_bfrev_b32_e32 v3, 1
	s_mov_b32 s10, exec_lo
	v_cmpx_ne_u16_e32 0x80, v2
	s_cbranch_execz .LBB4_6686
; %bb.6681:                             ;   in Loop: Header=BB4_6675 Depth=2
	v_and_b32_e32 v17, 0xffff, v2
	v_mov_b32_e32 v3, 0x7f800001
	s_mov_b32 s11, exec_lo
	s_delay_alu instid0(VALU_DEP_2) | instskip(NEXT) | instid1(VALU_DEP_1)
	v_and_b32_e32 v16, 0x7f, v17
	v_cmpx_ne_u32_e32 0x7f, v16
	s_cbranch_execz .LBB4_6685
; %bb.6682:                             ;   in Loop: Header=BB4_6675 Depth=2
	v_dual_lshrrev_b32 v3, 3, v16 :: v_dual_bitop2_b32 v36, 7, v17 bitop3:0x40
	v_cmp_gt_u32_e32 vcc_lo, 8, v16
	s_delay_alu instid0(VALU_DEP_2)
	v_mov_b64_e32 v[16:17], v[36:37]
	s_and_saveexec_b32 s40, vcc_lo
; %bb.6683:                             ;   in Loop: Header=BB4_6675 Depth=2
	v_clz_i32_u32_e32 v3, v36
	s_delay_alu instid0(VALU_DEP_1) | instskip(NEXT) | instid1(VALU_DEP_1)
	v_min_u32_e32 v3, 32, v3
	v_subrev_nc_u32_e32 v16, 28, v3
	s_delay_alu instid0(VALU_DEP_1) | instskip(NEXT) | instid1(VALU_DEP_1)
	v_lshlrev_b64_e32 v[16:17], v16, v[36:37]
	v_dual_sub_nc_u32 v3, 29, v3 :: v_dual_bitop2_b32 v16, 7, v16 bitop3:0x40
; %bb.6684:                             ;   in Loop: Header=BB4_6675 Depth=2
	s_or_b32 exec_lo, exec_lo, s40
	s_delay_alu instid0(VALU_DEP_1) | instskip(NEXT) | instid1(VALU_DEP_2)
	v_dual_lshlrev_b32 v2, 24, v2 :: v_dual_lshlrev_b32 v16, 20, v16
	v_lshl_add_u32 v3, v3, 23, 0x3c000000
	s_delay_alu instid0(VALU_DEP_2) | instskip(NEXT) | instid1(VALU_DEP_1)
	v_and_b32_e32 v2, 0x80000000, v2
	v_or3_b32 v3, v16, v2, v3
.LBB4_6685:                             ;   in Loop: Header=BB4_6675 Depth=2
	s_or_b32 exec_lo, exec_lo, s11
.LBB4_6686:                             ;   in Loop: Header=BB4_6675 Depth=2
	s_delay_alu instid0(SALU_CYCLE_1)
	s_or_b32 exec_lo, exec_lo, s10
.LBB4_6687:                             ;   in Loop: Header=BB4_6675 Depth=2
	s_delay_alu instid0(SALU_CYCLE_1) | instskip(NEXT) | instid1(VALU_DEP_1)
	s_or_b32 exec_lo, exec_lo, s7
	v_mul_f32_e32 v3, s29, v3
                                        ; implicit-def: $vgpr85
	s_mov_b32 s7, exec_lo
	s_delay_alu instid0(VALU_DEP_1) | instskip(SKIP_1) | instid1(VALU_DEP_2)
	v_and_b32_e32 v36, 0x7f800000, v3
	v_lshrrev_b32_e32 v2, 24, v3
	v_cmpx_ne_u64_e32 0x7f800000, v[36:37]
	s_xor_b32 s10, exec_lo, s7
	s_cbranch_execz .LBB4_6705
; %bb.6688:                             ;   in Loop: Header=BB4_6675 Depth=2
	v_and_b32_e32 v36, 0x7fffffff, v3
	v_and_b32_e32 v2, 0x80, v2
                                        ; implicit-def: $vgpr85
	s_mov_b32 s7, exec_lo
	s_delay_alu instid0(VALU_DEP_2)
	v_cmpx_gt_u64_e32 0x43e00001, v[36:37]
	s_xor_b32 s11, exec_lo, s7
	s_cbranch_execz .LBB4_6702
; %bb.6689:                             ;   in Loop: Header=BB4_6675 Depth=2
	v_mov_b32_e32 v85, 0
	s_mov_b32 s40, exec_lo
	v_cmpx_ne_u32_e32 0, v3
	s_cbranch_execz .LBB4_6701
; %bb.6690:                             ;   in Loop: Header=BB4_6675 Depth=2
	v_bfe_u32 v70, v3, 23, 8
	v_and_b32_e32 v3, 0x7fffff, v3
	s_delay_alu instid0(VALU_DEP_2) | instskip(SKIP_1) | instid1(VALU_DEP_3)
	v_sub_nc_u32_e32 v16, 0x79, v70
	v_cmp_gt_u32_e32 vcc_lo, 0x7a, v70
	v_or_b32_e32 v20, 0x800000, v3
	s_delay_alu instid0(VALU_DEP_3) | instskip(SKIP_1) | instid1(VALU_DEP_2)
	v_cndmask_b32_e32 v16, 0, v16, vcc_lo
	v_cmp_eq_u32_e32 vcc_lo, 0, v70
	v_cndmask_b32_e64 v71, v16, 0x78, vcc_lo
	s_delay_alu instid0(VALU_DEP_4) | instskip(NEXT) | instid1(VALU_DEP_2)
	v_cndmask_b32_e32 v36, v20, v3, vcc_lo
	v_dual_add_nc_u32 v16, 20, v71 :: v_dual_add_nc_u32 v21, 19, v71
	s_delay_alu instid0(VALU_DEP_1) | instskip(NEXT) | instid1(VALU_DEP_2)
	v_lshlrev_b64_e64 v[16:17], v16, -1
	v_lshlrev_b64_e64 v[20:21], v21, 1
	s_delay_alu instid0(VALU_DEP_2) | instskip(NEXT) | instid1(VALU_DEP_3)
	v_bfi_b32 v69, v17, 0, 0
	v_bfi_b32 v68, v16, 0, v36
	v_lshrrev_b64 v[16:17], v71, v[36:37]
	s_delay_alu instid0(VALU_DEP_2) | instskip(NEXT) | instid1(VALU_DEP_2)
	v_cmp_eq_u64_e64 s7, v[68:69], v[20:21]
	v_mov_b64_e32 v[68:69], v[16:17]
	s_and_saveexec_b32 s41, s7
; %bb.6691:                             ;   in Loop: Header=BB4_6675 Depth=2
	v_bfe_u32 v36, v16, 20, 1
	s_delay_alu instid0(VALU_DEP_1) | instskip(NEXT) | instid1(VALU_DEP_1)
	v_add_nc_u64_e32 v[20:21], v[16:17], v[36:37]
	v_add_nc_u64_e32 v[68:69], -1, v[20:21]
; %bb.6692:                             ;   in Loop: Header=BB4_6675 Depth=2
	s_or_b32 exec_lo, exec_lo, s41
	v_add_nc_u32_e32 v3, 0xffffff81, v70
	v_lshrrev_b32_e32 v17, 23, v16
	s_mov_b32 s7, exec_lo
	s_delay_alu instid0(VALU_DEP_2) | instskip(NEXT) | instid1(VALU_DEP_1)
	v_cndmask_b32_e64 v3, v3, 0xffffff82, vcc_lo
	v_add3_u32 v69, v71, v3, v17
	v_and_b32_e32 v3, 0xfffff, v68
	s_delay_alu instid0(VALU_DEP_1) | instskip(NEXT) | instid1(VALU_DEP_1)
	v_dual_add_nc_u32 v68, 6, v69 :: v_dual_add_nc_u32 v36, v3, v16
                                        ; implicit-def: $vgpr16_vgpr17
                                        ; implicit-def: $vgpr3
	v_cmpx_ne_u32_e32 0, v68
	s_xor_b32 s7, exec_lo, s7
; %bb.6693:                             ;   in Loop: Header=BB4_6675 Depth=2
	s_delay_alu instid0(VALU_DEP_2) | instskip(SKIP_2) | instid1(VALU_DEP_2)
	v_cmp_lt_u64_e32 vcc_lo, 0xffffff, v[36:37]
	v_add_nc_u32_e32 v3, 7, v69
	v_cndmask_b32_e64 v16, 0, 1, vcc_lo
	v_cndmask_b32_e32 v3, v68, v3, vcc_lo
	s_delay_alu instid0(VALU_DEP_2)
	v_lshrrev_b64 v[16:17], v16, v[36:37]
; %bb.6694:                             ;   in Loop: Header=BB4_6675 Depth=2
	s_and_not1_saveexec_b32 s7, s7
; %bb.6695:                             ;   in Loop: Header=BB4_6675 Depth=2
	v_mov_b64_e32 v[16:17], v[36:37]
	v_bfe_u32 v3, v36, 23, 1
; %bb.6696:                             ;   in Loop: Header=BB4_6675 Depth=2
	s_or_b32 exec_lo, exec_lo, s7
	s_delay_alu instid0(VALU_DEP_2) | instskip(NEXT) | instid1(VALU_DEP_2)
	v_lshrrev_b64 v[16:17], 20, v[16:17]
	v_cmp_gt_i32_e32 vcc_lo, 16, v3
	v_cmp_ne_u32_e64 s7, 0, v3
                                        ; implicit-def: $vgpr85
	s_delay_alu instid0(VALU_DEP_3) | instskip(NEXT) | instid1(VALU_DEP_1)
	v_dual_cndmask_b32 v17, 0, v17 :: v_dual_cndmask_b32 v16, 7, v16
	v_cmp_ne_u64_e32 vcc_lo, 0, v[16:17]
	s_or_b32 s7, s7, vcc_lo
	s_delay_alu instid0(SALU_CYCLE_1) | instskip(NEXT) | instid1(SALU_CYCLE_1)
	s_and_saveexec_b32 s41, s7
	s_xor_b32 s7, exec_lo, s41
; %bb.6697:                             ;   in Loop: Header=BB4_6675 Depth=2
	v_min_i32_e32 v3, 15, v3
	s_delay_alu instid0(VALU_DEP_1) | instskip(NEXT) | instid1(VALU_DEP_1)
	v_lshl_or_b32 v2, v3, 3, v2
	v_and_or_b32 v85, v16, 7, v2
                                        ; implicit-def: $vgpr2
; %bb.6698:                             ;   in Loop: Header=BB4_6675 Depth=2
	s_and_not1_saveexec_b32 s7, s7
; %bb.6699:                             ;   in Loop: Header=BB4_6675 Depth=2
	v_mov_b32_e32 v85, v2
; %bb.6700:                             ;   in Loop: Header=BB4_6675 Depth=2
	s_or_b32 exec_lo, exec_lo, s7
.LBB4_6701:                             ;   in Loop: Header=BB4_6675 Depth=2
	s_delay_alu instid0(SALU_CYCLE_1)
	s_or_b32 exec_lo, exec_lo, s40
                                        ; implicit-def: $vgpr2
.LBB4_6702:                             ;   in Loop: Header=BB4_6675 Depth=2
	s_and_not1_saveexec_b32 s7, s11
; %bb.6703:                             ;   in Loop: Header=BB4_6675 Depth=2
	v_or_b32_e32 v85, 0x7e, v2
; %bb.6704:                             ;   in Loop: Header=BB4_6675 Depth=2
	s_or_b32 exec_lo, exec_lo, s7
                                        ; implicit-def: $vgpr2
.LBB4_6705:                             ;   in Loop: Header=BB4_6675 Depth=2
	s_and_not1_saveexec_b32 s7, s10
; %bb.6706:                             ;   in Loop: Header=BB4_6675 Depth=2
	v_or_b32_e32 v85, 0x7f, v2
; %bb.6707:                             ;   in Loop: Header=BB4_6675 Depth=2
	s_or_b32 exec_lo, exec_lo, s7
	flat_load_u8 v2, v[10:11] offset:32 th:TH_LOAD_NT
	v_mov_b32_e32 v3, 0
	s_mov_b32 s7, exec_lo
	s_wait_loadcnt_dscnt 0x0
	v_cmpx_ne_u16_e32 0, v2
	s_cbranch_execz .LBB4_6715
; %bb.6708:                             ;   in Loop: Header=BB4_6675 Depth=2
	v_bfrev_b32_e32 v3, 1
	s_mov_b32 s10, exec_lo
	v_cmpx_ne_u16_e32 0x80, v2
	s_cbranch_execz .LBB4_6714
; %bb.6709:                             ;   in Loop: Header=BB4_6675 Depth=2
	v_and_b32_e32 v17, 0xffff, v2
	v_mov_b32_e32 v3, 0x7f800001
	s_mov_b32 s11, exec_lo
	s_delay_alu instid0(VALU_DEP_2) | instskip(NEXT) | instid1(VALU_DEP_1)
	v_and_b32_e32 v16, 0x7f, v17
	v_cmpx_ne_u32_e32 0x7f, v16
	s_cbranch_execz .LBB4_6713
; %bb.6710:                             ;   in Loop: Header=BB4_6675 Depth=2
	v_dual_lshrrev_b32 v3, 3, v16 :: v_dual_bitop2_b32 v36, 7, v17 bitop3:0x40
	v_cmp_gt_u32_e32 vcc_lo, 8, v16
	s_delay_alu instid0(VALU_DEP_2)
	v_mov_b64_e32 v[16:17], v[36:37]
	s_and_saveexec_b32 s40, vcc_lo
; %bb.6711:                             ;   in Loop: Header=BB4_6675 Depth=2
	v_clz_i32_u32_e32 v3, v36
	s_delay_alu instid0(VALU_DEP_1) | instskip(NEXT) | instid1(VALU_DEP_1)
	v_min_u32_e32 v3, 32, v3
	v_subrev_nc_u32_e32 v16, 28, v3
	s_delay_alu instid0(VALU_DEP_1) | instskip(NEXT) | instid1(VALU_DEP_1)
	v_lshlrev_b64_e32 v[16:17], v16, v[36:37]
	v_dual_sub_nc_u32 v3, 29, v3 :: v_dual_bitop2_b32 v16, 7, v16 bitop3:0x40
; %bb.6712:                             ;   in Loop: Header=BB4_6675 Depth=2
	s_or_b32 exec_lo, exec_lo, s40
	s_delay_alu instid0(VALU_DEP_1) | instskip(NEXT) | instid1(VALU_DEP_2)
	v_dual_lshlrev_b32 v2, 24, v2 :: v_dual_lshlrev_b32 v16, 20, v16
	v_lshl_add_u32 v3, v3, 23, 0x3c000000
	s_delay_alu instid0(VALU_DEP_2) | instskip(NEXT) | instid1(VALU_DEP_1)
	v_and_b32_e32 v2, 0x80000000, v2
	v_or3_b32 v3, v16, v2, v3
.LBB4_6713:                             ;   in Loop: Header=BB4_6675 Depth=2
	s_or_b32 exec_lo, exec_lo, s11
.LBB4_6714:                             ;   in Loop: Header=BB4_6675 Depth=2
	s_delay_alu instid0(SALU_CYCLE_1)
	s_or_b32 exec_lo, exec_lo, s10
.LBB4_6715:                             ;   in Loop: Header=BB4_6675 Depth=2
	s_delay_alu instid0(SALU_CYCLE_1) | instskip(NEXT) | instid1(VALU_DEP_1)
	s_or_b32 exec_lo, exec_lo, s7
	v_mul_f32_e32 v3, s29, v3
                                        ; implicit-def: $vgpr114
	s_mov_b32 s7, exec_lo
	s_delay_alu instid0(VALU_DEP_1) | instskip(SKIP_1) | instid1(VALU_DEP_2)
	v_and_b32_e32 v36, 0x7f800000, v3
	v_lshrrev_b32_e32 v2, 24, v3
	v_cmpx_ne_u64_e32 0x7f800000, v[36:37]
	s_xor_b32 s10, exec_lo, s7
	s_cbranch_execz .LBB4_6733
; %bb.6716:                             ;   in Loop: Header=BB4_6675 Depth=2
	v_and_b32_e32 v36, 0x7fffffff, v3
	v_and_b32_e32 v2, 0x80, v2
                                        ; implicit-def: $vgpr114
	s_mov_b32 s7, exec_lo
	s_delay_alu instid0(VALU_DEP_2)
	v_cmpx_gt_u64_e32 0x43e00001, v[36:37]
	s_xor_b32 s11, exec_lo, s7
	s_cbranch_execz .LBB4_6730
; %bb.6717:                             ;   in Loop: Header=BB4_6675 Depth=2
	v_mov_b32_e32 v114, 0
	s_mov_b32 s40, exec_lo
	v_cmpx_ne_u32_e32 0, v3
	s_cbranch_execz .LBB4_6729
; %bb.6718:                             ;   in Loop: Header=BB4_6675 Depth=2
	v_bfe_u32 v70, v3, 23, 8
	v_and_b32_e32 v3, 0x7fffff, v3
	s_delay_alu instid0(VALU_DEP_2) | instskip(SKIP_1) | instid1(VALU_DEP_3)
	v_sub_nc_u32_e32 v16, 0x79, v70
	v_cmp_gt_u32_e32 vcc_lo, 0x7a, v70
	v_or_b32_e32 v20, 0x800000, v3
	s_delay_alu instid0(VALU_DEP_3) | instskip(SKIP_1) | instid1(VALU_DEP_2)
	v_cndmask_b32_e32 v16, 0, v16, vcc_lo
	v_cmp_eq_u32_e32 vcc_lo, 0, v70
	v_cndmask_b32_e64 v71, v16, 0x78, vcc_lo
	s_delay_alu instid0(VALU_DEP_4) | instskip(NEXT) | instid1(VALU_DEP_2)
	v_cndmask_b32_e32 v36, v20, v3, vcc_lo
	v_dual_add_nc_u32 v16, 20, v71 :: v_dual_add_nc_u32 v21, 19, v71
	s_delay_alu instid0(VALU_DEP_1) | instskip(NEXT) | instid1(VALU_DEP_2)
	v_lshlrev_b64_e64 v[16:17], v16, -1
	v_lshlrev_b64_e64 v[20:21], v21, 1
	s_delay_alu instid0(VALU_DEP_2) | instskip(NEXT) | instid1(VALU_DEP_3)
	v_bfi_b32 v69, v17, 0, 0
	v_bfi_b32 v68, v16, 0, v36
	v_lshrrev_b64 v[16:17], v71, v[36:37]
	s_delay_alu instid0(VALU_DEP_2) | instskip(NEXT) | instid1(VALU_DEP_2)
	v_cmp_eq_u64_e64 s7, v[68:69], v[20:21]
	v_mov_b64_e32 v[68:69], v[16:17]
	s_and_saveexec_b32 s41, s7
; %bb.6719:                             ;   in Loop: Header=BB4_6675 Depth=2
	v_bfe_u32 v36, v16, 20, 1
	s_delay_alu instid0(VALU_DEP_1) | instskip(NEXT) | instid1(VALU_DEP_1)
	v_add_nc_u64_e32 v[20:21], v[16:17], v[36:37]
	v_add_nc_u64_e32 v[68:69], -1, v[20:21]
; %bb.6720:                             ;   in Loop: Header=BB4_6675 Depth=2
	s_or_b32 exec_lo, exec_lo, s41
	v_add_nc_u32_e32 v3, 0xffffff81, v70
	v_lshrrev_b32_e32 v17, 23, v16
	s_mov_b32 s7, exec_lo
	s_delay_alu instid0(VALU_DEP_2) | instskip(NEXT) | instid1(VALU_DEP_1)
	v_cndmask_b32_e64 v3, v3, 0xffffff82, vcc_lo
	v_add3_u32 v69, v71, v3, v17
	v_and_b32_e32 v3, 0xfffff, v68
	s_delay_alu instid0(VALU_DEP_1) | instskip(NEXT) | instid1(VALU_DEP_1)
	v_dual_add_nc_u32 v68, 6, v69 :: v_dual_add_nc_u32 v36, v3, v16
                                        ; implicit-def: $vgpr16_vgpr17
                                        ; implicit-def: $vgpr3
	v_cmpx_ne_u32_e32 0, v68
	s_xor_b32 s7, exec_lo, s7
; %bb.6721:                             ;   in Loop: Header=BB4_6675 Depth=2
	s_delay_alu instid0(VALU_DEP_2) | instskip(SKIP_2) | instid1(VALU_DEP_2)
	v_cmp_lt_u64_e32 vcc_lo, 0xffffff, v[36:37]
	v_add_nc_u32_e32 v3, 7, v69
	v_cndmask_b32_e64 v16, 0, 1, vcc_lo
	v_cndmask_b32_e32 v3, v68, v3, vcc_lo
	s_delay_alu instid0(VALU_DEP_2)
	v_lshrrev_b64 v[16:17], v16, v[36:37]
; %bb.6722:                             ;   in Loop: Header=BB4_6675 Depth=2
	s_and_not1_saveexec_b32 s7, s7
; %bb.6723:                             ;   in Loop: Header=BB4_6675 Depth=2
	v_mov_b64_e32 v[16:17], v[36:37]
	v_bfe_u32 v3, v36, 23, 1
; %bb.6724:                             ;   in Loop: Header=BB4_6675 Depth=2
	s_or_b32 exec_lo, exec_lo, s7
	s_delay_alu instid0(VALU_DEP_2) | instskip(NEXT) | instid1(VALU_DEP_2)
	v_lshrrev_b64 v[16:17], 20, v[16:17]
	v_cmp_gt_i32_e32 vcc_lo, 16, v3
	v_cmp_ne_u32_e64 s7, 0, v3
                                        ; implicit-def: $vgpr114
	s_delay_alu instid0(VALU_DEP_3) | instskip(NEXT) | instid1(VALU_DEP_1)
	v_dual_cndmask_b32 v17, 0, v17 :: v_dual_cndmask_b32 v16, 7, v16
	v_cmp_ne_u64_e32 vcc_lo, 0, v[16:17]
	s_or_b32 s7, s7, vcc_lo
	s_delay_alu instid0(SALU_CYCLE_1) | instskip(NEXT) | instid1(SALU_CYCLE_1)
	s_and_saveexec_b32 s41, s7
	s_xor_b32 s7, exec_lo, s41
; %bb.6725:                             ;   in Loop: Header=BB4_6675 Depth=2
	v_min_i32_e32 v3, 15, v3
	s_delay_alu instid0(VALU_DEP_1) | instskip(NEXT) | instid1(VALU_DEP_1)
	v_lshl_or_b32 v2, v3, 3, v2
	v_and_or_b32 v114, v16, 7, v2
                                        ; implicit-def: $vgpr2
; %bb.6726:                             ;   in Loop: Header=BB4_6675 Depth=2
	s_and_not1_saveexec_b32 s7, s7
; %bb.6727:                             ;   in Loop: Header=BB4_6675 Depth=2
	v_mov_b32_e32 v114, v2
; %bb.6728:                             ;   in Loop: Header=BB4_6675 Depth=2
	s_or_b32 exec_lo, exec_lo, s7
.LBB4_6729:                             ;   in Loop: Header=BB4_6675 Depth=2
	s_delay_alu instid0(SALU_CYCLE_1)
	s_or_b32 exec_lo, exec_lo, s40
                                        ; implicit-def: $vgpr2
.LBB4_6730:                             ;   in Loop: Header=BB4_6675 Depth=2
	s_and_not1_saveexec_b32 s7, s11
; %bb.6731:                             ;   in Loop: Header=BB4_6675 Depth=2
	v_or_b32_e32 v114, 0x7e, v2
; %bb.6732:                             ;   in Loop: Header=BB4_6675 Depth=2
	s_or_b32 exec_lo, exec_lo, s7
                                        ; implicit-def: $vgpr2
.LBB4_6733:                             ;   in Loop: Header=BB4_6675 Depth=2
	s_and_not1_saveexec_b32 s7, s10
; %bb.6734:                             ;   in Loop: Header=BB4_6675 Depth=2
	v_or_b32_e32 v114, 0x7f, v2
; %bb.6735:                             ;   in Loop: Header=BB4_6675 Depth=2
	s_or_b32 exec_lo, exec_lo, s7
	flat_load_u8 v2, v[10:11] offset:64 th:TH_LOAD_NT
	v_mov_b32_e32 v3, 0
	s_mov_b32 s7, exec_lo
	s_wait_loadcnt_dscnt 0x0
	v_cmpx_ne_u16_e32 0, v2
	s_cbranch_execz .LBB4_6743
; %bb.6736:                             ;   in Loop: Header=BB4_6675 Depth=2
	v_bfrev_b32_e32 v3, 1
	s_mov_b32 s10, exec_lo
	v_cmpx_ne_u16_e32 0x80, v2
	s_cbranch_execz .LBB4_6742
; %bb.6737:                             ;   in Loop: Header=BB4_6675 Depth=2
	v_and_b32_e32 v17, 0xffff, v2
	v_mov_b32_e32 v3, 0x7f800001
	s_mov_b32 s11, exec_lo
	s_delay_alu instid0(VALU_DEP_2) | instskip(NEXT) | instid1(VALU_DEP_1)
	v_and_b32_e32 v16, 0x7f, v17
	v_cmpx_ne_u32_e32 0x7f, v16
	s_cbranch_execz .LBB4_6741
; %bb.6738:                             ;   in Loop: Header=BB4_6675 Depth=2
	v_dual_lshrrev_b32 v3, 3, v16 :: v_dual_bitop2_b32 v36, 7, v17 bitop3:0x40
	v_cmp_gt_u32_e32 vcc_lo, 8, v16
	s_delay_alu instid0(VALU_DEP_2)
	v_mov_b64_e32 v[16:17], v[36:37]
	s_and_saveexec_b32 s40, vcc_lo
; %bb.6739:                             ;   in Loop: Header=BB4_6675 Depth=2
	v_clz_i32_u32_e32 v3, v36
	s_delay_alu instid0(VALU_DEP_1) | instskip(NEXT) | instid1(VALU_DEP_1)
	v_min_u32_e32 v3, 32, v3
	v_subrev_nc_u32_e32 v16, 28, v3
	s_delay_alu instid0(VALU_DEP_1) | instskip(NEXT) | instid1(VALU_DEP_1)
	v_lshlrev_b64_e32 v[16:17], v16, v[36:37]
	v_dual_sub_nc_u32 v3, 29, v3 :: v_dual_bitop2_b32 v16, 7, v16 bitop3:0x40
; %bb.6740:                             ;   in Loop: Header=BB4_6675 Depth=2
	s_or_b32 exec_lo, exec_lo, s40
	s_delay_alu instid0(VALU_DEP_1) | instskip(NEXT) | instid1(VALU_DEP_2)
	v_dual_lshlrev_b32 v2, 24, v2 :: v_dual_lshlrev_b32 v16, 20, v16
	v_lshl_add_u32 v3, v3, 23, 0x3c000000
	s_delay_alu instid0(VALU_DEP_2) | instskip(NEXT) | instid1(VALU_DEP_1)
	v_and_b32_e32 v2, 0x80000000, v2
	v_or3_b32 v3, v16, v2, v3
.LBB4_6741:                             ;   in Loop: Header=BB4_6675 Depth=2
	s_or_b32 exec_lo, exec_lo, s11
.LBB4_6742:                             ;   in Loop: Header=BB4_6675 Depth=2
	s_delay_alu instid0(SALU_CYCLE_1)
	s_or_b32 exec_lo, exec_lo, s10
.LBB4_6743:                             ;   in Loop: Header=BB4_6675 Depth=2
	s_delay_alu instid0(SALU_CYCLE_1) | instskip(NEXT) | instid1(VALU_DEP_1)
	s_or_b32 exec_lo, exec_lo, s7
	v_mul_f32_e32 v3, s29, v3
                                        ; implicit-def: $vgpr41
	s_mov_b32 s7, exec_lo
	s_delay_alu instid0(VALU_DEP_1) | instskip(SKIP_1) | instid1(VALU_DEP_2)
	v_and_b32_e32 v36, 0x7f800000, v3
	v_lshrrev_b32_e32 v2, 24, v3
	v_cmpx_ne_u64_e32 0x7f800000, v[36:37]
	s_xor_b32 s10, exec_lo, s7
	s_cbranch_execz .LBB4_6761
; %bb.6744:                             ;   in Loop: Header=BB4_6675 Depth=2
	v_and_b32_e32 v36, 0x7fffffff, v3
	v_and_b32_e32 v2, 0x80, v2
                                        ; implicit-def: $vgpr41
	s_mov_b32 s7, exec_lo
	s_delay_alu instid0(VALU_DEP_2)
	v_cmpx_gt_u64_e32 0x43e00001, v[36:37]
	s_xor_b32 s11, exec_lo, s7
	s_cbranch_execz .LBB4_6758
; %bb.6745:                             ;   in Loop: Header=BB4_6675 Depth=2
	v_mov_b32_e32 v41, 0
	s_mov_b32 s40, exec_lo
	v_cmpx_ne_u32_e32 0, v3
	s_cbranch_execz .LBB4_6757
; %bb.6746:                             ;   in Loop: Header=BB4_6675 Depth=2
	v_bfe_u32 v70, v3, 23, 8
	v_and_b32_e32 v3, 0x7fffff, v3
	s_delay_alu instid0(VALU_DEP_2) | instskip(SKIP_1) | instid1(VALU_DEP_3)
	v_sub_nc_u32_e32 v16, 0x79, v70
	v_cmp_gt_u32_e32 vcc_lo, 0x7a, v70
	v_or_b32_e32 v20, 0x800000, v3
	s_delay_alu instid0(VALU_DEP_3) | instskip(SKIP_1) | instid1(VALU_DEP_2)
	v_cndmask_b32_e32 v16, 0, v16, vcc_lo
	v_cmp_eq_u32_e32 vcc_lo, 0, v70
	v_cndmask_b32_e64 v71, v16, 0x78, vcc_lo
	s_delay_alu instid0(VALU_DEP_4) | instskip(NEXT) | instid1(VALU_DEP_2)
	v_cndmask_b32_e32 v36, v20, v3, vcc_lo
	v_dual_add_nc_u32 v16, 20, v71 :: v_dual_add_nc_u32 v21, 19, v71
	s_delay_alu instid0(VALU_DEP_1) | instskip(NEXT) | instid1(VALU_DEP_2)
	v_lshlrev_b64_e64 v[16:17], v16, -1
	v_lshlrev_b64_e64 v[20:21], v21, 1
	s_delay_alu instid0(VALU_DEP_2) | instskip(NEXT) | instid1(VALU_DEP_3)
	v_bfi_b32 v69, v17, 0, 0
	v_bfi_b32 v68, v16, 0, v36
	v_lshrrev_b64 v[16:17], v71, v[36:37]
	s_delay_alu instid0(VALU_DEP_2) | instskip(NEXT) | instid1(VALU_DEP_2)
	v_cmp_eq_u64_e64 s7, v[68:69], v[20:21]
	v_mov_b64_e32 v[68:69], v[16:17]
	s_and_saveexec_b32 s41, s7
; %bb.6747:                             ;   in Loop: Header=BB4_6675 Depth=2
	v_bfe_u32 v36, v16, 20, 1
	s_delay_alu instid0(VALU_DEP_1) | instskip(NEXT) | instid1(VALU_DEP_1)
	v_add_nc_u64_e32 v[20:21], v[16:17], v[36:37]
	v_add_nc_u64_e32 v[68:69], -1, v[20:21]
; %bb.6748:                             ;   in Loop: Header=BB4_6675 Depth=2
	s_or_b32 exec_lo, exec_lo, s41
	v_add_nc_u32_e32 v3, 0xffffff81, v70
	v_lshrrev_b32_e32 v17, 23, v16
	s_mov_b32 s7, exec_lo
	s_delay_alu instid0(VALU_DEP_2) | instskip(NEXT) | instid1(VALU_DEP_1)
	v_cndmask_b32_e64 v3, v3, 0xffffff82, vcc_lo
	v_add3_u32 v69, v71, v3, v17
	v_and_b32_e32 v3, 0xfffff, v68
	s_delay_alu instid0(VALU_DEP_1) | instskip(NEXT) | instid1(VALU_DEP_1)
	v_dual_add_nc_u32 v68, 6, v69 :: v_dual_add_nc_u32 v36, v3, v16
                                        ; implicit-def: $vgpr16_vgpr17
                                        ; implicit-def: $vgpr3
	v_cmpx_ne_u32_e32 0, v68
	s_xor_b32 s7, exec_lo, s7
; %bb.6749:                             ;   in Loop: Header=BB4_6675 Depth=2
	s_delay_alu instid0(VALU_DEP_2) | instskip(SKIP_2) | instid1(VALU_DEP_2)
	v_cmp_lt_u64_e32 vcc_lo, 0xffffff, v[36:37]
	v_add_nc_u32_e32 v3, 7, v69
	v_cndmask_b32_e64 v16, 0, 1, vcc_lo
	v_cndmask_b32_e32 v3, v68, v3, vcc_lo
	s_delay_alu instid0(VALU_DEP_2)
	v_lshrrev_b64 v[16:17], v16, v[36:37]
; %bb.6750:                             ;   in Loop: Header=BB4_6675 Depth=2
	s_and_not1_saveexec_b32 s7, s7
; %bb.6751:                             ;   in Loop: Header=BB4_6675 Depth=2
	v_mov_b64_e32 v[16:17], v[36:37]
	v_bfe_u32 v3, v36, 23, 1
; %bb.6752:                             ;   in Loop: Header=BB4_6675 Depth=2
	s_or_b32 exec_lo, exec_lo, s7
	s_delay_alu instid0(VALU_DEP_2) | instskip(NEXT) | instid1(VALU_DEP_2)
	v_lshrrev_b64 v[16:17], 20, v[16:17]
	v_cmp_gt_i32_e32 vcc_lo, 16, v3
	v_cmp_ne_u32_e64 s7, 0, v3
                                        ; implicit-def: $vgpr41
	s_delay_alu instid0(VALU_DEP_3) | instskip(NEXT) | instid1(VALU_DEP_1)
	v_dual_cndmask_b32 v17, 0, v17 :: v_dual_cndmask_b32 v16, 7, v16
	v_cmp_ne_u64_e32 vcc_lo, 0, v[16:17]
	s_or_b32 s7, s7, vcc_lo
	s_delay_alu instid0(SALU_CYCLE_1) | instskip(NEXT) | instid1(SALU_CYCLE_1)
	s_and_saveexec_b32 s41, s7
	s_xor_b32 s7, exec_lo, s41
; %bb.6753:                             ;   in Loop: Header=BB4_6675 Depth=2
	v_min_i32_e32 v3, 15, v3
	s_delay_alu instid0(VALU_DEP_1) | instskip(NEXT) | instid1(VALU_DEP_1)
	v_lshl_or_b32 v2, v3, 3, v2
	v_and_or_b32 v41, v16, 7, v2
                                        ; implicit-def: $vgpr2
; %bb.6754:                             ;   in Loop: Header=BB4_6675 Depth=2
	s_and_not1_saveexec_b32 s7, s7
; %bb.6755:                             ;   in Loop: Header=BB4_6675 Depth=2
	v_mov_b32_e32 v41, v2
; %bb.6756:                             ;   in Loop: Header=BB4_6675 Depth=2
	s_or_b32 exec_lo, exec_lo, s7
.LBB4_6757:                             ;   in Loop: Header=BB4_6675 Depth=2
	s_delay_alu instid0(SALU_CYCLE_1)
	s_or_b32 exec_lo, exec_lo, s40
                                        ; implicit-def: $vgpr2
.LBB4_6758:                             ;   in Loop: Header=BB4_6675 Depth=2
	s_and_not1_saveexec_b32 s7, s11
; %bb.6759:                             ;   in Loop: Header=BB4_6675 Depth=2
	v_or_b32_e32 v41, 0x7e, v2
; %bb.6760:                             ;   in Loop: Header=BB4_6675 Depth=2
	s_or_b32 exec_lo, exec_lo, s7
                                        ; implicit-def: $vgpr2
.LBB4_6761:                             ;   in Loop: Header=BB4_6675 Depth=2
	s_and_not1_saveexec_b32 s7, s10
; %bb.6762:                             ;   in Loop: Header=BB4_6675 Depth=2
	v_or_b32_e32 v41, 0x7f, v2
; %bb.6763:                             ;   in Loop: Header=BB4_6675 Depth=2
	s_or_b32 exec_lo, exec_lo, s7
	flat_load_u8 v2, v[10:11] offset:96 th:TH_LOAD_NT
	v_mov_b32_e32 v3, 0
	s_mov_b32 s7, exec_lo
	s_wait_loadcnt_dscnt 0x0
	v_cmpx_ne_u16_e32 0, v2
	s_cbranch_execz .LBB4_6771
; %bb.6764:                             ;   in Loop: Header=BB4_6675 Depth=2
	v_bfrev_b32_e32 v3, 1
	s_mov_b32 s10, exec_lo
	v_cmpx_ne_u16_e32 0x80, v2
	s_cbranch_execz .LBB4_6770
; %bb.6765:                             ;   in Loop: Header=BB4_6675 Depth=2
	v_and_b32_e32 v17, 0xffff, v2
	v_mov_b32_e32 v3, 0x7f800001
	s_mov_b32 s11, exec_lo
	s_delay_alu instid0(VALU_DEP_2) | instskip(NEXT) | instid1(VALU_DEP_1)
	v_and_b32_e32 v16, 0x7f, v17
	v_cmpx_ne_u32_e32 0x7f, v16
	s_cbranch_execz .LBB4_6769
; %bb.6766:                             ;   in Loop: Header=BB4_6675 Depth=2
	v_dual_lshrrev_b32 v3, 3, v16 :: v_dual_bitop2_b32 v36, 7, v17 bitop3:0x40
	v_cmp_gt_u32_e32 vcc_lo, 8, v16
	s_delay_alu instid0(VALU_DEP_2)
	v_mov_b64_e32 v[16:17], v[36:37]
	s_and_saveexec_b32 s40, vcc_lo
; %bb.6767:                             ;   in Loop: Header=BB4_6675 Depth=2
	v_clz_i32_u32_e32 v3, v36
	s_delay_alu instid0(VALU_DEP_1) | instskip(NEXT) | instid1(VALU_DEP_1)
	v_min_u32_e32 v3, 32, v3
	v_subrev_nc_u32_e32 v16, 28, v3
	s_delay_alu instid0(VALU_DEP_1) | instskip(NEXT) | instid1(VALU_DEP_1)
	v_lshlrev_b64_e32 v[16:17], v16, v[36:37]
	v_dual_sub_nc_u32 v3, 29, v3 :: v_dual_bitop2_b32 v16, 7, v16 bitop3:0x40
; %bb.6768:                             ;   in Loop: Header=BB4_6675 Depth=2
	s_or_b32 exec_lo, exec_lo, s40
	s_delay_alu instid0(VALU_DEP_1) | instskip(NEXT) | instid1(VALU_DEP_2)
	v_dual_lshlrev_b32 v2, 24, v2 :: v_dual_lshlrev_b32 v16, 20, v16
	v_lshl_add_u32 v3, v3, 23, 0x3c000000
	s_delay_alu instid0(VALU_DEP_2) | instskip(NEXT) | instid1(VALU_DEP_1)
	v_and_b32_e32 v2, 0x80000000, v2
	v_or3_b32 v3, v16, v2, v3
.LBB4_6769:                             ;   in Loop: Header=BB4_6675 Depth=2
	s_or_b32 exec_lo, exec_lo, s11
.LBB4_6770:                             ;   in Loop: Header=BB4_6675 Depth=2
	s_delay_alu instid0(SALU_CYCLE_1)
	s_or_b32 exec_lo, exec_lo, s10
.LBB4_6771:                             ;   in Loop: Header=BB4_6675 Depth=2
	s_delay_alu instid0(SALU_CYCLE_1) | instskip(NEXT) | instid1(VALU_DEP_1)
	s_or_b32 exec_lo, exec_lo, s7
	v_mul_f32_e32 v3, s29, v3
                                        ; implicit-def: $vgpr43
	s_mov_b32 s7, exec_lo
	s_delay_alu instid0(VALU_DEP_1) | instskip(SKIP_1) | instid1(VALU_DEP_2)
	v_and_b32_e32 v36, 0x7f800000, v3
	v_lshrrev_b32_e32 v2, 24, v3
	v_cmpx_ne_u64_e32 0x7f800000, v[36:37]
	s_xor_b32 s10, exec_lo, s7
	s_cbranch_execz .LBB4_6789
; %bb.6772:                             ;   in Loop: Header=BB4_6675 Depth=2
	v_and_b32_e32 v36, 0x7fffffff, v3
	v_and_b32_e32 v2, 0x80, v2
                                        ; implicit-def: $vgpr43
	s_mov_b32 s7, exec_lo
	s_delay_alu instid0(VALU_DEP_2)
	v_cmpx_gt_u64_e32 0x43e00001, v[36:37]
	s_xor_b32 s11, exec_lo, s7
	s_cbranch_execz .LBB4_6786
; %bb.6773:                             ;   in Loop: Header=BB4_6675 Depth=2
	v_mov_b32_e32 v43, 0
	s_mov_b32 s40, exec_lo
	v_cmpx_ne_u32_e32 0, v3
	s_cbranch_execz .LBB4_6785
; %bb.6774:                             ;   in Loop: Header=BB4_6675 Depth=2
	v_bfe_u32 v70, v3, 23, 8
	v_and_b32_e32 v3, 0x7fffff, v3
	s_delay_alu instid0(VALU_DEP_2) | instskip(SKIP_1) | instid1(VALU_DEP_3)
	v_sub_nc_u32_e32 v16, 0x79, v70
	v_cmp_gt_u32_e32 vcc_lo, 0x7a, v70
	v_or_b32_e32 v20, 0x800000, v3
	s_delay_alu instid0(VALU_DEP_3) | instskip(SKIP_1) | instid1(VALU_DEP_2)
	v_cndmask_b32_e32 v16, 0, v16, vcc_lo
	v_cmp_eq_u32_e32 vcc_lo, 0, v70
	v_cndmask_b32_e64 v71, v16, 0x78, vcc_lo
	s_delay_alu instid0(VALU_DEP_4) | instskip(NEXT) | instid1(VALU_DEP_2)
	v_cndmask_b32_e32 v36, v20, v3, vcc_lo
	v_dual_add_nc_u32 v16, 20, v71 :: v_dual_add_nc_u32 v21, 19, v71
	s_delay_alu instid0(VALU_DEP_1) | instskip(NEXT) | instid1(VALU_DEP_2)
	v_lshlrev_b64_e64 v[16:17], v16, -1
	v_lshlrev_b64_e64 v[20:21], v21, 1
	s_delay_alu instid0(VALU_DEP_2) | instskip(NEXT) | instid1(VALU_DEP_3)
	v_bfi_b32 v69, v17, 0, 0
	v_bfi_b32 v68, v16, 0, v36
	v_lshrrev_b64 v[16:17], v71, v[36:37]
	s_delay_alu instid0(VALU_DEP_2) | instskip(NEXT) | instid1(VALU_DEP_2)
	v_cmp_eq_u64_e64 s7, v[68:69], v[20:21]
	v_mov_b64_e32 v[68:69], v[16:17]
	s_and_saveexec_b32 s41, s7
; %bb.6775:                             ;   in Loop: Header=BB4_6675 Depth=2
	v_bfe_u32 v36, v16, 20, 1
	s_delay_alu instid0(VALU_DEP_1) | instskip(NEXT) | instid1(VALU_DEP_1)
	v_add_nc_u64_e32 v[20:21], v[16:17], v[36:37]
	v_add_nc_u64_e32 v[68:69], -1, v[20:21]
; %bb.6776:                             ;   in Loop: Header=BB4_6675 Depth=2
	s_or_b32 exec_lo, exec_lo, s41
	v_add_nc_u32_e32 v3, 0xffffff81, v70
	v_lshrrev_b32_e32 v17, 23, v16
	s_mov_b32 s7, exec_lo
	s_delay_alu instid0(VALU_DEP_2) | instskip(NEXT) | instid1(VALU_DEP_1)
	v_cndmask_b32_e64 v3, v3, 0xffffff82, vcc_lo
	v_add3_u32 v69, v71, v3, v17
	v_and_b32_e32 v3, 0xfffff, v68
	s_delay_alu instid0(VALU_DEP_1) | instskip(NEXT) | instid1(VALU_DEP_1)
	v_dual_add_nc_u32 v68, 6, v69 :: v_dual_add_nc_u32 v36, v3, v16
                                        ; implicit-def: $vgpr16_vgpr17
                                        ; implicit-def: $vgpr3
	v_cmpx_ne_u32_e32 0, v68
	s_xor_b32 s7, exec_lo, s7
; %bb.6777:                             ;   in Loop: Header=BB4_6675 Depth=2
	s_delay_alu instid0(VALU_DEP_2) | instskip(SKIP_2) | instid1(VALU_DEP_2)
	v_cmp_lt_u64_e32 vcc_lo, 0xffffff, v[36:37]
	v_add_nc_u32_e32 v3, 7, v69
	v_cndmask_b32_e64 v16, 0, 1, vcc_lo
	v_cndmask_b32_e32 v3, v68, v3, vcc_lo
	s_delay_alu instid0(VALU_DEP_2)
	v_lshrrev_b64 v[16:17], v16, v[36:37]
; %bb.6778:                             ;   in Loop: Header=BB4_6675 Depth=2
	s_and_not1_saveexec_b32 s7, s7
; %bb.6779:                             ;   in Loop: Header=BB4_6675 Depth=2
	v_mov_b64_e32 v[16:17], v[36:37]
	v_bfe_u32 v3, v36, 23, 1
; %bb.6780:                             ;   in Loop: Header=BB4_6675 Depth=2
	s_or_b32 exec_lo, exec_lo, s7
	s_delay_alu instid0(VALU_DEP_2) | instskip(NEXT) | instid1(VALU_DEP_2)
	v_lshrrev_b64 v[16:17], 20, v[16:17]
	v_cmp_gt_i32_e32 vcc_lo, 16, v3
	v_cmp_ne_u32_e64 s7, 0, v3
                                        ; implicit-def: $vgpr43
	s_delay_alu instid0(VALU_DEP_3) | instskip(NEXT) | instid1(VALU_DEP_1)
	v_dual_cndmask_b32 v17, 0, v17 :: v_dual_cndmask_b32 v16, 7, v16
	v_cmp_ne_u64_e32 vcc_lo, 0, v[16:17]
	s_or_b32 s7, s7, vcc_lo
	s_delay_alu instid0(SALU_CYCLE_1) | instskip(NEXT) | instid1(SALU_CYCLE_1)
	s_and_saveexec_b32 s41, s7
	s_xor_b32 s7, exec_lo, s41
; %bb.6781:                             ;   in Loop: Header=BB4_6675 Depth=2
	v_min_i32_e32 v3, 15, v3
	s_delay_alu instid0(VALU_DEP_1) | instskip(NEXT) | instid1(VALU_DEP_1)
	v_lshl_or_b32 v2, v3, 3, v2
	v_and_or_b32 v43, v16, 7, v2
                                        ; implicit-def: $vgpr2
; %bb.6782:                             ;   in Loop: Header=BB4_6675 Depth=2
	s_and_not1_saveexec_b32 s7, s7
; %bb.6783:                             ;   in Loop: Header=BB4_6675 Depth=2
	v_mov_b32_e32 v43, v2
; %bb.6784:                             ;   in Loop: Header=BB4_6675 Depth=2
	s_or_b32 exec_lo, exec_lo, s7
.LBB4_6785:                             ;   in Loop: Header=BB4_6675 Depth=2
	s_delay_alu instid0(SALU_CYCLE_1)
	s_or_b32 exec_lo, exec_lo, s40
                                        ; implicit-def: $vgpr2
.LBB4_6786:                             ;   in Loop: Header=BB4_6675 Depth=2
	s_and_not1_saveexec_b32 s7, s11
; %bb.6787:                             ;   in Loop: Header=BB4_6675 Depth=2
	v_or_b32_e32 v43, 0x7e, v2
; %bb.6788:                             ;   in Loop: Header=BB4_6675 Depth=2
	s_or_b32 exec_lo, exec_lo, s7
                                        ; implicit-def: $vgpr2
.LBB4_6789:                             ;   in Loop: Header=BB4_6675 Depth=2
	s_and_not1_saveexec_b32 s7, s10
; %bb.6790:                             ;   in Loop: Header=BB4_6675 Depth=2
	v_or_b32_e32 v43, 0x7f, v2
; %bb.6791:                             ;   in Loop: Header=BB4_6675 Depth=2
	s_or_b32 exec_lo, exec_lo, s7
	flat_load_u8 v2, v[10:11] offset:128 th:TH_LOAD_NT
	v_mov_b32_e32 v3, 0
	s_mov_b32 s7, exec_lo
	s_wait_loadcnt_dscnt 0x0
	v_cmpx_ne_u16_e32 0, v2
	s_cbranch_execz .LBB4_6799
; %bb.6792:                             ;   in Loop: Header=BB4_6675 Depth=2
	v_bfrev_b32_e32 v3, 1
	s_mov_b32 s10, exec_lo
	v_cmpx_ne_u16_e32 0x80, v2
	s_cbranch_execz .LBB4_6798
; %bb.6793:                             ;   in Loop: Header=BB4_6675 Depth=2
	v_and_b32_e32 v17, 0xffff, v2
	v_mov_b32_e32 v3, 0x7f800001
	s_mov_b32 s11, exec_lo
	s_delay_alu instid0(VALU_DEP_2) | instskip(NEXT) | instid1(VALU_DEP_1)
	v_and_b32_e32 v16, 0x7f, v17
	v_cmpx_ne_u32_e32 0x7f, v16
	s_cbranch_execz .LBB4_6797
; %bb.6794:                             ;   in Loop: Header=BB4_6675 Depth=2
	v_dual_lshrrev_b32 v3, 3, v16 :: v_dual_bitop2_b32 v36, 7, v17 bitop3:0x40
	v_cmp_gt_u32_e32 vcc_lo, 8, v16
	s_delay_alu instid0(VALU_DEP_2)
	v_mov_b64_e32 v[16:17], v[36:37]
	s_and_saveexec_b32 s40, vcc_lo
; %bb.6795:                             ;   in Loop: Header=BB4_6675 Depth=2
	v_clz_i32_u32_e32 v3, v36
	s_delay_alu instid0(VALU_DEP_1) | instskip(NEXT) | instid1(VALU_DEP_1)
	v_min_u32_e32 v3, 32, v3
	v_subrev_nc_u32_e32 v16, 28, v3
	s_delay_alu instid0(VALU_DEP_1) | instskip(NEXT) | instid1(VALU_DEP_1)
	v_lshlrev_b64_e32 v[16:17], v16, v[36:37]
	v_dual_sub_nc_u32 v3, 29, v3 :: v_dual_bitop2_b32 v16, 7, v16 bitop3:0x40
; %bb.6796:                             ;   in Loop: Header=BB4_6675 Depth=2
	s_or_b32 exec_lo, exec_lo, s40
	s_delay_alu instid0(VALU_DEP_1) | instskip(NEXT) | instid1(VALU_DEP_2)
	v_dual_lshlrev_b32 v2, 24, v2 :: v_dual_lshlrev_b32 v16, 20, v16
	v_lshl_add_u32 v3, v3, 23, 0x3c000000
	s_delay_alu instid0(VALU_DEP_2) | instskip(NEXT) | instid1(VALU_DEP_1)
	v_and_b32_e32 v2, 0x80000000, v2
	v_or3_b32 v3, v16, v2, v3
.LBB4_6797:                             ;   in Loop: Header=BB4_6675 Depth=2
	s_or_b32 exec_lo, exec_lo, s11
.LBB4_6798:                             ;   in Loop: Header=BB4_6675 Depth=2
	s_delay_alu instid0(SALU_CYCLE_1)
	s_or_b32 exec_lo, exec_lo, s10
.LBB4_6799:                             ;   in Loop: Header=BB4_6675 Depth=2
	s_delay_alu instid0(SALU_CYCLE_1) | instskip(NEXT) | instid1(VALU_DEP_1)
	s_or_b32 exec_lo, exec_lo, s7
	v_mul_f32_e32 v3, s29, v3
                                        ; implicit-def: $vgpr42
	s_mov_b32 s7, exec_lo
	s_delay_alu instid0(VALU_DEP_1) | instskip(SKIP_1) | instid1(VALU_DEP_2)
	v_and_b32_e32 v36, 0x7f800000, v3
	v_lshrrev_b32_e32 v2, 24, v3
	v_cmpx_ne_u64_e32 0x7f800000, v[36:37]
	s_xor_b32 s10, exec_lo, s7
	s_cbranch_execz .LBB4_6817
; %bb.6800:                             ;   in Loop: Header=BB4_6675 Depth=2
	v_and_b32_e32 v36, 0x7fffffff, v3
	v_and_b32_e32 v2, 0x80, v2
                                        ; implicit-def: $vgpr42
	s_mov_b32 s7, exec_lo
	s_delay_alu instid0(VALU_DEP_2)
	v_cmpx_gt_u64_e32 0x43e00001, v[36:37]
	s_xor_b32 s11, exec_lo, s7
	s_cbranch_execz .LBB4_6814
; %bb.6801:                             ;   in Loop: Header=BB4_6675 Depth=2
	v_mov_b32_e32 v42, 0
	s_mov_b32 s40, exec_lo
	v_cmpx_ne_u32_e32 0, v3
	s_cbranch_execz .LBB4_6813
; %bb.6802:                             ;   in Loop: Header=BB4_6675 Depth=2
	v_bfe_u32 v70, v3, 23, 8
	v_and_b32_e32 v3, 0x7fffff, v3
	s_delay_alu instid0(VALU_DEP_2) | instskip(SKIP_1) | instid1(VALU_DEP_3)
	v_sub_nc_u32_e32 v16, 0x79, v70
	v_cmp_gt_u32_e32 vcc_lo, 0x7a, v70
	v_or_b32_e32 v20, 0x800000, v3
	s_delay_alu instid0(VALU_DEP_3) | instskip(SKIP_1) | instid1(VALU_DEP_2)
	v_cndmask_b32_e32 v16, 0, v16, vcc_lo
	v_cmp_eq_u32_e32 vcc_lo, 0, v70
	v_cndmask_b32_e64 v71, v16, 0x78, vcc_lo
	s_delay_alu instid0(VALU_DEP_4) | instskip(NEXT) | instid1(VALU_DEP_2)
	v_cndmask_b32_e32 v36, v20, v3, vcc_lo
	v_dual_add_nc_u32 v16, 20, v71 :: v_dual_add_nc_u32 v21, 19, v71
	s_delay_alu instid0(VALU_DEP_1) | instskip(NEXT) | instid1(VALU_DEP_2)
	v_lshlrev_b64_e64 v[16:17], v16, -1
	v_lshlrev_b64_e64 v[20:21], v21, 1
	s_delay_alu instid0(VALU_DEP_2) | instskip(NEXT) | instid1(VALU_DEP_3)
	v_bfi_b32 v69, v17, 0, 0
	v_bfi_b32 v68, v16, 0, v36
	v_lshrrev_b64 v[16:17], v71, v[36:37]
	s_delay_alu instid0(VALU_DEP_2) | instskip(NEXT) | instid1(VALU_DEP_2)
	v_cmp_eq_u64_e64 s7, v[68:69], v[20:21]
	v_mov_b64_e32 v[68:69], v[16:17]
	s_and_saveexec_b32 s41, s7
; %bb.6803:                             ;   in Loop: Header=BB4_6675 Depth=2
	v_bfe_u32 v36, v16, 20, 1
	s_delay_alu instid0(VALU_DEP_1) | instskip(NEXT) | instid1(VALU_DEP_1)
	v_add_nc_u64_e32 v[20:21], v[16:17], v[36:37]
	v_add_nc_u64_e32 v[68:69], -1, v[20:21]
; %bb.6804:                             ;   in Loop: Header=BB4_6675 Depth=2
	s_or_b32 exec_lo, exec_lo, s41
	v_add_nc_u32_e32 v3, 0xffffff81, v70
	v_lshrrev_b32_e32 v17, 23, v16
	s_mov_b32 s7, exec_lo
	s_delay_alu instid0(VALU_DEP_2) | instskip(NEXT) | instid1(VALU_DEP_1)
	v_cndmask_b32_e64 v3, v3, 0xffffff82, vcc_lo
	v_add3_u32 v69, v71, v3, v17
	v_and_b32_e32 v3, 0xfffff, v68
	s_delay_alu instid0(VALU_DEP_1) | instskip(NEXT) | instid1(VALU_DEP_1)
	v_dual_add_nc_u32 v68, 6, v69 :: v_dual_add_nc_u32 v36, v3, v16
                                        ; implicit-def: $vgpr16_vgpr17
                                        ; implicit-def: $vgpr3
	v_cmpx_ne_u32_e32 0, v68
	s_xor_b32 s7, exec_lo, s7
; %bb.6805:                             ;   in Loop: Header=BB4_6675 Depth=2
	s_delay_alu instid0(VALU_DEP_2) | instskip(SKIP_2) | instid1(VALU_DEP_2)
	v_cmp_lt_u64_e32 vcc_lo, 0xffffff, v[36:37]
	v_add_nc_u32_e32 v3, 7, v69
	v_cndmask_b32_e64 v16, 0, 1, vcc_lo
	v_cndmask_b32_e32 v3, v68, v3, vcc_lo
	s_delay_alu instid0(VALU_DEP_2)
	v_lshrrev_b64 v[16:17], v16, v[36:37]
; %bb.6806:                             ;   in Loop: Header=BB4_6675 Depth=2
	s_and_not1_saveexec_b32 s7, s7
; %bb.6807:                             ;   in Loop: Header=BB4_6675 Depth=2
	v_mov_b64_e32 v[16:17], v[36:37]
	v_bfe_u32 v3, v36, 23, 1
; %bb.6808:                             ;   in Loop: Header=BB4_6675 Depth=2
	s_or_b32 exec_lo, exec_lo, s7
	s_delay_alu instid0(VALU_DEP_2) | instskip(NEXT) | instid1(VALU_DEP_2)
	v_lshrrev_b64 v[16:17], 20, v[16:17]
	v_cmp_gt_i32_e32 vcc_lo, 16, v3
	v_cmp_ne_u32_e64 s7, 0, v3
                                        ; implicit-def: $vgpr42
	s_delay_alu instid0(VALU_DEP_3) | instskip(NEXT) | instid1(VALU_DEP_1)
	v_dual_cndmask_b32 v17, 0, v17 :: v_dual_cndmask_b32 v16, 7, v16
	v_cmp_ne_u64_e32 vcc_lo, 0, v[16:17]
	s_or_b32 s7, s7, vcc_lo
	s_delay_alu instid0(SALU_CYCLE_1) | instskip(NEXT) | instid1(SALU_CYCLE_1)
	s_and_saveexec_b32 s41, s7
	s_xor_b32 s7, exec_lo, s41
; %bb.6809:                             ;   in Loop: Header=BB4_6675 Depth=2
	v_min_i32_e32 v3, 15, v3
	s_delay_alu instid0(VALU_DEP_1) | instskip(NEXT) | instid1(VALU_DEP_1)
	v_lshl_or_b32 v2, v3, 3, v2
	v_and_or_b32 v42, v16, 7, v2
                                        ; implicit-def: $vgpr2
; %bb.6810:                             ;   in Loop: Header=BB4_6675 Depth=2
	s_and_not1_saveexec_b32 s7, s7
; %bb.6811:                             ;   in Loop: Header=BB4_6675 Depth=2
	v_mov_b32_e32 v42, v2
; %bb.6812:                             ;   in Loop: Header=BB4_6675 Depth=2
	s_or_b32 exec_lo, exec_lo, s7
.LBB4_6813:                             ;   in Loop: Header=BB4_6675 Depth=2
	s_delay_alu instid0(SALU_CYCLE_1)
	s_or_b32 exec_lo, exec_lo, s40
                                        ; implicit-def: $vgpr2
.LBB4_6814:                             ;   in Loop: Header=BB4_6675 Depth=2
	s_and_not1_saveexec_b32 s7, s11
; %bb.6815:                             ;   in Loop: Header=BB4_6675 Depth=2
	v_or_b32_e32 v42, 0x7e, v2
; %bb.6816:                             ;   in Loop: Header=BB4_6675 Depth=2
	s_or_b32 exec_lo, exec_lo, s7
                                        ; implicit-def: $vgpr2
.LBB4_6817:                             ;   in Loop: Header=BB4_6675 Depth=2
	s_and_not1_saveexec_b32 s7, s10
; %bb.6818:                             ;   in Loop: Header=BB4_6675 Depth=2
	v_or_b32_e32 v42, 0x7f, v2
; %bb.6819:                             ;   in Loop: Header=BB4_6675 Depth=2
	s_or_b32 exec_lo, exec_lo, s7
	flat_load_u8 v2, v[10:11] offset:160 th:TH_LOAD_NT
	v_mov_b32_e32 v3, 0
	s_mov_b32 s7, exec_lo
	s_wait_loadcnt_dscnt 0x0
	v_cmpx_ne_u16_e32 0, v2
	s_cbranch_execz .LBB4_6827
; %bb.6820:                             ;   in Loop: Header=BB4_6675 Depth=2
	v_bfrev_b32_e32 v3, 1
	s_mov_b32 s10, exec_lo
	v_cmpx_ne_u16_e32 0x80, v2
	s_cbranch_execz .LBB4_6826
; %bb.6821:                             ;   in Loop: Header=BB4_6675 Depth=2
	v_and_b32_e32 v17, 0xffff, v2
	v_mov_b32_e32 v3, 0x7f800001
	s_mov_b32 s11, exec_lo
	s_delay_alu instid0(VALU_DEP_2) | instskip(NEXT) | instid1(VALU_DEP_1)
	v_and_b32_e32 v16, 0x7f, v17
	v_cmpx_ne_u32_e32 0x7f, v16
	s_cbranch_execz .LBB4_6825
; %bb.6822:                             ;   in Loop: Header=BB4_6675 Depth=2
	v_dual_lshrrev_b32 v3, 3, v16 :: v_dual_bitop2_b32 v36, 7, v17 bitop3:0x40
	v_cmp_gt_u32_e32 vcc_lo, 8, v16
	s_delay_alu instid0(VALU_DEP_2)
	v_mov_b64_e32 v[16:17], v[36:37]
	s_and_saveexec_b32 s40, vcc_lo
; %bb.6823:                             ;   in Loop: Header=BB4_6675 Depth=2
	v_clz_i32_u32_e32 v3, v36
	s_delay_alu instid0(VALU_DEP_1) | instskip(NEXT) | instid1(VALU_DEP_1)
	v_min_u32_e32 v3, 32, v3
	v_subrev_nc_u32_e32 v16, 28, v3
	s_delay_alu instid0(VALU_DEP_1) | instskip(NEXT) | instid1(VALU_DEP_1)
	v_lshlrev_b64_e32 v[16:17], v16, v[36:37]
	v_dual_sub_nc_u32 v3, 29, v3 :: v_dual_bitop2_b32 v16, 7, v16 bitop3:0x40
; %bb.6824:                             ;   in Loop: Header=BB4_6675 Depth=2
	s_or_b32 exec_lo, exec_lo, s40
	s_delay_alu instid0(VALU_DEP_1) | instskip(NEXT) | instid1(VALU_DEP_2)
	v_dual_lshlrev_b32 v2, 24, v2 :: v_dual_lshlrev_b32 v16, 20, v16
	v_lshl_add_u32 v3, v3, 23, 0x3c000000
	s_delay_alu instid0(VALU_DEP_2) | instskip(NEXT) | instid1(VALU_DEP_1)
	v_and_b32_e32 v2, 0x80000000, v2
	v_or3_b32 v3, v16, v2, v3
.LBB4_6825:                             ;   in Loop: Header=BB4_6675 Depth=2
	s_or_b32 exec_lo, exec_lo, s11
.LBB4_6826:                             ;   in Loop: Header=BB4_6675 Depth=2
	s_delay_alu instid0(SALU_CYCLE_1)
	s_or_b32 exec_lo, exec_lo, s10
.LBB4_6827:                             ;   in Loop: Header=BB4_6675 Depth=2
	s_delay_alu instid0(SALU_CYCLE_1) | instskip(NEXT) | instid1(VALU_DEP_1)
	s_or_b32 exec_lo, exec_lo, s7
	v_mul_f32_e32 v3, s29, v3
                                        ; implicit-def: $vgpr119
	s_mov_b32 s7, exec_lo
	s_delay_alu instid0(VALU_DEP_1) | instskip(SKIP_1) | instid1(VALU_DEP_2)
	v_and_b32_e32 v36, 0x7f800000, v3
	v_lshrrev_b32_e32 v2, 24, v3
	v_cmpx_ne_u64_e32 0x7f800000, v[36:37]
	s_xor_b32 s10, exec_lo, s7
	s_cbranch_execz .LBB4_6845
; %bb.6828:                             ;   in Loop: Header=BB4_6675 Depth=2
	v_and_b32_e32 v36, 0x7fffffff, v3
	v_and_b32_e32 v2, 0x80, v2
                                        ; implicit-def: $vgpr119
	s_mov_b32 s7, exec_lo
	s_delay_alu instid0(VALU_DEP_2)
	v_cmpx_gt_u64_e32 0x43e00001, v[36:37]
	s_xor_b32 s11, exec_lo, s7
	s_cbranch_execz .LBB4_6842
; %bb.6829:                             ;   in Loop: Header=BB4_6675 Depth=2
	v_mov_b32_e32 v119, 0
	s_mov_b32 s40, exec_lo
	v_cmpx_ne_u32_e32 0, v3
	s_cbranch_execz .LBB4_6841
; %bb.6830:                             ;   in Loop: Header=BB4_6675 Depth=2
	v_bfe_u32 v70, v3, 23, 8
	v_and_b32_e32 v3, 0x7fffff, v3
	s_delay_alu instid0(VALU_DEP_2) | instskip(SKIP_1) | instid1(VALU_DEP_3)
	v_sub_nc_u32_e32 v16, 0x79, v70
	v_cmp_gt_u32_e32 vcc_lo, 0x7a, v70
	v_or_b32_e32 v20, 0x800000, v3
	s_delay_alu instid0(VALU_DEP_3) | instskip(SKIP_1) | instid1(VALU_DEP_2)
	v_cndmask_b32_e32 v16, 0, v16, vcc_lo
	v_cmp_eq_u32_e32 vcc_lo, 0, v70
	v_cndmask_b32_e64 v71, v16, 0x78, vcc_lo
	s_delay_alu instid0(VALU_DEP_4) | instskip(NEXT) | instid1(VALU_DEP_2)
	v_cndmask_b32_e32 v36, v20, v3, vcc_lo
	v_dual_add_nc_u32 v16, 20, v71 :: v_dual_add_nc_u32 v21, 19, v71
	s_delay_alu instid0(VALU_DEP_1) | instskip(NEXT) | instid1(VALU_DEP_2)
	v_lshlrev_b64_e64 v[16:17], v16, -1
	v_lshlrev_b64_e64 v[20:21], v21, 1
	s_delay_alu instid0(VALU_DEP_2) | instskip(NEXT) | instid1(VALU_DEP_3)
	v_bfi_b32 v69, v17, 0, 0
	v_bfi_b32 v68, v16, 0, v36
	v_lshrrev_b64 v[16:17], v71, v[36:37]
	s_delay_alu instid0(VALU_DEP_2) | instskip(NEXT) | instid1(VALU_DEP_2)
	v_cmp_eq_u64_e64 s7, v[68:69], v[20:21]
	v_mov_b64_e32 v[68:69], v[16:17]
	s_and_saveexec_b32 s41, s7
; %bb.6831:                             ;   in Loop: Header=BB4_6675 Depth=2
	v_bfe_u32 v36, v16, 20, 1
	s_delay_alu instid0(VALU_DEP_1) | instskip(NEXT) | instid1(VALU_DEP_1)
	v_add_nc_u64_e32 v[20:21], v[16:17], v[36:37]
	v_add_nc_u64_e32 v[68:69], -1, v[20:21]
; %bb.6832:                             ;   in Loop: Header=BB4_6675 Depth=2
	s_or_b32 exec_lo, exec_lo, s41
	v_add_nc_u32_e32 v3, 0xffffff81, v70
	v_lshrrev_b32_e32 v17, 23, v16
	s_mov_b32 s7, exec_lo
	s_delay_alu instid0(VALU_DEP_2) | instskip(NEXT) | instid1(VALU_DEP_1)
	v_cndmask_b32_e64 v3, v3, 0xffffff82, vcc_lo
	v_add3_u32 v69, v71, v3, v17
	v_and_b32_e32 v3, 0xfffff, v68
	s_delay_alu instid0(VALU_DEP_1) | instskip(NEXT) | instid1(VALU_DEP_1)
	v_dual_add_nc_u32 v68, 6, v69 :: v_dual_add_nc_u32 v36, v3, v16
                                        ; implicit-def: $vgpr16_vgpr17
                                        ; implicit-def: $vgpr3
	v_cmpx_ne_u32_e32 0, v68
	s_xor_b32 s7, exec_lo, s7
; %bb.6833:                             ;   in Loop: Header=BB4_6675 Depth=2
	s_delay_alu instid0(VALU_DEP_2) | instskip(SKIP_2) | instid1(VALU_DEP_2)
	v_cmp_lt_u64_e32 vcc_lo, 0xffffff, v[36:37]
	v_add_nc_u32_e32 v3, 7, v69
	v_cndmask_b32_e64 v16, 0, 1, vcc_lo
	v_cndmask_b32_e32 v3, v68, v3, vcc_lo
	s_delay_alu instid0(VALU_DEP_2)
	v_lshrrev_b64 v[16:17], v16, v[36:37]
; %bb.6834:                             ;   in Loop: Header=BB4_6675 Depth=2
	s_and_not1_saveexec_b32 s7, s7
; %bb.6835:                             ;   in Loop: Header=BB4_6675 Depth=2
	v_mov_b64_e32 v[16:17], v[36:37]
	v_bfe_u32 v3, v36, 23, 1
; %bb.6836:                             ;   in Loop: Header=BB4_6675 Depth=2
	s_or_b32 exec_lo, exec_lo, s7
	s_delay_alu instid0(VALU_DEP_2) | instskip(NEXT) | instid1(VALU_DEP_2)
	v_lshrrev_b64 v[16:17], 20, v[16:17]
	v_cmp_gt_i32_e32 vcc_lo, 16, v3
	v_cmp_ne_u32_e64 s7, 0, v3
                                        ; implicit-def: $vgpr119
	s_delay_alu instid0(VALU_DEP_3) | instskip(NEXT) | instid1(VALU_DEP_1)
	v_dual_cndmask_b32 v17, 0, v17 :: v_dual_cndmask_b32 v16, 7, v16
	v_cmp_ne_u64_e32 vcc_lo, 0, v[16:17]
	s_or_b32 s7, s7, vcc_lo
	s_delay_alu instid0(SALU_CYCLE_1) | instskip(NEXT) | instid1(SALU_CYCLE_1)
	s_and_saveexec_b32 s41, s7
	s_xor_b32 s7, exec_lo, s41
; %bb.6837:                             ;   in Loop: Header=BB4_6675 Depth=2
	v_min_i32_e32 v3, 15, v3
	s_delay_alu instid0(VALU_DEP_1) | instskip(NEXT) | instid1(VALU_DEP_1)
	v_lshl_or_b32 v2, v3, 3, v2
	v_and_or_b32 v119, v16, 7, v2
                                        ; implicit-def: $vgpr2
; %bb.6838:                             ;   in Loop: Header=BB4_6675 Depth=2
	s_and_not1_saveexec_b32 s7, s7
; %bb.6839:                             ;   in Loop: Header=BB4_6675 Depth=2
	v_mov_b32_e32 v119, v2
; %bb.6840:                             ;   in Loop: Header=BB4_6675 Depth=2
	s_or_b32 exec_lo, exec_lo, s7
.LBB4_6841:                             ;   in Loop: Header=BB4_6675 Depth=2
	s_delay_alu instid0(SALU_CYCLE_1)
	s_or_b32 exec_lo, exec_lo, s40
                                        ; implicit-def: $vgpr2
.LBB4_6842:                             ;   in Loop: Header=BB4_6675 Depth=2
	s_and_not1_saveexec_b32 s7, s11
; %bb.6843:                             ;   in Loop: Header=BB4_6675 Depth=2
	v_or_b32_e32 v119, 0x7e, v2
; %bb.6844:                             ;   in Loop: Header=BB4_6675 Depth=2
	s_or_b32 exec_lo, exec_lo, s7
                                        ; implicit-def: $vgpr2
.LBB4_6845:                             ;   in Loop: Header=BB4_6675 Depth=2
	s_and_not1_saveexec_b32 s7, s10
; %bb.6846:                             ;   in Loop: Header=BB4_6675 Depth=2
	v_or_b32_e32 v119, 0x7f, v2
; %bb.6847:                             ;   in Loop: Header=BB4_6675 Depth=2
	s_or_b32 exec_lo, exec_lo, s7
	flat_load_u8 v2, v[10:11] offset:192 th:TH_LOAD_NT
	v_mov_b32_e32 v3, 0
	s_mov_b32 s7, exec_lo
	s_wait_loadcnt_dscnt 0x0
	v_cmpx_ne_u16_e32 0, v2
	s_cbranch_execz .LBB4_6855
; %bb.6848:                             ;   in Loop: Header=BB4_6675 Depth=2
	v_bfrev_b32_e32 v3, 1
	s_mov_b32 s10, exec_lo
	v_cmpx_ne_u16_e32 0x80, v2
	s_cbranch_execz .LBB4_6854
; %bb.6849:                             ;   in Loop: Header=BB4_6675 Depth=2
	v_and_b32_e32 v17, 0xffff, v2
	v_mov_b32_e32 v3, 0x7f800001
	s_mov_b32 s11, exec_lo
	s_delay_alu instid0(VALU_DEP_2) | instskip(NEXT) | instid1(VALU_DEP_1)
	v_and_b32_e32 v16, 0x7f, v17
	v_cmpx_ne_u32_e32 0x7f, v16
	s_cbranch_execz .LBB4_6853
; %bb.6850:                             ;   in Loop: Header=BB4_6675 Depth=2
	v_dual_lshrrev_b32 v3, 3, v16 :: v_dual_bitop2_b32 v36, 7, v17 bitop3:0x40
	v_cmp_gt_u32_e32 vcc_lo, 8, v16
	s_delay_alu instid0(VALU_DEP_2)
	v_mov_b64_e32 v[16:17], v[36:37]
	s_and_saveexec_b32 s40, vcc_lo
; %bb.6851:                             ;   in Loop: Header=BB4_6675 Depth=2
	v_clz_i32_u32_e32 v3, v36
	s_delay_alu instid0(VALU_DEP_1) | instskip(NEXT) | instid1(VALU_DEP_1)
	v_min_u32_e32 v3, 32, v3
	v_subrev_nc_u32_e32 v16, 28, v3
	s_delay_alu instid0(VALU_DEP_1) | instskip(NEXT) | instid1(VALU_DEP_1)
	v_lshlrev_b64_e32 v[16:17], v16, v[36:37]
	v_dual_sub_nc_u32 v3, 29, v3 :: v_dual_bitop2_b32 v16, 7, v16 bitop3:0x40
; %bb.6852:                             ;   in Loop: Header=BB4_6675 Depth=2
	s_or_b32 exec_lo, exec_lo, s40
	s_delay_alu instid0(VALU_DEP_1) | instskip(NEXT) | instid1(VALU_DEP_2)
	v_dual_lshlrev_b32 v2, 24, v2 :: v_dual_lshlrev_b32 v16, 20, v16
	v_lshl_add_u32 v3, v3, 23, 0x3c000000
	s_delay_alu instid0(VALU_DEP_2) | instskip(NEXT) | instid1(VALU_DEP_1)
	v_and_b32_e32 v2, 0x80000000, v2
	v_or3_b32 v3, v16, v2, v3
.LBB4_6853:                             ;   in Loop: Header=BB4_6675 Depth=2
	s_or_b32 exec_lo, exec_lo, s11
.LBB4_6854:                             ;   in Loop: Header=BB4_6675 Depth=2
	s_delay_alu instid0(SALU_CYCLE_1)
	s_or_b32 exec_lo, exec_lo, s10
.LBB4_6855:                             ;   in Loop: Header=BB4_6675 Depth=2
	s_delay_alu instid0(SALU_CYCLE_1) | instskip(NEXT) | instid1(VALU_DEP_1)
	s_or_b32 exec_lo, exec_lo, s7
	v_mul_f32_e32 v3, s29, v3
                                        ; implicit-def: $vgpr118
	s_mov_b32 s7, exec_lo
	s_delay_alu instid0(VALU_DEP_1) | instskip(SKIP_1) | instid1(VALU_DEP_2)
	v_and_b32_e32 v36, 0x7f800000, v3
	v_lshrrev_b32_e32 v2, 24, v3
	v_cmpx_ne_u64_e32 0x7f800000, v[36:37]
	s_xor_b32 s10, exec_lo, s7
	s_cbranch_execz .LBB4_6873
; %bb.6856:                             ;   in Loop: Header=BB4_6675 Depth=2
	v_and_b32_e32 v36, 0x7fffffff, v3
	v_and_b32_e32 v2, 0x80, v2
                                        ; implicit-def: $vgpr118
	s_mov_b32 s7, exec_lo
	s_delay_alu instid0(VALU_DEP_2)
	v_cmpx_gt_u64_e32 0x43e00001, v[36:37]
	s_xor_b32 s11, exec_lo, s7
	s_cbranch_execz .LBB4_6870
; %bb.6857:                             ;   in Loop: Header=BB4_6675 Depth=2
	v_mov_b32_e32 v118, 0
	s_mov_b32 s40, exec_lo
	v_cmpx_ne_u32_e32 0, v3
	s_cbranch_execz .LBB4_6869
; %bb.6858:                             ;   in Loop: Header=BB4_6675 Depth=2
	v_bfe_u32 v70, v3, 23, 8
	v_and_b32_e32 v3, 0x7fffff, v3
	s_delay_alu instid0(VALU_DEP_2) | instskip(SKIP_1) | instid1(VALU_DEP_3)
	v_sub_nc_u32_e32 v16, 0x79, v70
	v_cmp_gt_u32_e32 vcc_lo, 0x7a, v70
	v_or_b32_e32 v20, 0x800000, v3
	s_delay_alu instid0(VALU_DEP_3) | instskip(SKIP_1) | instid1(VALU_DEP_2)
	v_cndmask_b32_e32 v16, 0, v16, vcc_lo
	v_cmp_eq_u32_e32 vcc_lo, 0, v70
	v_cndmask_b32_e64 v71, v16, 0x78, vcc_lo
	s_delay_alu instid0(VALU_DEP_4) | instskip(NEXT) | instid1(VALU_DEP_2)
	v_cndmask_b32_e32 v36, v20, v3, vcc_lo
	v_dual_add_nc_u32 v16, 20, v71 :: v_dual_add_nc_u32 v21, 19, v71
	s_delay_alu instid0(VALU_DEP_1) | instskip(NEXT) | instid1(VALU_DEP_2)
	v_lshlrev_b64_e64 v[16:17], v16, -1
	v_lshlrev_b64_e64 v[20:21], v21, 1
	s_delay_alu instid0(VALU_DEP_2) | instskip(NEXT) | instid1(VALU_DEP_3)
	v_bfi_b32 v69, v17, 0, 0
	v_bfi_b32 v68, v16, 0, v36
	v_lshrrev_b64 v[16:17], v71, v[36:37]
	s_delay_alu instid0(VALU_DEP_2) | instskip(NEXT) | instid1(VALU_DEP_2)
	v_cmp_eq_u64_e64 s7, v[68:69], v[20:21]
	v_mov_b64_e32 v[68:69], v[16:17]
	s_and_saveexec_b32 s41, s7
; %bb.6859:                             ;   in Loop: Header=BB4_6675 Depth=2
	v_bfe_u32 v36, v16, 20, 1
	s_delay_alu instid0(VALU_DEP_1) | instskip(NEXT) | instid1(VALU_DEP_1)
	v_add_nc_u64_e32 v[20:21], v[16:17], v[36:37]
	v_add_nc_u64_e32 v[68:69], -1, v[20:21]
; %bb.6860:                             ;   in Loop: Header=BB4_6675 Depth=2
	s_or_b32 exec_lo, exec_lo, s41
	v_add_nc_u32_e32 v3, 0xffffff81, v70
	v_lshrrev_b32_e32 v17, 23, v16
	s_mov_b32 s7, exec_lo
	s_delay_alu instid0(VALU_DEP_2) | instskip(NEXT) | instid1(VALU_DEP_1)
	v_cndmask_b32_e64 v3, v3, 0xffffff82, vcc_lo
	v_add3_u32 v69, v71, v3, v17
	v_and_b32_e32 v3, 0xfffff, v68
	s_delay_alu instid0(VALU_DEP_1) | instskip(NEXT) | instid1(VALU_DEP_1)
	v_dual_add_nc_u32 v68, 6, v69 :: v_dual_add_nc_u32 v36, v3, v16
                                        ; implicit-def: $vgpr16_vgpr17
                                        ; implicit-def: $vgpr3
	v_cmpx_ne_u32_e32 0, v68
	s_xor_b32 s7, exec_lo, s7
; %bb.6861:                             ;   in Loop: Header=BB4_6675 Depth=2
	s_delay_alu instid0(VALU_DEP_2) | instskip(SKIP_2) | instid1(VALU_DEP_2)
	v_cmp_lt_u64_e32 vcc_lo, 0xffffff, v[36:37]
	v_add_nc_u32_e32 v3, 7, v69
	v_cndmask_b32_e64 v16, 0, 1, vcc_lo
	v_cndmask_b32_e32 v3, v68, v3, vcc_lo
	s_delay_alu instid0(VALU_DEP_2)
	v_lshrrev_b64 v[16:17], v16, v[36:37]
; %bb.6862:                             ;   in Loop: Header=BB4_6675 Depth=2
	s_and_not1_saveexec_b32 s7, s7
; %bb.6863:                             ;   in Loop: Header=BB4_6675 Depth=2
	v_mov_b64_e32 v[16:17], v[36:37]
	v_bfe_u32 v3, v36, 23, 1
; %bb.6864:                             ;   in Loop: Header=BB4_6675 Depth=2
	s_or_b32 exec_lo, exec_lo, s7
	s_delay_alu instid0(VALU_DEP_2) | instskip(NEXT) | instid1(VALU_DEP_2)
	v_lshrrev_b64 v[16:17], 20, v[16:17]
	v_cmp_gt_i32_e32 vcc_lo, 16, v3
	v_cmp_ne_u32_e64 s7, 0, v3
                                        ; implicit-def: $vgpr118
	s_delay_alu instid0(VALU_DEP_3) | instskip(NEXT) | instid1(VALU_DEP_1)
	v_dual_cndmask_b32 v17, 0, v17 :: v_dual_cndmask_b32 v16, 7, v16
	v_cmp_ne_u64_e32 vcc_lo, 0, v[16:17]
	s_or_b32 s7, s7, vcc_lo
	s_delay_alu instid0(SALU_CYCLE_1) | instskip(NEXT) | instid1(SALU_CYCLE_1)
	s_and_saveexec_b32 s41, s7
	s_xor_b32 s7, exec_lo, s41
; %bb.6865:                             ;   in Loop: Header=BB4_6675 Depth=2
	v_min_i32_e32 v3, 15, v3
	s_delay_alu instid0(VALU_DEP_1) | instskip(NEXT) | instid1(VALU_DEP_1)
	v_lshl_or_b32 v2, v3, 3, v2
	v_and_or_b32 v118, v16, 7, v2
                                        ; implicit-def: $vgpr2
; %bb.6866:                             ;   in Loop: Header=BB4_6675 Depth=2
	s_and_not1_saveexec_b32 s7, s7
; %bb.6867:                             ;   in Loop: Header=BB4_6675 Depth=2
	v_mov_b32_e32 v118, v2
; %bb.6868:                             ;   in Loop: Header=BB4_6675 Depth=2
	s_or_b32 exec_lo, exec_lo, s7
.LBB4_6869:                             ;   in Loop: Header=BB4_6675 Depth=2
	s_delay_alu instid0(SALU_CYCLE_1)
	s_or_b32 exec_lo, exec_lo, s40
                                        ; implicit-def: $vgpr2
.LBB4_6870:                             ;   in Loop: Header=BB4_6675 Depth=2
	s_and_not1_saveexec_b32 s7, s11
; %bb.6871:                             ;   in Loop: Header=BB4_6675 Depth=2
	v_or_b32_e32 v118, 0x7e, v2
; %bb.6872:                             ;   in Loop: Header=BB4_6675 Depth=2
	s_or_b32 exec_lo, exec_lo, s7
                                        ; implicit-def: $vgpr2
.LBB4_6873:                             ;   in Loop: Header=BB4_6675 Depth=2
	s_and_not1_saveexec_b32 s7, s10
; %bb.6874:                             ;   in Loop: Header=BB4_6675 Depth=2
	v_or_b32_e32 v118, 0x7f, v2
; %bb.6875:                             ;   in Loop: Header=BB4_6675 Depth=2
	s_or_b32 exec_lo, exec_lo, s7
	flat_load_u8 v2, v[10:11] offset:224 th:TH_LOAD_NT
	v_mov_b32_e32 v3, 0
	s_mov_b32 s7, exec_lo
	s_wait_loadcnt_dscnt 0x0
	v_cmpx_ne_u16_e32 0, v2
	s_cbranch_execz .LBB4_6883
; %bb.6876:                             ;   in Loop: Header=BB4_6675 Depth=2
	v_bfrev_b32_e32 v3, 1
	s_mov_b32 s10, exec_lo
	v_cmpx_ne_u16_e32 0x80, v2
	s_cbranch_execz .LBB4_6882
; %bb.6877:                             ;   in Loop: Header=BB4_6675 Depth=2
	v_and_b32_e32 v17, 0xffff, v2
	v_mov_b32_e32 v3, 0x7f800001
	s_mov_b32 s11, exec_lo
	s_delay_alu instid0(VALU_DEP_2) | instskip(NEXT) | instid1(VALU_DEP_1)
	v_and_b32_e32 v16, 0x7f, v17
	v_cmpx_ne_u32_e32 0x7f, v16
	s_cbranch_execz .LBB4_6881
; %bb.6878:                             ;   in Loop: Header=BB4_6675 Depth=2
	v_dual_lshrrev_b32 v3, 3, v16 :: v_dual_bitop2_b32 v36, 7, v17 bitop3:0x40
	v_cmp_gt_u32_e32 vcc_lo, 8, v16
	s_delay_alu instid0(VALU_DEP_2)
	v_mov_b64_e32 v[16:17], v[36:37]
	s_and_saveexec_b32 s40, vcc_lo
; %bb.6879:                             ;   in Loop: Header=BB4_6675 Depth=2
	v_clz_i32_u32_e32 v3, v36
	s_delay_alu instid0(VALU_DEP_1) | instskip(NEXT) | instid1(VALU_DEP_1)
	v_min_u32_e32 v3, 32, v3
	v_subrev_nc_u32_e32 v16, 28, v3
	s_delay_alu instid0(VALU_DEP_1) | instskip(NEXT) | instid1(VALU_DEP_1)
	v_lshlrev_b64_e32 v[16:17], v16, v[36:37]
	v_dual_sub_nc_u32 v3, 29, v3 :: v_dual_bitop2_b32 v16, 7, v16 bitop3:0x40
; %bb.6880:                             ;   in Loop: Header=BB4_6675 Depth=2
	s_or_b32 exec_lo, exec_lo, s40
	s_delay_alu instid0(VALU_DEP_1) | instskip(NEXT) | instid1(VALU_DEP_2)
	v_dual_lshlrev_b32 v2, 24, v2 :: v_dual_lshlrev_b32 v16, 20, v16
	v_lshl_add_u32 v3, v3, 23, 0x3c000000
	s_delay_alu instid0(VALU_DEP_2) | instskip(NEXT) | instid1(VALU_DEP_1)
	v_and_b32_e32 v2, 0x80000000, v2
	v_or3_b32 v3, v16, v2, v3
.LBB4_6881:                             ;   in Loop: Header=BB4_6675 Depth=2
	s_or_b32 exec_lo, exec_lo, s11
.LBB4_6882:                             ;   in Loop: Header=BB4_6675 Depth=2
	s_delay_alu instid0(SALU_CYCLE_1)
	s_or_b32 exec_lo, exec_lo, s10
.LBB4_6883:                             ;   in Loop: Header=BB4_6675 Depth=2
	s_delay_alu instid0(SALU_CYCLE_1) | instskip(NEXT) | instid1(VALU_DEP_1)
	s_or_b32 exec_lo, exec_lo, s7
	v_mul_f32_e32 v3, s29, v3
                                        ; implicit-def: $vgpr117
	s_mov_b32 s7, exec_lo
	s_delay_alu instid0(VALU_DEP_1) | instskip(SKIP_1) | instid1(VALU_DEP_2)
	v_and_b32_e32 v36, 0x7f800000, v3
	v_lshrrev_b32_e32 v2, 24, v3
	v_cmpx_ne_u64_e32 0x7f800000, v[36:37]
	s_xor_b32 s10, exec_lo, s7
	s_cbranch_execz .LBB4_6901
; %bb.6884:                             ;   in Loop: Header=BB4_6675 Depth=2
	v_and_b32_e32 v36, 0x7fffffff, v3
	v_and_b32_e32 v2, 0x80, v2
                                        ; implicit-def: $vgpr117
	s_mov_b32 s7, exec_lo
	s_delay_alu instid0(VALU_DEP_2)
	v_cmpx_gt_u64_e32 0x43e00001, v[36:37]
	s_xor_b32 s11, exec_lo, s7
	s_cbranch_execz .LBB4_6898
; %bb.6885:                             ;   in Loop: Header=BB4_6675 Depth=2
	v_mov_b32_e32 v117, 0
	s_mov_b32 s40, exec_lo
	v_cmpx_ne_u32_e32 0, v3
	s_cbranch_execz .LBB4_6897
; %bb.6886:                             ;   in Loop: Header=BB4_6675 Depth=2
	v_bfe_u32 v70, v3, 23, 8
	v_and_b32_e32 v3, 0x7fffff, v3
	s_delay_alu instid0(VALU_DEP_2) | instskip(SKIP_1) | instid1(VALU_DEP_3)
	v_sub_nc_u32_e32 v16, 0x79, v70
	v_cmp_gt_u32_e32 vcc_lo, 0x7a, v70
	v_or_b32_e32 v20, 0x800000, v3
	s_delay_alu instid0(VALU_DEP_3) | instskip(SKIP_1) | instid1(VALU_DEP_2)
	v_cndmask_b32_e32 v16, 0, v16, vcc_lo
	v_cmp_eq_u32_e32 vcc_lo, 0, v70
	v_cndmask_b32_e64 v71, v16, 0x78, vcc_lo
	s_delay_alu instid0(VALU_DEP_4) | instskip(NEXT) | instid1(VALU_DEP_2)
	v_cndmask_b32_e32 v36, v20, v3, vcc_lo
	v_dual_add_nc_u32 v16, 20, v71 :: v_dual_add_nc_u32 v21, 19, v71
	s_delay_alu instid0(VALU_DEP_1) | instskip(NEXT) | instid1(VALU_DEP_2)
	v_lshlrev_b64_e64 v[16:17], v16, -1
	v_lshlrev_b64_e64 v[20:21], v21, 1
	s_delay_alu instid0(VALU_DEP_2) | instskip(NEXT) | instid1(VALU_DEP_3)
	v_bfi_b32 v69, v17, 0, 0
	v_bfi_b32 v68, v16, 0, v36
	v_lshrrev_b64 v[16:17], v71, v[36:37]
	s_delay_alu instid0(VALU_DEP_2) | instskip(NEXT) | instid1(VALU_DEP_2)
	v_cmp_eq_u64_e64 s7, v[68:69], v[20:21]
	v_mov_b64_e32 v[68:69], v[16:17]
	s_and_saveexec_b32 s41, s7
; %bb.6887:                             ;   in Loop: Header=BB4_6675 Depth=2
	v_bfe_u32 v36, v16, 20, 1
	s_delay_alu instid0(VALU_DEP_1) | instskip(NEXT) | instid1(VALU_DEP_1)
	v_add_nc_u64_e32 v[20:21], v[16:17], v[36:37]
	v_add_nc_u64_e32 v[68:69], -1, v[20:21]
; %bb.6888:                             ;   in Loop: Header=BB4_6675 Depth=2
	s_or_b32 exec_lo, exec_lo, s41
	v_add_nc_u32_e32 v3, 0xffffff81, v70
	v_lshrrev_b32_e32 v17, 23, v16
	s_mov_b32 s7, exec_lo
	s_delay_alu instid0(VALU_DEP_2) | instskip(NEXT) | instid1(VALU_DEP_1)
	v_cndmask_b32_e64 v3, v3, 0xffffff82, vcc_lo
	v_add3_u32 v69, v71, v3, v17
	v_and_b32_e32 v3, 0xfffff, v68
	s_delay_alu instid0(VALU_DEP_1) | instskip(NEXT) | instid1(VALU_DEP_1)
	v_dual_add_nc_u32 v68, 6, v69 :: v_dual_add_nc_u32 v36, v3, v16
                                        ; implicit-def: $vgpr16_vgpr17
                                        ; implicit-def: $vgpr3
	v_cmpx_ne_u32_e32 0, v68
	s_xor_b32 s7, exec_lo, s7
; %bb.6889:                             ;   in Loop: Header=BB4_6675 Depth=2
	s_delay_alu instid0(VALU_DEP_2) | instskip(SKIP_2) | instid1(VALU_DEP_2)
	v_cmp_lt_u64_e32 vcc_lo, 0xffffff, v[36:37]
	v_add_nc_u32_e32 v3, 7, v69
	v_cndmask_b32_e64 v16, 0, 1, vcc_lo
	v_cndmask_b32_e32 v3, v68, v3, vcc_lo
	s_delay_alu instid0(VALU_DEP_2)
	v_lshrrev_b64 v[16:17], v16, v[36:37]
; %bb.6890:                             ;   in Loop: Header=BB4_6675 Depth=2
	s_and_not1_saveexec_b32 s7, s7
; %bb.6891:                             ;   in Loop: Header=BB4_6675 Depth=2
	v_mov_b64_e32 v[16:17], v[36:37]
	v_bfe_u32 v3, v36, 23, 1
; %bb.6892:                             ;   in Loop: Header=BB4_6675 Depth=2
	s_or_b32 exec_lo, exec_lo, s7
	s_delay_alu instid0(VALU_DEP_2) | instskip(NEXT) | instid1(VALU_DEP_2)
	v_lshrrev_b64 v[16:17], 20, v[16:17]
	v_cmp_gt_i32_e32 vcc_lo, 16, v3
	v_cmp_ne_u32_e64 s7, 0, v3
                                        ; implicit-def: $vgpr117
	s_delay_alu instid0(VALU_DEP_3) | instskip(NEXT) | instid1(VALU_DEP_1)
	v_dual_cndmask_b32 v17, 0, v17 :: v_dual_cndmask_b32 v16, 7, v16
	v_cmp_ne_u64_e32 vcc_lo, 0, v[16:17]
	s_or_b32 s7, s7, vcc_lo
	s_delay_alu instid0(SALU_CYCLE_1) | instskip(NEXT) | instid1(SALU_CYCLE_1)
	s_and_saveexec_b32 s41, s7
	s_xor_b32 s7, exec_lo, s41
; %bb.6893:                             ;   in Loop: Header=BB4_6675 Depth=2
	v_min_i32_e32 v3, 15, v3
	s_delay_alu instid0(VALU_DEP_1) | instskip(NEXT) | instid1(VALU_DEP_1)
	v_lshl_or_b32 v2, v3, 3, v2
	v_and_or_b32 v117, v16, 7, v2
                                        ; implicit-def: $vgpr2
; %bb.6894:                             ;   in Loop: Header=BB4_6675 Depth=2
	s_and_not1_saveexec_b32 s7, s7
; %bb.6895:                             ;   in Loop: Header=BB4_6675 Depth=2
	v_mov_b32_e32 v117, v2
; %bb.6896:                             ;   in Loop: Header=BB4_6675 Depth=2
	s_or_b32 exec_lo, exec_lo, s7
.LBB4_6897:                             ;   in Loop: Header=BB4_6675 Depth=2
	s_delay_alu instid0(SALU_CYCLE_1)
	s_or_b32 exec_lo, exec_lo, s40
                                        ; implicit-def: $vgpr2
.LBB4_6898:                             ;   in Loop: Header=BB4_6675 Depth=2
	s_and_not1_saveexec_b32 s7, s11
; %bb.6899:                             ;   in Loop: Header=BB4_6675 Depth=2
	v_or_b32_e32 v117, 0x7e, v2
; %bb.6900:                             ;   in Loop: Header=BB4_6675 Depth=2
	s_or_b32 exec_lo, exec_lo, s7
                                        ; implicit-def: $vgpr2
.LBB4_6901:                             ;   in Loop: Header=BB4_6675 Depth=2
	s_and_not1_saveexec_b32 s7, s10
; %bb.6902:                             ;   in Loop: Header=BB4_6675 Depth=2
	v_or_b32_e32 v117, 0x7f, v2
; %bb.6903:                             ;   in Loop: Header=BB4_6675 Depth=2
	s_or_b32 exec_lo, exec_lo, s7
	flat_load_u8 v2, v[10:11] offset:256 th:TH_LOAD_NT
	v_mov_b32_e32 v3, 0
	s_mov_b32 s7, exec_lo
	s_wait_loadcnt_dscnt 0x0
	v_cmpx_ne_u16_e32 0, v2
	s_cbranch_execz .LBB4_6911
; %bb.6904:                             ;   in Loop: Header=BB4_6675 Depth=2
	v_bfrev_b32_e32 v3, 1
	s_mov_b32 s10, exec_lo
	v_cmpx_ne_u16_e32 0x80, v2
	s_cbranch_execz .LBB4_6910
; %bb.6905:                             ;   in Loop: Header=BB4_6675 Depth=2
	v_and_b32_e32 v17, 0xffff, v2
	v_mov_b32_e32 v3, 0x7f800001
	s_mov_b32 s11, exec_lo
	s_delay_alu instid0(VALU_DEP_2) | instskip(NEXT) | instid1(VALU_DEP_1)
	v_and_b32_e32 v16, 0x7f, v17
	v_cmpx_ne_u32_e32 0x7f, v16
	s_cbranch_execz .LBB4_6909
; %bb.6906:                             ;   in Loop: Header=BB4_6675 Depth=2
	v_dual_lshrrev_b32 v3, 3, v16 :: v_dual_bitop2_b32 v36, 7, v17 bitop3:0x40
	v_cmp_gt_u32_e32 vcc_lo, 8, v16
	s_delay_alu instid0(VALU_DEP_2)
	v_mov_b64_e32 v[16:17], v[36:37]
	s_and_saveexec_b32 s40, vcc_lo
; %bb.6907:                             ;   in Loop: Header=BB4_6675 Depth=2
	v_clz_i32_u32_e32 v3, v36
	s_delay_alu instid0(VALU_DEP_1) | instskip(NEXT) | instid1(VALU_DEP_1)
	v_min_u32_e32 v3, 32, v3
	v_subrev_nc_u32_e32 v16, 28, v3
	s_delay_alu instid0(VALU_DEP_1) | instskip(NEXT) | instid1(VALU_DEP_1)
	v_lshlrev_b64_e32 v[16:17], v16, v[36:37]
	v_dual_sub_nc_u32 v3, 29, v3 :: v_dual_bitop2_b32 v16, 7, v16 bitop3:0x40
; %bb.6908:                             ;   in Loop: Header=BB4_6675 Depth=2
	s_or_b32 exec_lo, exec_lo, s40
	s_delay_alu instid0(VALU_DEP_1) | instskip(NEXT) | instid1(VALU_DEP_2)
	v_dual_lshlrev_b32 v2, 24, v2 :: v_dual_lshlrev_b32 v16, 20, v16
	v_lshl_add_u32 v3, v3, 23, 0x3c000000
	s_delay_alu instid0(VALU_DEP_2) | instskip(NEXT) | instid1(VALU_DEP_1)
	v_and_b32_e32 v2, 0x80000000, v2
	v_or3_b32 v3, v16, v2, v3
.LBB4_6909:                             ;   in Loop: Header=BB4_6675 Depth=2
	s_or_b32 exec_lo, exec_lo, s11
.LBB4_6910:                             ;   in Loop: Header=BB4_6675 Depth=2
	s_delay_alu instid0(SALU_CYCLE_1)
	s_or_b32 exec_lo, exec_lo, s10
.LBB4_6911:                             ;   in Loop: Header=BB4_6675 Depth=2
	s_delay_alu instid0(SALU_CYCLE_1) | instskip(NEXT) | instid1(VALU_DEP_1)
	s_or_b32 exec_lo, exec_lo, s7
	v_mul_f32_e32 v3, s29, v3
                                        ; implicit-def: $vgpr116
	s_mov_b32 s7, exec_lo
	s_delay_alu instid0(VALU_DEP_1) | instskip(SKIP_1) | instid1(VALU_DEP_2)
	v_and_b32_e32 v36, 0x7f800000, v3
	v_lshrrev_b32_e32 v2, 24, v3
	v_cmpx_ne_u64_e32 0x7f800000, v[36:37]
	s_xor_b32 s10, exec_lo, s7
	s_cbranch_execz .LBB4_6929
; %bb.6912:                             ;   in Loop: Header=BB4_6675 Depth=2
	v_and_b32_e32 v36, 0x7fffffff, v3
	v_and_b32_e32 v2, 0x80, v2
                                        ; implicit-def: $vgpr116
	s_mov_b32 s7, exec_lo
	s_delay_alu instid0(VALU_DEP_2)
	v_cmpx_gt_u64_e32 0x43e00001, v[36:37]
	s_xor_b32 s11, exec_lo, s7
	s_cbranch_execz .LBB4_6926
; %bb.6913:                             ;   in Loop: Header=BB4_6675 Depth=2
	v_mov_b32_e32 v116, 0
	s_mov_b32 s40, exec_lo
	v_cmpx_ne_u32_e32 0, v3
	s_cbranch_execz .LBB4_6925
; %bb.6914:                             ;   in Loop: Header=BB4_6675 Depth=2
	v_bfe_u32 v70, v3, 23, 8
	v_and_b32_e32 v3, 0x7fffff, v3
	s_delay_alu instid0(VALU_DEP_2) | instskip(SKIP_1) | instid1(VALU_DEP_3)
	v_sub_nc_u32_e32 v16, 0x79, v70
	v_cmp_gt_u32_e32 vcc_lo, 0x7a, v70
	v_or_b32_e32 v20, 0x800000, v3
	s_delay_alu instid0(VALU_DEP_3) | instskip(SKIP_1) | instid1(VALU_DEP_2)
	v_cndmask_b32_e32 v16, 0, v16, vcc_lo
	v_cmp_eq_u32_e32 vcc_lo, 0, v70
	v_cndmask_b32_e64 v71, v16, 0x78, vcc_lo
	s_delay_alu instid0(VALU_DEP_4) | instskip(NEXT) | instid1(VALU_DEP_2)
	v_cndmask_b32_e32 v36, v20, v3, vcc_lo
	v_dual_add_nc_u32 v16, 20, v71 :: v_dual_add_nc_u32 v21, 19, v71
	s_delay_alu instid0(VALU_DEP_1) | instskip(NEXT) | instid1(VALU_DEP_2)
	v_lshlrev_b64_e64 v[16:17], v16, -1
	v_lshlrev_b64_e64 v[20:21], v21, 1
	s_delay_alu instid0(VALU_DEP_2) | instskip(NEXT) | instid1(VALU_DEP_3)
	v_bfi_b32 v69, v17, 0, 0
	v_bfi_b32 v68, v16, 0, v36
	v_lshrrev_b64 v[16:17], v71, v[36:37]
	s_delay_alu instid0(VALU_DEP_2) | instskip(NEXT) | instid1(VALU_DEP_2)
	v_cmp_eq_u64_e64 s7, v[68:69], v[20:21]
	v_mov_b64_e32 v[68:69], v[16:17]
	s_and_saveexec_b32 s41, s7
; %bb.6915:                             ;   in Loop: Header=BB4_6675 Depth=2
	v_bfe_u32 v36, v16, 20, 1
	s_delay_alu instid0(VALU_DEP_1) | instskip(NEXT) | instid1(VALU_DEP_1)
	v_add_nc_u64_e32 v[20:21], v[16:17], v[36:37]
	v_add_nc_u64_e32 v[68:69], -1, v[20:21]
; %bb.6916:                             ;   in Loop: Header=BB4_6675 Depth=2
	s_or_b32 exec_lo, exec_lo, s41
	v_add_nc_u32_e32 v3, 0xffffff81, v70
	v_lshrrev_b32_e32 v17, 23, v16
	s_mov_b32 s7, exec_lo
	s_delay_alu instid0(VALU_DEP_2) | instskip(NEXT) | instid1(VALU_DEP_1)
	v_cndmask_b32_e64 v3, v3, 0xffffff82, vcc_lo
	v_add3_u32 v69, v71, v3, v17
	v_and_b32_e32 v3, 0xfffff, v68
	s_delay_alu instid0(VALU_DEP_1) | instskip(NEXT) | instid1(VALU_DEP_1)
	v_dual_add_nc_u32 v68, 6, v69 :: v_dual_add_nc_u32 v36, v3, v16
                                        ; implicit-def: $vgpr16_vgpr17
                                        ; implicit-def: $vgpr3
	v_cmpx_ne_u32_e32 0, v68
	s_xor_b32 s7, exec_lo, s7
; %bb.6917:                             ;   in Loop: Header=BB4_6675 Depth=2
	s_delay_alu instid0(VALU_DEP_2) | instskip(SKIP_2) | instid1(VALU_DEP_2)
	v_cmp_lt_u64_e32 vcc_lo, 0xffffff, v[36:37]
	v_add_nc_u32_e32 v3, 7, v69
	v_cndmask_b32_e64 v16, 0, 1, vcc_lo
	v_cndmask_b32_e32 v3, v68, v3, vcc_lo
	s_delay_alu instid0(VALU_DEP_2)
	v_lshrrev_b64 v[16:17], v16, v[36:37]
; %bb.6918:                             ;   in Loop: Header=BB4_6675 Depth=2
	s_and_not1_saveexec_b32 s7, s7
; %bb.6919:                             ;   in Loop: Header=BB4_6675 Depth=2
	v_mov_b64_e32 v[16:17], v[36:37]
	v_bfe_u32 v3, v36, 23, 1
; %bb.6920:                             ;   in Loop: Header=BB4_6675 Depth=2
	s_or_b32 exec_lo, exec_lo, s7
	s_delay_alu instid0(VALU_DEP_2) | instskip(NEXT) | instid1(VALU_DEP_2)
	v_lshrrev_b64 v[16:17], 20, v[16:17]
	v_cmp_gt_i32_e32 vcc_lo, 16, v3
	v_cmp_ne_u32_e64 s7, 0, v3
                                        ; implicit-def: $vgpr116
	s_delay_alu instid0(VALU_DEP_3) | instskip(NEXT) | instid1(VALU_DEP_1)
	v_dual_cndmask_b32 v17, 0, v17 :: v_dual_cndmask_b32 v16, 7, v16
	v_cmp_ne_u64_e32 vcc_lo, 0, v[16:17]
	s_or_b32 s7, s7, vcc_lo
	s_delay_alu instid0(SALU_CYCLE_1) | instskip(NEXT) | instid1(SALU_CYCLE_1)
	s_and_saveexec_b32 s41, s7
	s_xor_b32 s7, exec_lo, s41
; %bb.6921:                             ;   in Loop: Header=BB4_6675 Depth=2
	v_min_i32_e32 v3, 15, v3
	s_delay_alu instid0(VALU_DEP_1) | instskip(NEXT) | instid1(VALU_DEP_1)
	v_lshl_or_b32 v2, v3, 3, v2
	v_and_or_b32 v116, v16, 7, v2
                                        ; implicit-def: $vgpr2
; %bb.6922:                             ;   in Loop: Header=BB4_6675 Depth=2
	s_and_not1_saveexec_b32 s7, s7
; %bb.6923:                             ;   in Loop: Header=BB4_6675 Depth=2
	v_mov_b32_e32 v116, v2
; %bb.6924:                             ;   in Loop: Header=BB4_6675 Depth=2
	s_or_b32 exec_lo, exec_lo, s7
.LBB4_6925:                             ;   in Loop: Header=BB4_6675 Depth=2
	s_delay_alu instid0(SALU_CYCLE_1)
	s_or_b32 exec_lo, exec_lo, s40
                                        ; implicit-def: $vgpr2
.LBB4_6926:                             ;   in Loop: Header=BB4_6675 Depth=2
	s_and_not1_saveexec_b32 s7, s11
; %bb.6927:                             ;   in Loop: Header=BB4_6675 Depth=2
	v_or_b32_e32 v116, 0x7e, v2
; %bb.6928:                             ;   in Loop: Header=BB4_6675 Depth=2
	s_or_b32 exec_lo, exec_lo, s7
                                        ; implicit-def: $vgpr2
.LBB4_6929:                             ;   in Loop: Header=BB4_6675 Depth=2
	s_and_not1_saveexec_b32 s7, s10
; %bb.6930:                             ;   in Loop: Header=BB4_6675 Depth=2
	v_or_b32_e32 v116, 0x7f, v2
; %bb.6931:                             ;   in Loop: Header=BB4_6675 Depth=2
	s_or_b32 exec_lo, exec_lo, s7
	flat_load_u8 v2, v[10:11] offset:288 th:TH_LOAD_NT
	v_mov_b32_e32 v3, 0
	s_mov_b32 s7, exec_lo
	s_wait_loadcnt_dscnt 0x0
	v_cmpx_ne_u16_e32 0, v2
	s_cbranch_execz .LBB4_6939
; %bb.6932:                             ;   in Loop: Header=BB4_6675 Depth=2
	v_bfrev_b32_e32 v3, 1
	s_mov_b32 s10, exec_lo
	v_cmpx_ne_u16_e32 0x80, v2
	s_cbranch_execz .LBB4_6938
; %bb.6933:                             ;   in Loop: Header=BB4_6675 Depth=2
	v_and_b32_e32 v17, 0xffff, v2
	v_mov_b32_e32 v3, 0x7f800001
	s_mov_b32 s11, exec_lo
	s_delay_alu instid0(VALU_DEP_2) | instskip(NEXT) | instid1(VALU_DEP_1)
	v_and_b32_e32 v16, 0x7f, v17
	v_cmpx_ne_u32_e32 0x7f, v16
	s_cbranch_execz .LBB4_6937
; %bb.6934:                             ;   in Loop: Header=BB4_6675 Depth=2
	v_dual_lshrrev_b32 v3, 3, v16 :: v_dual_bitop2_b32 v36, 7, v17 bitop3:0x40
	v_cmp_gt_u32_e32 vcc_lo, 8, v16
	s_delay_alu instid0(VALU_DEP_2)
	v_mov_b64_e32 v[16:17], v[36:37]
	s_and_saveexec_b32 s40, vcc_lo
; %bb.6935:                             ;   in Loop: Header=BB4_6675 Depth=2
	v_clz_i32_u32_e32 v3, v36
	s_delay_alu instid0(VALU_DEP_1) | instskip(NEXT) | instid1(VALU_DEP_1)
	v_min_u32_e32 v3, 32, v3
	v_subrev_nc_u32_e32 v16, 28, v3
	s_delay_alu instid0(VALU_DEP_1) | instskip(NEXT) | instid1(VALU_DEP_1)
	v_lshlrev_b64_e32 v[16:17], v16, v[36:37]
	v_dual_sub_nc_u32 v3, 29, v3 :: v_dual_bitop2_b32 v16, 7, v16 bitop3:0x40
; %bb.6936:                             ;   in Loop: Header=BB4_6675 Depth=2
	s_or_b32 exec_lo, exec_lo, s40
	s_delay_alu instid0(VALU_DEP_1) | instskip(NEXT) | instid1(VALU_DEP_2)
	v_dual_lshlrev_b32 v2, 24, v2 :: v_dual_lshlrev_b32 v16, 20, v16
	v_lshl_add_u32 v3, v3, 23, 0x3c000000
	s_delay_alu instid0(VALU_DEP_2) | instskip(NEXT) | instid1(VALU_DEP_1)
	v_and_b32_e32 v2, 0x80000000, v2
	v_or3_b32 v3, v16, v2, v3
.LBB4_6937:                             ;   in Loop: Header=BB4_6675 Depth=2
	s_or_b32 exec_lo, exec_lo, s11
.LBB4_6938:                             ;   in Loop: Header=BB4_6675 Depth=2
	s_delay_alu instid0(SALU_CYCLE_1)
	s_or_b32 exec_lo, exec_lo, s10
.LBB4_6939:                             ;   in Loop: Header=BB4_6675 Depth=2
	s_delay_alu instid0(SALU_CYCLE_1) | instskip(NEXT) | instid1(VALU_DEP_1)
	s_or_b32 exec_lo, exec_lo, s7
	v_mul_f32_e32 v3, s29, v3
                                        ; implicit-def: $vgpr115
	s_mov_b32 s7, exec_lo
	s_delay_alu instid0(VALU_DEP_1) | instskip(SKIP_1) | instid1(VALU_DEP_2)
	v_and_b32_e32 v36, 0x7f800000, v3
	v_lshrrev_b32_e32 v2, 24, v3
	v_cmpx_ne_u64_e32 0x7f800000, v[36:37]
	s_xor_b32 s10, exec_lo, s7
	s_cbranch_execz .LBB4_6957
; %bb.6940:                             ;   in Loop: Header=BB4_6675 Depth=2
	v_and_b32_e32 v36, 0x7fffffff, v3
	v_and_b32_e32 v2, 0x80, v2
                                        ; implicit-def: $vgpr115
	s_mov_b32 s7, exec_lo
	s_delay_alu instid0(VALU_DEP_2)
	v_cmpx_gt_u64_e32 0x43e00001, v[36:37]
	s_xor_b32 s11, exec_lo, s7
	s_cbranch_execz .LBB4_6954
; %bb.6941:                             ;   in Loop: Header=BB4_6675 Depth=2
	v_mov_b32_e32 v115, 0
	s_mov_b32 s40, exec_lo
	v_cmpx_ne_u32_e32 0, v3
	s_cbranch_execz .LBB4_6953
; %bb.6942:                             ;   in Loop: Header=BB4_6675 Depth=2
	v_bfe_u32 v70, v3, 23, 8
	v_and_b32_e32 v3, 0x7fffff, v3
	s_delay_alu instid0(VALU_DEP_2) | instskip(SKIP_1) | instid1(VALU_DEP_3)
	v_sub_nc_u32_e32 v16, 0x79, v70
	v_cmp_gt_u32_e32 vcc_lo, 0x7a, v70
	v_or_b32_e32 v20, 0x800000, v3
	s_delay_alu instid0(VALU_DEP_3) | instskip(SKIP_1) | instid1(VALU_DEP_2)
	v_cndmask_b32_e32 v16, 0, v16, vcc_lo
	v_cmp_eq_u32_e32 vcc_lo, 0, v70
	v_cndmask_b32_e64 v71, v16, 0x78, vcc_lo
	s_delay_alu instid0(VALU_DEP_4) | instskip(NEXT) | instid1(VALU_DEP_2)
	v_cndmask_b32_e32 v36, v20, v3, vcc_lo
	v_dual_add_nc_u32 v16, 20, v71 :: v_dual_add_nc_u32 v21, 19, v71
	s_delay_alu instid0(VALU_DEP_1) | instskip(NEXT) | instid1(VALU_DEP_2)
	v_lshlrev_b64_e64 v[16:17], v16, -1
	v_lshlrev_b64_e64 v[20:21], v21, 1
	s_delay_alu instid0(VALU_DEP_2) | instskip(NEXT) | instid1(VALU_DEP_3)
	v_bfi_b32 v69, v17, 0, 0
	v_bfi_b32 v68, v16, 0, v36
	v_lshrrev_b64 v[16:17], v71, v[36:37]
	s_delay_alu instid0(VALU_DEP_2) | instskip(NEXT) | instid1(VALU_DEP_2)
	v_cmp_eq_u64_e64 s7, v[68:69], v[20:21]
	v_mov_b64_e32 v[68:69], v[16:17]
	s_and_saveexec_b32 s41, s7
; %bb.6943:                             ;   in Loop: Header=BB4_6675 Depth=2
	v_bfe_u32 v36, v16, 20, 1
	s_delay_alu instid0(VALU_DEP_1) | instskip(NEXT) | instid1(VALU_DEP_1)
	v_add_nc_u64_e32 v[20:21], v[16:17], v[36:37]
	v_add_nc_u64_e32 v[68:69], -1, v[20:21]
; %bb.6944:                             ;   in Loop: Header=BB4_6675 Depth=2
	s_or_b32 exec_lo, exec_lo, s41
	v_add_nc_u32_e32 v3, 0xffffff81, v70
	v_lshrrev_b32_e32 v17, 23, v16
	s_mov_b32 s7, exec_lo
	s_delay_alu instid0(VALU_DEP_2) | instskip(NEXT) | instid1(VALU_DEP_1)
	v_cndmask_b32_e64 v3, v3, 0xffffff82, vcc_lo
	v_add3_u32 v69, v71, v3, v17
	v_and_b32_e32 v3, 0xfffff, v68
	s_delay_alu instid0(VALU_DEP_1) | instskip(NEXT) | instid1(VALU_DEP_1)
	v_dual_add_nc_u32 v68, 6, v69 :: v_dual_add_nc_u32 v36, v3, v16
                                        ; implicit-def: $vgpr16_vgpr17
                                        ; implicit-def: $vgpr3
	v_cmpx_ne_u32_e32 0, v68
	s_xor_b32 s7, exec_lo, s7
; %bb.6945:                             ;   in Loop: Header=BB4_6675 Depth=2
	s_delay_alu instid0(VALU_DEP_2) | instskip(SKIP_2) | instid1(VALU_DEP_2)
	v_cmp_lt_u64_e32 vcc_lo, 0xffffff, v[36:37]
	v_add_nc_u32_e32 v3, 7, v69
	v_cndmask_b32_e64 v16, 0, 1, vcc_lo
	v_cndmask_b32_e32 v3, v68, v3, vcc_lo
	s_delay_alu instid0(VALU_DEP_2)
	v_lshrrev_b64 v[16:17], v16, v[36:37]
; %bb.6946:                             ;   in Loop: Header=BB4_6675 Depth=2
	s_and_not1_saveexec_b32 s7, s7
; %bb.6947:                             ;   in Loop: Header=BB4_6675 Depth=2
	v_mov_b64_e32 v[16:17], v[36:37]
	v_bfe_u32 v3, v36, 23, 1
; %bb.6948:                             ;   in Loop: Header=BB4_6675 Depth=2
	s_or_b32 exec_lo, exec_lo, s7
	s_delay_alu instid0(VALU_DEP_2) | instskip(NEXT) | instid1(VALU_DEP_2)
	v_lshrrev_b64 v[16:17], 20, v[16:17]
	v_cmp_gt_i32_e32 vcc_lo, 16, v3
	v_cmp_ne_u32_e64 s7, 0, v3
                                        ; implicit-def: $vgpr115
	s_delay_alu instid0(VALU_DEP_3) | instskip(NEXT) | instid1(VALU_DEP_1)
	v_dual_cndmask_b32 v17, 0, v17 :: v_dual_cndmask_b32 v16, 7, v16
	v_cmp_ne_u64_e32 vcc_lo, 0, v[16:17]
	s_or_b32 s7, s7, vcc_lo
	s_delay_alu instid0(SALU_CYCLE_1) | instskip(NEXT) | instid1(SALU_CYCLE_1)
	s_and_saveexec_b32 s41, s7
	s_xor_b32 s7, exec_lo, s41
; %bb.6949:                             ;   in Loop: Header=BB4_6675 Depth=2
	v_min_i32_e32 v3, 15, v3
	s_delay_alu instid0(VALU_DEP_1) | instskip(NEXT) | instid1(VALU_DEP_1)
	v_lshl_or_b32 v2, v3, 3, v2
	v_and_or_b32 v115, v16, 7, v2
                                        ; implicit-def: $vgpr2
; %bb.6950:                             ;   in Loop: Header=BB4_6675 Depth=2
	s_and_not1_saveexec_b32 s7, s7
; %bb.6951:                             ;   in Loop: Header=BB4_6675 Depth=2
	v_mov_b32_e32 v115, v2
; %bb.6952:                             ;   in Loop: Header=BB4_6675 Depth=2
	s_or_b32 exec_lo, exec_lo, s7
.LBB4_6953:                             ;   in Loop: Header=BB4_6675 Depth=2
	s_delay_alu instid0(SALU_CYCLE_1)
	s_or_b32 exec_lo, exec_lo, s40
                                        ; implicit-def: $vgpr2
.LBB4_6954:                             ;   in Loop: Header=BB4_6675 Depth=2
	s_and_not1_saveexec_b32 s7, s11
; %bb.6955:                             ;   in Loop: Header=BB4_6675 Depth=2
	v_or_b32_e32 v115, 0x7e, v2
; %bb.6956:                             ;   in Loop: Header=BB4_6675 Depth=2
	s_or_b32 exec_lo, exec_lo, s7
                                        ; implicit-def: $vgpr2
.LBB4_6957:                             ;   in Loop: Header=BB4_6675 Depth=2
	s_and_not1_saveexec_b32 s7, s10
; %bb.6958:                             ;   in Loop: Header=BB4_6675 Depth=2
	v_or_b32_e32 v115, 0x7f, v2
; %bb.6959:                             ;   in Loop: Header=BB4_6675 Depth=2
	s_or_b32 exec_lo, exec_lo, s7
	flat_load_u8 v2, v[10:11] offset:320 th:TH_LOAD_NT
	v_mov_b32_e32 v3, 0
	s_mov_b32 s7, exec_lo
	s_wait_loadcnt_dscnt 0x0
	v_cmpx_ne_u16_e32 0, v2
	s_cbranch_execz .LBB4_6967
; %bb.6960:                             ;   in Loop: Header=BB4_6675 Depth=2
	v_bfrev_b32_e32 v3, 1
	s_mov_b32 s10, exec_lo
	v_cmpx_ne_u16_e32 0x80, v2
	s_cbranch_execz .LBB4_6966
; %bb.6961:                             ;   in Loop: Header=BB4_6675 Depth=2
	v_and_b32_e32 v17, 0xffff, v2
	v_mov_b32_e32 v3, 0x7f800001
	s_mov_b32 s11, exec_lo
	s_delay_alu instid0(VALU_DEP_2) | instskip(NEXT) | instid1(VALU_DEP_1)
	v_and_b32_e32 v16, 0x7f, v17
	v_cmpx_ne_u32_e32 0x7f, v16
	s_cbranch_execz .LBB4_6965
; %bb.6962:                             ;   in Loop: Header=BB4_6675 Depth=2
	v_dual_lshrrev_b32 v3, 3, v16 :: v_dual_bitop2_b32 v36, 7, v17 bitop3:0x40
	v_cmp_gt_u32_e32 vcc_lo, 8, v16
	s_delay_alu instid0(VALU_DEP_2)
	v_mov_b64_e32 v[16:17], v[36:37]
	s_and_saveexec_b32 s40, vcc_lo
; %bb.6963:                             ;   in Loop: Header=BB4_6675 Depth=2
	v_clz_i32_u32_e32 v3, v36
	s_delay_alu instid0(VALU_DEP_1) | instskip(NEXT) | instid1(VALU_DEP_1)
	v_min_u32_e32 v3, 32, v3
	v_subrev_nc_u32_e32 v16, 28, v3
	s_delay_alu instid0(VALU_DEP_1) | instskip(NEXT) | instid1(VALU_DEP_1)
	v_lshlrev_b64_e32 v[16:17], v16, v[36:37]
	v_dual_sub_nc_u32 v3, 29, v3 :: v_dual_bitop2_b32 v16, 7, v16 bitop3:0x40
; %bb.6964:                             ;   in Loop: Header=BB4_6675 Depth=2
	s_or_b32 exec_lo, exec_lo, s40
	s_delay_alu instid0(VALU_DEP_1) | instskip(NEXT) | instid1(VALU_DEP_2)
	v_dual_lshlrev_b32 v2, 24, v2 :: v_dual_lshlrev_b32 v16, 20, v16
	v_lshl_add_u32 v3, v3, 23, 0x3c000000
	s_delay_alu instid0(VALU_DEP_2) | instskip(NEXT) | instid1(VALU_DEP_1)
	v_and_b32_e32 v2, 0x80000000, v2
	v_or3_b32 v3, v16, v2, v3
.LBB4_6965:                             ;   in Loop: Header=BB4_6675 Depth=2
	s_or_b32 exec_lo, exec_lo, s11
.LBB4_6966:                             ;   in Loop: Header=BB4_6675 Depth=2
	s_delay_alu instid0(SALU_CYCLE_1)
	s_or_b32 exec_lo, exec_lo, s10
.LBB4_6967:                             ;   in Loop: Header=BB4_6675 Depth=2
	s_delay_alu instid0(SALU_CYCLE_1) | instskip(NEXT) | instid1(VALU_DEP_1)
	s_or_b32 exec_lo, exec_lo, s7
	v_mul_f32_e32 v3, s29, v3
                                        ; implicit-def: $vgpr97
	s_mov_b32 s7, exec_lo
	s_delay_alu instid0(VALU_DEP_1) | instskip(SKIP_1) | instid1(VALU_DEP_2)
	v_and_b32_e32 v36, 0x7f800000, v3
	v_lshrrev_b32_e32 v2, 24, v3
	v_cmpx_ne_u64_e32 0x7f800000, v[36:37]
	s_xor_b32 s10, exec_lo, s7
	s_cbranch_execz .LBB4_6985
; %bb.6968:                             ;   in Loop: Header=BB4_6675 Depth=2
	v_and_b32_e32 v36, 0x7fffffff, v3
	v_and_b32_e32 v2, 0x80, v2
                                        ; implicit-def: $vgpr97
	s_mov_b32 s7, exec_lo
	s_delay_alu instid0(VALU_DEP_2)
	v_cmpx_gt_u64_e32 0x43e00001, v[36:37]
	s_xor_b32 s11, exec_lo, s7
	s_cbranch_execz .LBB4_6982
; %bb.6969:                             ;   in Loop: Header=BB4_6675 Depth=2
	v_mov_b32_e32 v97, 0
	s_mov_b32 s40, exec_lo
	v_cmpx_ne_u32_e32 0, v3
	s_cbranch_execz .LBB4_6981
; %bb.6970:                             ;   in Loop: Header=BB4_6675 Depth=2
	v_bfe_u32 v70, v3, 23, 8
	v_and_b32_e32 v3, 0x7fffff, v3
	s_delay_alu instid0(VALU_DEP_2) | instskip(SKIP_1) | instid1(VALU_DEP_3)
	v_sub_nc_u32_e32 v16, 0x79, v70
	v_cmp_gt_u32_e32 vcc_lo, 0x7a, v70
	v_or_b32_e32 v20, 0x800000, v3
	s_delay_alu instid0(VALU_DEP_3) | instskip(SKIP_1) | instid1(VALU_DEP_2)
	v_cndmask_b32_e32 v16, 0, v16, vcc_lo
	v_cmp_eq_u32_e32 vcc_lo, 0, v70
	v_cndmask_b32_e64 v71, v16, 0x78, vcc_lo
	s_delay_alu instid0(VALU_DEP_4) | instskip(NEXT) | instid1(VALU_DEP_2)
	v_cndmask_b32_e32 v36, v20, v3, vcc_lo
	v_dual_add_nc_u32 v16, 20, v71 :: v_dual_add_nc_u32 v21, 19, v71
	s_delay_alu instid0(VALU_DEP_1) | instskip(NEXT) | instid1(VALU_DEP_2)
	v_lshlrev_b64_e64 v[16:17], v16, -1
	v_lshlrev_b64_e64 v[20:21], v21, 1
	s_delay_alu instid0(VALU_DEP_2) | instskip(NEXT) | instid1(VALU_DEP_3)
	v_bfi_b32 v69, v17, 0, 0
	v_bfi_b32 v68, v16, 0, v36
	v_lshrrev_b64 v[16:17], v71, v[36:37]
	s_delay_alu instid0(VALU_DEP_2) | instskip(NEXT) | instid1(VALU_DEP_2)
	v_cmp_eq_u64_e64 s7, v[68:69], v[20:21]
	v_mov_b64_e32 v[68:69], v[16:17]
	s_and_saveexec_b32 s41, s7
; %bb.6971:                             ;   in Loop: Header=BB4_6675 Depth=2
	v_bfe_u32 v36, v16, 20, 1
	s_delay_alu instid0(VALU_DEP_1) | instskip(NEXT) | instid1(VALU_DEP_1)
	v_add_nc_u64_e32 v[20:21], v[16:17], v[36:37]
	v_add_nc_u64_e32 v[68:69], -1, v[20:21]
; %bb.6972:                             ;   in Loop: Header=BB4_6675 Depth=2
	s_or_b32 exec_lo, exec_lo, s41
	v_add_nc_u32_e32 v3, 0xffffff81, v70
	v_lshrrev_b32_e32 v17, 23, v16
	s_mov_b32 s7, exec_lo
	s_delay_alu instid0(VALU_DEP_2) | instskip(NEXT) | instid1(VALU_DEP_1)
	v_cndmask_b32_e64 v3, v3, 0xffffff82, vcc_lo
	v_add3_u32 v69, v71, v3, v17
	v_and_b32_e32 v3, 0xfffff, v68
	s_delay_alu instid0(VALU_DEP_1) | instskip(NEXT) | instid1(VALU_DEP_1)
	v_dual_add_nc_u32 v68, 6, v69 :: v_dual_add_nc_u32 v36, v3, v16
                                        ; implicit-def: $vgpr16_vgpr17
                                        ; implicit-def: $vgpr3
	v_cmpx_ne_u32_e32 0, v68
	s_xor_b32 s7, exec_lo, s7
; %bb.6973:                             ;   in Loop: Header=BB4_6675 Depth=2
	s_delay_alu instid0(VALU_DEP_2) | instskip(SKIP_2) | instid1(VALU_DEP_2)
	v_cmp_lt_u64_e32 vcc_lo, 0xffffff, v[36:37]
	v_add_nc_u32_e32 v3, 7, v69
	v_cndmask_b32_e64 v16, 0, 1, vcc_lo
	v_cndmask_b32_e32 v3, v68, v3, vcc_lo
	s_delay_alu instid0(VALU_DEP_2)
	v_lshrrev_b64 v[16:17], v16, v[36:37]
; %bb.6974:                             ;   in Loop: Header=BB4_6675 Depth=2
	s_and_not1_saveexec_b32 s7, s7
; %bb.6975:                             ;   in Loop: Header=BB4_6675 Depth=2
	v_mov_b64_e32 v[16:17], v[36:37]
	v_bfe_u32 v3, v36, 23, 1
; %bb.6976:                             ;   in Loop: Header=BB4_6675 Depth=2
	s_or_b32 exec_lo, exec_lo, s7
	s_delay_alu instid0(VALU_DEP_2) | instskip(NEXT) | instid1(VALU_DEP_2)
	v_lshrrev_b64 v[16:17], 20, v[16:17]
	v_cmp_gt_i32_e32 vcc_lo, 16, v3
	v_cmp_ne_u32_e64 s7, 0, v3
                                        ; implicit-def: $vgpr97
	s_delay_alu instid0(VALU_DEP_3) | instskip(NEXT) | instid1(VALU_DEP_1)
	v_dual_cndmask_b32 v17, 0, v17 :: v_dual_cndmask_b32 v16, 7, v16
	v_cmp_ne_u64_e32 vcc_lo, 0, v[16:17]
	s_or_b32 s7, s7, vcc_lo
	s_delay_alu instid0(SALU_CYCLE_1) | instskip(NEXT) | instid1(SALU_CYCLE_1)
	s_and_saveexec_b32 s41, s7
	s_xor_b32 s7, exec_lo, s41
; %bb.6977:                             ;   in Loop: Header=BB4_6675 Depth=2
	v_min_i32_e32 v3, 15, v3
	s_delay_alu instid0(VALU_DEP_1) | instskip(NEXT) | instid1(VALU_DEP_1)
	v_lshl_or_b32 v2, v3, 3, v2
	v_and_or_b32 v97, v16, 7, v2
                                        ; implicit-def: $vgpr2
; %bb.6978:                             ;   in Loop: Header=BB4_6675 Depth=2
	s_and_not1_saveexec_b32 s7, s7
; %bb.6979:                             ;   in Loop: Header=BB4_6675 Depth=2
	v_mov_b32_e32 v97, v2
; %bb.6980:                             ;   in Loop: Header=BB4_6675 Depth=2
	s_or_b32 exec_lo, exec_lo, s7
.LBB4_6981:                             ;   in Loop: Header=BB4_6675 Depth=2
	s_delay_alu instid0(SALU_CYCLE_1)
	s_or_b32 exec_lo, exec_lo, s40
                                        ; implicit-def: $vgpr2
.LBB4_6982:                             ;   in Loop: Header=BB4_6675 Depth=2
	s_and_not1_saveexec_b32 s7, s11
; %bb.6983:                             ;   in Loop: Header=BB4_6675 Depth=2
	v_or_b32_e32 v97, 0x7e, v2
; %bb.6984:                             ;   in Loop: Header=BB4_6675 Depth=2
	s_or_b32 exec_lo, exec_lo, s7
                                        ; implicit-def: $vgpr2
.LBB4_6985:                             ;   in Loop: Header=BB4_6675 Depth=2
	s_and_not1_saveexec_b32 s7, s10
; %bb.6986:                             ;   in Loop: Header=BB4_6675 Depth=2
	v_or_b32_e32 v97, 0x7f, v2
; %bb.6987:                             ;   in Loop: Header=BB4_6675 Depth=2
	s_or_b32 exec_lo, exec_lo, s7
	flat_load_u8 v2, v[10:11] offset:352 th:TH_LOAD_NT
	v_mov_b32_e32 v3, 0
	s_mov_b32 s7, exec_lo
	s_wait_loadcnt_dscnt 0x0
	v_cmpx_ne_u16_e32 0, v2
	s_cbranch_execz .LBB4_6995
; %bb.6988:                             ;   in Loop: Header=BB4_6675 Depth=2
	v_bfrev_b32_e32 v3, 1
	s_mov_b32 s10, exec_lo
	v_cmpx_ne_u16_e32 0x80, v2
	s_cbranch_execz .LBB4_6994
; %bb.6989:                             ;   in Loop: Header=BB4_6675 Depth=2
	v_and_b32_e32 v17, 0xffff, v2
	v_mov_b32_e32 v3, 0x7f800001
	s_mov_b32 s11, exec_lo
	s_delay_alu instid0(VALU_DEP_2) | instskip(NEXT) | instid1(VALU_DEP_1)
	v_and_b32_e32 v16, 0x7f, v17
	v_cmpx_ne_u32_e32 0x7f, v16
	s_cbranch_execz .LBB4_6993
; %bb.6990:                             ;   in Loop: Header=BB4_6675 Depth=2
	v_dual_lshrrev_b32 v3, 3, v16 :: v_dual_bitop2_b32 v36, 7, v17 bitop3:0x40
	v_cmp_gt_u32_e32 vcc_lo, 8, v16
	s_delay_alu instid0(VALU_DEP_2)
	v_mov_b64_e32 v[16:17], v[36:37]
	s_and_saveexec_b32 s40, vcc_lo
; %bb.6991:                             ;   in Loop: Header=BB4_6675 Depth=2
	v_clz_i32_u32_e32 v3, v36
	s_delay_alu instid0(VALU_DEP_1) | instskip(NEXT) | instid1(VALU_DEP_1)
	v_min_u32_e32 v3, 32, v3
	v_subrev_nc_u32_e32 v16, 28, v3
	s_delay_alu instid0(VALU_DEP_1) | instskip(NEXT) | instid1(VALU_DEP_1)
	v_lshlrev_b64_e32 v[16:17], v16, v[36:37]
	v_dual_sub_nc_u32 v3, 29, v3 :: v_dual_bitop2_b32 v16, 7, v16 bitop3:0x40
; %bb.6992:                             ;   in Loop: Header=BB4_6675 Depth=2
	s_or_b32 exec_lo, exec_lo, s40
	s_delay_alu instid0(VALU_DEP_1) | instskip(NEXT) | instid1(VALU_DEP_2)
	v_dual_lshlrev_b32 v2, 24, v2 :: v_dual_lshlrev_b32 v16, 20, v16
	v_lshl_add_u32 v3, v3, 23, 0x3c000000
	s_delay_alu instid0(VALU_DEP_2) | instskip(NEXT) | instid1(VALU_DEP_1)
	v_and_b32_e32 v2, 0x80000000, v2
	v_or3_b32 v3, v16, v2, v3
.LBB4_6993:                             ;   in Loop: Header=BB4_6675 Depth=2
	s_or_b32 exec_lo, exec_lo, s11
.LBB4_6994:                             ;   in Loop: Header=BB4_6675 Depth=2
	s_delay_alu instid0(SALU_CYCLE_1)
	s_or_b32 exec_lo, exec_lo, s10
.LBB4_6995:                             ;   in Loop: Header=BB4_6675 Depth=2
	s_delay_alu instid0(SALU_CYCLE_1) | instskip(NEXT) | instid1(VALU_DEP_1)
	s_or_b32 exec_lo, exec_lo, s7
	v_mul_f32_e32 v3, s29, v3
                                        ; implicit-def: $vgpr96
	s_mov_b32 s7, exec_lo
	s_delay_alu instid0(VALU_DEP_1) | instskip(SKIP_1) | instid1(VALU_DEP_2)
	v_and_b32_e32 v36, 0x7f800000, v3
	v_lshrrev_b32_e32 v2, 24, v3
	v_cmpx_ne_u64_e32 0x7f800000, v[36:37]
	s_xor_b32 s10, exec_lo, s7
	s_cbranch_execz .LBB4_7013
; %bb.6996:                             ;   in Loop: Header=BB4_6675 Depth=2
	v_and_b32_e32 v36, 0x7fffffff, v3
	v_and_b32_e32 v2, 0x80, v2
                                        ; implicit-def: $vgpr96
	s_mov_b32 s7, exec_lo
	s_delay_alu instid0(VALU_DEP_2)
	v_cmpx_gt_u64_e32 0x43e00001, v[36:37]
	s_xor_b32 s11, exec_lo, s7
	s_cbranch_execz .LBB4_7010
; %bb.6997:                             ;   in Loop: Header=BB4_6675 Depth=2
	v_mov_b32_e32 v96, 0
	s_mov_b32 s40, exec_lo
	v_cmpx_ne_u32_e32 0, v3
	s_cbranch_execz .LBB4_7009
; %bb.6998:                             ;   in Loop: Header=BB4_6675 Depth=2
	v_bfe_u32 v70, v3, 23, 8
	v_and_b32_e32 v3, 0x7fffff, v3
	s_delay_alu instid0(VALU_DEP_2) | instskip(SKIP_1) | instid1(VALU_DEP_3)
	v_sub_nc_u32_e32 v16, 0x79, v70
	v_cmp_gt_u32_e32 vcc_lo, 0x7a, v70
	v_or_b32_e32 v20, 0x800000, v3
	s_delay_alu instid0(VALU_DEP_3) | instskip(SKIP_1) | instid1(VALU_DEP_2)
	v_cndmask_b32_e32 v16, 0, v16, vcc_lo
	v_cmp_eq_u32_e32 vcc_lo, 0, v70
	v_cndmask_b32_e64 v71, v16, 0x78, vcc_lo
	s_delay_alu instid0(VALU_DEP_4) | instskip(NEXT) | instid1(VALU_DEP_2)
	v_cndmask_b32_e32 v36, v20, v3, vcc_lo
	v_dual_add_nc_u32 v16, 20, v71 :: v_dual_add_nc_u32 v21, 19, v71
	s_delay_alu instid0(VALU_DEP_1) | instskip(NEXT) | instid1(VALU_DEP_2)
	v_lshlrev_b64_e64 v[16:17], v16, -1
	v_lshlrev_b64_e64 v[20:21], v21, 1
	s_delay_alu instid0(VALU_DEP_2) | instskip(NEXT) | instid1(VALU_DEP_3)
	v_bfi_b32 v69, v17, 0, 0
	v_bfi_b32 v68, v16, 0, v36
	v_lshrrev_b64 v[16:17], v71, v[36:37]
	s_delay_alu instid0(VALU_DEP_2) | instskip(NEXT) | instid1(VALU_DEP_2)
	v_cmp_eq_u64_e64 s7, v[68:69], v[20:21]
	v_mov_b64_e32 v[68:69], v[16:17]
	s_and_saveexec_b32 s41, s7
; %bb.6999:                             ;   in Loop: Header=BB4_6675 Depth=2
	v_bfe_u32 v36, v16, 20, 1
	s_delay_alu instid0(VALU_DEP_1) | instskip(NEXT) | instid1(VALU_DEP_1)
	v_add_nc_u64_e32 v[20:21], v[16:17], v[36:37]
	v_add_nc_u64_e32 v[68:69], -1, v[20:21]
; %bb.7000:                             ;   in Loop: Header=BB4_6675 Depth=2
	s_or_b32 exec_lo, exec_lo, s41
	v_add_nc_u32_e32 v3, 0xffffff81, v70
	v_lshrrev_b32_e32 v17, 23, v16
	s_mov_b32 s7, exec_lo
	s_delay_alu instid0(VALU_DEP_2) | instskip(NEXT) | instid1(VALU_DEP_1)
	v_cndmask_b32_e64 v3, v3, 0xffffff82, vcc_lo
	v_add3_u32 v69, v71, v3, v17
	v_and_b32_e32 v3, 0xfffff, v68
	s_delay_alu instid0(VALU_DEP_1) | instskip(NEXT) | instid1(VALU_DEP_1)
	v_dual_add_nc_u32 v68, 6, v69 :: v_dual_add_nc_u32 v36, v3, v16
                                        ; implicit-def: $vgpr16_vgpr17
                                        ; implicit-def: $vgpr3
	v_cmpx_ne_u32_e32 0, v68
	s_xor_b32 s7, exec_lo, s7
; %bb.7001:                             ;   in Loop: Header=BB4_6675 Depth=2
	s_delay_alu instid0(VALU_DEP_2) | instskip(SKIP_2) | instid1(VALU_DEP_2)
	v_cmp_lt_u64_e32 vcc_lo, 0xffffff, v[36:37]
	v_add_nc_u32_e32 v3, 7, v69
	v_cndmask_b32_e64 v16, 0, 1, vcc_lo
	v_cndmask_b32_e32 v3, v68, v3, vcc_lo
	s_delay_alu instid0(VALU_DEP_2)
	v_lshrrev_b64 v[16:17], v16, v[36:37]
; %bb.7002:                             ;   in Loop: Header=BB4_6675 Depth=2
	s_and_not1_saveexec_b32 s7, s7
; %bb.7003:                             ;   in Loop: Header=BB4_6675 Depth=2
	v_mov_b64_e32 v[16:17], v[36:37]
	v_bfe_u32 v3, v36, 23, 1
; %bb.7004:                             ;   in Loop: Header=BB4_6675 Depth=2
	s_or_b32 exec_lo, exec_lo, s7
	s_delay_alu instid0(VALU_DEP_2) | instskip(NEXT) | instid1(VALU_DEP_2)
	v_lshrrev_b64 v[16:17], 20, v[16:17]
	v_cmp_gt_i32_e32 vcc_lo, 16, v3
	v_cmp_ne_u32_e64 s7, 0, v3
                                        ; implicit-def: $vgpr96
	s_delay_alu instid0(VALU_DEP_3) | instskip(NEXT) | instid1(VALU_DEP_1)
	v_dual_cndmask_b32 v17, 0, v17 :: v_dual_cndmask_b32 v16, 7, v16
	v_cmp_ne_u64_e32 vcc_lo, 0, v[16:17]
	s_or_b32 s7, s7, vcc_lo
	s_delay_alu instid0(SALU_CYCLE_1) | instskip(NEXT) | instid1(SALU_CYCLE_1)
	s_and_saveexec_b32 s41, s7
	s_xor_b32 s7, exec_lo, s41
; %bb.7005:                             ;   in Loop: Header=BB4_6675 Depth=2
	v_min_i32_e32 v3, 15, v3
	s_delay_alu instid0(VALU_DEP_1) | instskip(NEXT) | instid1(VALU_DEP_1)
	v_lshl_or_b32 v2, v3, 3, v2
	v_and_or_b32 v96, v16, 7, v2
                                        ; implicit-def: $vgpr2
; %bb.7006:                             ;   in Loop: Header=BB4_6675 Depth=2
	s_and_not1_saveexec_b32 s7, s7
; %bb.7007:                             ;   in Loop: Header=BB4_6675 Depth=2
	v_mov_b32_e32 v96, v2
; %bb.7008:                             ;   in Loop: Header=BB4_6675 Depth=2
	s_or_b32 exec_lo, exec_lo, s7
.LBB4_7009:                             ;   in Loop: Header=BB4_6675 Depth=2
	s_delay_alu instid0(SALU_CYCLE_1)
	s_or_b32 exec_lo, exec_lo, s40
                                        ; implicit-def: $vgpr2
.LBB4_7010:                             ;   in Loop: Header=BB4_6675 Depth=2
	s_and_not1_saveexec_b32 s7, s11
; %bb.7011:                             ;   in Loop: Header=BB4_6675 Depth=2
	v_or_b32_e32 v96, 0x7e, v2
; %bb.7012:                             ;   in Loop: Header=BB4_6675 Depth=2
	s_or_b32 exec_lo, exec_lo, s7
                                        ; implicit-def: $vgpr2
.LBB4_7013:                             ;   in Loop: Header=BB4_6675 Depth=2
	s_and_not1_saveexec_b32 s7, s10
; %bb.7014:                             ;   in Loop: Header=BB4_6675 Depth=2
	v_or_b32_e32 v96, 0x7f, v2
; %bb.7015:                             ;   in Loop: Header=BB4_6675 Depth=2
	s_or_b32 exec_lo, exec_lo, s7
	flat_load_u8 v2, v[10:11] offset:384 th:TH_LOAD_NT
	v_mov_b32_e32 v3, 0
	s_mov_b32 s7, exec_lo
	s_wait_loadcnt_dscnt 0x0
	v_cmpx_ne_u16_e32 0, v2
	s_cbranch_execz .LBB4_7023
; %bb.7016:                             ;   in Loop: Header=BB4_6675 Depth=2
	v_bfrev_b32_e32 v3, 1
	s_mov_b32 s10, exec_lo
	v_cmpx_ne_u16_e32 0x80, v2
	s_cbranch_execz .LBB4_7022
; %bb.7017:                             ;   in Loop: Header=BB4_6675 Depth=2
	v_and_b32_e32 v17, 0xffff, v2
	v_mov_b32_e32 v3, 0x7f800001
	s_mov_b32 s11, exec_lo
	s_delay_alu instid0(VALU_DEP_2) | instskip(NEXT) | instid1(VALU_DEP_1)
	v_and_b32_e32 v16, 0x7f, v17
	v_cmpx_ne_u32_e32 0x7f, v16
	s_cbranch_execz .LBB4_7021
; %bb.7018:                             ;   in Loop: Header=BB4_6675 Depth=2
	v_dual_lshrrev_b32 v3, 3, v16 :: v_dual_bitop2_b32 v36, 7, v17 bitop3:0x40
	v_cmp_gt_u32_e32 vcc_lo, 8, v16
	s_delay_alu instid0(VALU_DEP_2)
	v_mov_b64_e32 v[16:17], v[36:37]
	s_and_saveexec_b32 s40, vcc_lo
; %bb.7019:                             ;   in Loop: Header=BB4_6675 Depth=2
	v_clz_i32_u32_e32 v3, v36
	s_delay_alu instid0(VALU_DEP_1) | instskip(NEXT) | instid1(VALU_DEP_1)
	v_min_u32_e32 v3, 32, v3
	v_subrev_nc_u32_e32 v16, 28, v3
	s_delay_alu instid0(VALU_DEP_1) | instskip(NEXT) | instid1(VALU_DEP_1)
	v_lshlrev_b64_e32 v[16:17], v16, v[36:37]
	v_dual_sub_nc_u32 v3, 29, v3 :: v_dual_bitop2_b32 v16, 7, v16 bitop3:0x40
; %bb.7020:                             ;   in Loop: Header=BB4_6675 Depth=2
	s_or_b32 exec_lo, exec_lo, s40
	s_delay_alu instid0(VALU_DEP_1) | instskip(NEXT) | instid1(VALU_DEP_2)
	v_dual_lshlrev_b32 v2, 24, v2 :: v_dual_lshlrev_b32 v16, 20, v16
	v_lshl_add_u32 v3, v3, 23, 0x3c000000
	s_delay_alu instid0(VALU_DEP_2) | instskip(NEXT) | instid1(VALU_DEP_1)
	v_and_b32_e32 v2, 0x80000000, v2
	v_or3_b32 v3, v16, v2, v3
.LBB4_7021:                             ;   in Loop: Header=BB4_6675 Depth=2
	s_or_b32 exec_lo, exec_lo, s11
.LBB4_7022:                             ;   in Loop: Header=BB4_6675 Depth=2
	s_delay_alu instid0(SALU_CYCLE_1)
	s_or_b32 exec_lo, exec_lo, s10
.LBB4_7023:                             ;   in Loop: Header=BB4_6675 Depth=2
	s_delay_alu instid0(SALU_CYCLE_1) | instskip(NEXT) | instid1(VALU_DEP_1)
	s_or_b32 exec_lo, exec_lo, s7
	v_mul_f32_e32 v3, s29, v3
                                        ; implicit-def: $vgpr87
	s_mov_b32 s7, exec_lo
	s_delay_alu instid0(VALU_DEP_1) | instskip(SKIP_1) | instid1(VALU_DEP_2)
	v_and_b32_e32 v36, 0x7f800000, v3
	v_lshrrev_b32_e32 v2, 24, v3
	v_cmpx_ne_u64_e32 0x7f800000, v[36:37]
	s_xor_b32 s10, exec_lo, s7
	s_cbranch_execz .LBB4_7041
; %bb.7024:                             ;   in Loop: Header=BB4_6675 Depth=2
	v_and_b32_e32 v36, 0x7fffffff, v3
	v_and_b32_e32 v2, 0x80, v2
                                        ; implicit-def: $vgpr87
	s_mov_b32 s7, exec_lo
	s_delay_alu instid0(VALU_DEP_2)
	v_cmpx_gt_u64_e32 0x43e00001, v[36:37]
	s_xor_b32 s11, exec_lo, s7
	s_cbranch_execz .LBB4_7038
; %bb.7025:                             ;   in Loop: Header=BB4_6675 Depth=2
	v_mov_b32_e32 v87, 0
	s_mov_b32 s40, exec_lo
	v_cmpx_ne_u32_e32 0, v3
	s_cbranch_execz .LBB4_7037
; %bb.7026:                             ;   in Loop: Header=BB4_6675 Depth=2
	v_bfe_u32 v70, v3, 23, 8
	v_and_b32_e32 v3, 0x7fffff, v3
	s_delay_alu instid0(VALU_DEP_2) | instskip(SKIP_1) | instid1(VALU_DEP_3)
	v_sub_nc_u32_e32 v16, 0x79, v70
	v_cmp_gt_u32_e32 vcc_lo, 0x7a, v70
	v_or_b32_e32 v20, 0x800000, v3
	s_delay_alu instid0(VALU_DEP_3) | instskip(SKIP_1) | instid1(VALU_DEP_2)
	v_cndmask_b32_e32 v16, 0, v16, vcc_lo
	v_cmp_eq_u32_e32 vcc_lo, 0, v70
	v_cndmask_b32_e64 v71, v16, 0x78, vcc_lo
	s_delay_alu instid0(VALU_DEP_4) | instskip(NEXT) | instid1(VALU_DEP_2)
	v_cndmask_b32_e32 v36, v20, v3, vcc_lo
	v_dual_add_nc_u32 v16, 20, v71 :: v_dual_add_nc_u32 v21, 19, v71
	s_delay_alu instid0(VALU_DEP_1) | instskip(NEXT) | instid1(VALU_DEP_2)
	v_lshlrev_b64_e64 v[16:17], v16, -1
	v_lshlrev_b64_e64 v[20:21], v21, 1
	s_delay_alu instid0(VALU_DEP_2) | instskip(NEXT) | instid1(VALU_DEP_3)
	v_bfi_b32 v69, v17, 0, 0
	v_bfi_b32 v68, v16, 0, v36
	v_lshrrev_b64 v[16:17], v71, v[36:37]
	s_delay_alu instid0(VALU_DEP_2) | instskip(NEXT) | instid1(VALU_DEP_2)
	v_cmp_eq_u64_e64 s7, v[68:69], v[20:21]
	v_mov_b64_e32 v[68:69], v[16:17]
	s_and_saveexec_b32 s41, s7
; %bb.7027:                             ;   in Loop: Header=BB4_6675 Depth=2
	v_bfe_u32 v36, v16, 20, 1
	s_delay_alu instid0(VALU_DEP_1) | instskip(NEXT) | instid1(VALU_DEP_1)
	v_add_nc_u64_e32 v[20:21], v[16:17], v[36:37]
	v_add_nc_u64_e32 v[68:69], -1, v[20:21]
; %bb.7028:                             ;   in Loop: Header=BB4_6675 Depth=2
	s_or_b32 exec_lo, exec_lo, s41
	v_add_nc_u32_e32 v3, 0xffffff81, v70
	v_lshrrev_b32_e32 v17, 23, v16
	s_mov_b32 s7, exec_lo
	s_delay_alu instid0(VALU_DEP_2) | instskip(NEXT) | instid1(VALU_DEP_1)
	v_cndmask_b32_e64 v3, v3, 0xffffff82, vcc_lo
	v_add3_u32 v69, v71, v3, v17
	v_and_b32_e32 v3, 0xfffff, v68
	s_delay_alu instid0(VALU_DEP_1) | instskip(NEXT) | instid1(VALU_DEP_1)
	v_dual_add_nc_u32 v68, 6, v69 :: v_dual_add_nc_u32 v36, v3, v16
                                        ; implicit-def: $vgpr16_vgpr17
                                        ; implicit-def: $vgpr3
	v_cmpx_ne_u32_e32 0, v68
	s_xor_b32 s7, exec_lo, s7
; %bb.7029:                             ;   in Loop: Header=BB4_6675 Depth=2
	s_delay_alu instid0(VALU_DEP_2) | instskip(SKIP_2) | instid1(VALU_DEP_2)
	v_cmp_lt_u64_e32 vcc_lo, 0xffffff, v[36:37]
	v_add_nc_u32_e32 v3, 7, v69
	v_cndmask_b32_e64 v16, 0, 1, vcc_lo
	v_cndmask_b32_e32 v3, v68, v3, vcc_lo
	s_delay_alu instid0(VALU_DEP_2)
	v_lshrrev_b64 v[16:17], v16, v[36:37]
; %bb.7030:                             ;   in Loop: Header=BB4_6675 Depth=2
	s_and_not1_saveexec_b32 s7, s7
; %bb.7031:                             ;   in Loop: Header=BB4_6675 Depth=2
	v_mov_b64_e32 v[16:17], v[36:37]
	v_bfe_u32 v3, v36, 23, 1
; %bb.7032:                             ;   in Loop: Header=BB4_6675 Depth=2
	s_or_b32 exec_lo, exec_lo, s7
	s_delay_alu instid0(VALU_DEP_2) | instskip(NEXT) | instid1(VALU_DEP_2)
	v_lshrrev_b64 v[16:17], 20, v[16:17]
	v_cmp_gt_i32_e32 vcc_lo, 16, v3
	v_cmp_ne_u32_e64 s7, 0, v3
                                        ; implicit-def: $vgpr87
	s_delay_alu instid0(VALU_DEP_3) | instskip(NEXT) | instid1(VALU_DEP_1)
	v_dual_cndmask_b32 v17, 0, v17 :: v_dual_cndmask_b32 v16, 7, v16
	v_cmp_ne_u64_e32 vcc_lo, 0, v[16:17]
	s_or_b32 s7, s7, vcc_lo
	s_delay_alu instid0(SALU_CYCLE_1) | instskip(NEXT) | instid1(SALU_CYCLE_1)
	s_and_saveexec_b32 s41, s7
	s_xor_b32 s7, exec_lo, s41
; %bb.7033:                             ;   in Loop: Header=BB4_6675 Depth=2
	v_min_i32_e32 v3, 15, v3
	s_delay_alu instid0(VALU_DEP_1) | instskip(NEXT) | instid1(VALU_DEP_1)
	v_lshl_or_b32 v2, v3, 3, v2
	v_and_or_b32 v87, v16, 7, v2
                                        ; implicit-def: $vgpr2
; %bb.7034:                             ;   in Loop: Header=BB4_6675 Depth=2
	s_and_not1_saveexec_b32 s7, s7
; %bb.7035:                             ;   in Loop: Header=BB4_6675 Depth=2
	v_mov_b32_e32 v87, v2
; %bb.7036:                             ;   in Loop: Header=BB4_6675 Depth=2
	s_or_b32 exec_lo, exec_lo, s7
.LBB4_7037:                             ;   in Loop: Header=BB4_6675 Depth=2
	s_delay_alu instid0(SALU_CYCLE_1)
	s_or_b32 exec_lo, exec_lo, s40
                                        ; implicit-def: $vgpr2
.LBB4_7038:                             ;   in Loop: Header=BB4_6675 Depth=2
	s_and_not1_saveexec_b32 s7, s11
; %bb.7039:                             ;   in Loop: Header=BB4_6675 Depth=2
	v_or_b32_e32 v87, 0x7e, v2
; %bb.7040:                             ;   in Loop: Header=BB4_6675 Depth=2
	s_or_b32 exec_lo, exec_lo, s7
                                        ; implicit-def: $vgpr2
.LBB4_7041:                             ;   in Loop: Header=BB4_6675 Depth=2
	s_and_not1_saveexec_b32 s7, s10
; %bb.7042:                             ;   in Loop: Header=BB4_6675 Depth=2
	v_or_b32_e32 v87, 0x7f, v2
; %bb.7043:                             ;   in Loop: Header=BB4_6675 Depth=2
	s_or_b32 exec_lo, exec_lo, s7
	flat_load_u8 v2, v[10:11] offset:416 th:TH_LOAD_NT
	v_mov_b32_e32 v3, 0
	s_mov_b32 s7, exec_lo
	s_wait_loadcnt_dscnt 0x0
	v_cmpx_ne_u16_e32 0, v2
	s_cbranch_execz .LBB4_7051
; %bb.7044:                             ;   in Loop: Header=BB4_6675 Depth=2
	v_bfrev_b32_e32 v3, 1
	s_mov_b32 s10, exec_lo
	v_cmpx_ne_u16_e32 0x80, v2
	s_cbranch_execz .LBB4_7050
; %bb.7045:                             ;   in Loop: Header=BB4_6675 Depth=2
	v_and_b32_e32 v17, 0xffff, v2
	v_mov_b32_e32 v3, 0x7f800001
	s_mov_b32 s11, exec_lo
	s_delay_alu instid0(VALU_DEP_2) | instskip(NEXT) | instid1(VALU_DEP_1)
	v_and_b32_e32 v16, 0x7f, v17
	v_cmpx_ne_u32_e32 0x7f, v16
	s_cbranch_execz .LBB4_7049
; %bb.7046:                             ;   in Loop: Header=BB4_6675 Depth=2
	v_dual_lshrrev_b32 v3, 3, v16 :: v_dual_bitop2_b32 v36, 7, v17 bitop3:0x40
	v_cmp_gt_u32_e32 vcc_lo, 8, v16
	s_delay_alu instid0(VALU_DEP_2)
	v_mov_b64_e32 v[16:17], v[36:37]
	s_and_saveexec_b32 s40, vcc_lo
; %bb.7047:                             ;   in Loop: Header=BB4_6675 Depth=2
	v_clz_i32_u32_e32 v3, v36
	s_delay_alu instid0(VALU_DEP_1) | instskip(NEXT) | instid1(VALU_DEP_1)
	v_min_u32_e32 v3, 32, v3
	v_subrev_nc_u32_e32 v16, 28, v3
	s_delay_alu instid0(VALU_DEP_1) | instskip(NEXT) | instid1(VALU_DEP_1)
	v_lshlrev_b64_e32 v[16:17], v16, v[36:37]
	v_dual_sub_nc_u32 v3, 29, v3 :: v_dual_bitop2_b32 v16, 7, v16 bitop3:0x40
; %bb.7048:                             ;   in Loop: Header=BB4_6675 Depth=2
	s_or_b32 exec_lo, exec_lo, s40
	s_delay_alu instid0(VALU_DEP_1) | instskip(NEXT) | instid1(VALU_DEP_2)
	v_dual_lshlrev_b32 v2, 24, v2 :: v_dual_lshlrev_b32 v16, 20, v16
	v_lshl_add_u32 v3, v3, 23, 0x3c000000
	s_delay_alu instid0(VALU_DEP_2) | instskip(NEXT) | instid1(VALU_DEP_1)
	v_and_b32_e32 v2, 0x80000000, v2
	v_or3_b32 v3, v16, v2, v3
.LBB4_7049:                             ;   in Loop: Header=BB4_6675 Depth=2
	s_or_b32 exec_lo, exec_lo, s11
.LBB4_7050:                             ;   in Loop: Header=BB4_6675 Depth=2
	s_delay_alu instid0(SALU_CYCLE_1)
	s_or_b32 exec_lo, exec_lo, s10
.LBB4_7051:                             ;   in Loop: Header=BB4_6675 Depth=2
	s_delay_alu instid0(SALU_CYCLE_1) | instskip(NEXT) | instid1(VALU_DEP_1)
	s_or_b32 exec_lo, exec_lo, s7
	v_mul_f32_e32 v3, s29, v3
                                        ; implicit-def: $vgpr86
	s_mov_b32 s7, exec_lo
	s_delay_alu instid0(VALU_DEP_1) | instskip(SKIP_1) | instid1(VALU_DEP_2)
	v_and_b32_e32 v36, 0x7f800000, v3
	v_lshrrev_b32_e32 v2, 24, v3
	v_cmpx_ne_u64_e32 0x7f800000, v[36:37]
	s_xor_b32 s10, exec_lo, s7
	s_cbranch_execz .LBB4_7069
; %bb.7052:                             ;   in Loop: Header=BB4_6675 Depth=2
	v_and_b32_e32 v36, 0x7fffffff, v3
	v_and_b32_e32 v2, 0x80, v2
                                        ; implicit-def: $vgpr86
	s_mov_b32 s7, exec_lo
	s_delay_alu instid0(VALU_DEP_2)
	v_cmpx_gt_u64_e32 0x43e00001, v[36:37]
	s_xor_b32 s11, exec_lo, s7
	s_cbranch_execz .LBB4_7066
; %bb.7053:                             ;   in Loop: Header=BB4_6675 Depth=2
	v_mov_b32_e32 v86, 0
	s_mov_b32 s40, exec_lo
	v_cmpx_ne_u32_e32 0, v3
	s_cbranch_execz .LBB4_7065
; %bb.7054:                             ;   in Loop: Header=BB4_6675 Depth=2
	v_bfe_u32 v70, v3, 23, 8
	v_and_b32_e32 v3, 0x7fffff, v3
	s_delay_alu instid0(VALU_DEP_2) | instskip(SKIP_1) | instid1(VALU_DEP_3)
	v_sub_nc_u32_e32 v16, 0x79, v70
	v_cmp_gt_u32_e32 vcc_lo, 0x7a, v70
	v_or_b32_e32 v20, 0x800000, v3
	s_delay_alu instid0(VALU_DEP_3) | instskip(SKIP_1) | instid1(VALU_DEP_2)
	v_cndmask_b32_e32 v16, 0, v16, vcc_lo
	v_cmp_eq_u32_e32 vcc_lo, 0, v70
	v_cndmask_b32_e64 v71, v16, 0x78, vcc_lo
	s_delay_alu instid0(VALU_DEP_4) | instskip(NEXT) | instid1(VALU_DEP_2)
	v_cndmask_b32_e32 v36, v20, v3, vcc_lo
	v_dual_add_nc_u32 v16, 20, v71 :: v_dual_add_nc_u32 v21, 19, v71
	s_delay_alu instid0(VALU_DEP_1) | instskip(NEXT) | instid1(VALU_DEP_2)
	v_lshlrev_b64_e64 v[16:17], v16, -1
	v_lshlrev_b64_e64 v[20:21], v21, 1
	s_delay_alu instid0(VALU_DEP_2) | instskip(NEXT) | instid1(VALU_DEP_3)
	v_bfi_b32 v69, v17, 0, 0
	v_bfi_b32 v68, v16, 0, v36
	v_lshrrev_b64 v[16:17], v71, v[36:37]
	s_delay_alu instid0(VALU_DEP_2) | instskip(NEXT) | instid1(VALU_DEP_2)
	v_cmp_eq_u64_e64 s7, v[68:69], v[20:21]
	v_mov_b64_e32 v[68:69], v[16:17]
	s_and_saveexec_b32 s41, s7
; %bb.7055:                             ;   in Loop: Header=BB4_6675 Depth=2
	v_bfe_u32 v36, v16, 20, 1
	s_delay_alu instid0(VALU_DEP_1) | instskip(NEXT) | instid1(VALU_DEP_1)
	v_add_nc_u64_e32 v[20:21], v[16:17], v[36:37]
	v_add_nc_u64_e32 v[68:69], -1, v[20:21]
; %bb.7056:                             ;   in Loop: Header=BB4_6675 Depth=2
	s_or_b32 exec_lo, exec_lo, s41
	v_add_nc_u32_e32 v3, 0xffffff81, v70
	v_lshrrev_b32_e32 v17, 23, v16
	s_mov_b32 s7, exec_lo
	s_delay_alu instid0(VALU_DEP_2) | instskip(NEXT) | instid1(VALU_DEP_1)
	v_cndmask_b32_e64 v3, v3, 0xffffff82, vcc_lo
	v_add3_u32 v69, v71, v3, v17
	v_and_b32_e32 v3, 0xfffff, v68
	s_delay_alu instid0(VALU_DEP_1) | instskip(NEXT) | instid1(VALU_DEP_1)
	v_dual_add_nc_u32 v68, 6, v69 :: v_dual_add_nc_u32 v36, v3, v16
                                        ; implicit-def: $vgpr16_vgpr17
                                        ; implicit-def: $vgpr3
	v_cmpx_ne_u32_e32 0, v68
	s_xor_b32 s7, exec_lo, s7
; %bb.7057:                             ;   in Loop: Header=BB4_6675 Depth=2
	s_delay_alu instid0(VALU_DEP_2) | instskip(SKIP_2) | instid1(VALU_DEP_2)
	v_cmp_lt_u64_e32 vcc_lo, 0xffffff, v[36:37]
	v_add_nc_u32_e32 v3, 7, v69
	v_cndmask_b32_e64 v16, 0, 1, vcc_lo
	v_cndmask_b32_e32 v3, v68, v3, vcc_lo
	s_delay_alu instid0(VALU_DEP_2)
	v_lshrrev_b64 v[16:17], v16, v[36:37]
; %bb.7058:                             ;   in Loop: Header=BB4_6675 Depth=2
	s_and_not1_saveexec_b32 s7, s7
; %bb.7059:                             ;   in Loop: Header=BB4_6675 Depth=2
	v_mov_b64_e32 v[16:17], v[36:37]
	v_bfe_u32 v3, v36, 23, 1
; %bb.7060:                             ;   in Loop: Header=BB4_6675 Depth=2
	s_or_b32 exec_lo, exec_lo, s7
	s_delay_alu instid0(VALU_DEP_2) | instskip(NEXT) | instid1(VALU_DEP_2)
	v_lshrrev_b64 v[16:17], 20, v[16:17]
	v_cmp_gt_i32_e32 vcc_lo, 16, v3
	v_cmp_ne_u32_e64 s7, 0, v3
                                        ; implicit-def: $vgpr86
	s_delay_alu instid0(VALU_DEP_3) | instskip(NEXT) | instid1(VALU_DEP_1)
	v_dual_cndmask_b32 v17, 0, v17 :: v_dual_cndmask_b32 v16, 7, v16
	v_cmp_ne_u64_e32 vcc_lo, 0, v[16:17]
	s_or_b32 s7, s7, vcc_lo
	s_delay_alu instid0(SALU_CYCLE_1) | instskip(NEXT) | instid1(SALU_CYCLE_1)
	s_and_saveexec_b32 s41, s7
	s_xor_b32 s7, exec_lo, s41
; %bb.7061:                             ;   in Loop: Header=BB4_6675 Depth=2
	v_min_i32_e32 v3, 15, v3
	s_delay_alu instid0(VALU_DEP_1) | instskip(NEXT) | instid1(VALU_DEP_1)
	v_lshl_or_b32 v2, v3, 3, v2
	v_and_or_b32 v86, v16, 7, v2
                                        ; implicit-def: $vgpr2
; %bb.7062:                             ;   in Loop: Header=BB4_6675 Depth=2
	s_and_not1_saveexec_b32 s7, s7
; %bb.7063:                             ;   in Loop: Header=BB4_6675 Depth=2
	v_mov_b32_e32 v86, v2
; %bb.7064:                             ;   in Loop: Header=BB4_6675 Depth=2
	s_or_b32 exec_lo, exec_lo, s7
.LBB4_7065:                             ;   in Loop: Header=BB4_6675 Depth=2
	s_delay_alu instid0(SALU_CYCLE_1)
	s_or_b32 exec_lo, exec_lo, s40
                                        ; implicit-def: $vgpr2
.LBB4_7066:                             ;   in Loop: Header=BB4_6675 Depth=2
	s_and_not1_saveexec_b32 s7, s11
; %bb.7067:                             ;   in Loop: Header=BB4_6675 Depth=2
	v_or_b32_e32 v86, 0x7e, v2
; %bb.7068:                             ;   in Loop: Header=BB4_6675 Depth=2
	s_or_b32 exec_lo, exec_lo, s7
                                        ; implicit-def: $vgpr2
.LBB4_7069:                             ;   in Loop: Header=BB4_6675 Depth=2
	s_and_not1_saveexec_b32 s7, s10
; %bb.7070:                             ;   in Loop: Header=BB4_6675 Depth=2
	v_or_b32_e32 v86, 0x7f, v2
; %bb.7071:                             ;   in Loop: Header=BB4_6675 Depth=2
	s_or_b32 exec_lo, exec_lo, s7
	flat_load_u8 v2, v[10:11] offset:448 th:TH_LOAD_NT
	v_mov_b32_e32 v3, 0
	s_mov_b32 s7, exec_lo
	s_wait_loadcnt_dscnt 0x0
	v_cmpx_ne_u16_e32 0, v2
	s_cbranch_execz .LBB4_7079
; %bb.7072:                             ;   in Loop: Header=BB4_6675 Depth=2
	v_bfrev_b32_e32 v3, 1
	s_mov_b32 s10, exec_lo
	v_cmpx_ne_u16_e32 0x80, v2
	s_cbranch_execz .LBB4_7078
; %bb.7073:                             ;   in Loop: Header=BB4_6675 Depth=2
	v_and_b32_e32 v17, 0xffff, v2
	v_mov_b32_e32 v3, 0x7f800001
	s_mov_b32 s11, exec_lo
	s_delay_alu instid0(VALU_DEP_2) | instskip(NEXT) | instid1(VALU_DEP_1)
	v_and_b32_e32 v16, 0x7f, v17
	v_cmpx_ne_u32_e32 0x7f, v16
	s_cbranch_execz .LBB4_7077
; %bb.7074:                             ;   in Loop: Header=BB4_6675 Depth=2
	v_dual_lshrrev_b32 v3, 3, v16 :: v_dual_bitop2_b32 v36, 7, v17 bitop3:0x40
	v_cmp_gt_u32_e32 vcc_lo, 8, v16
	s_delay_alu instid0(VALU_DEP_2)
	v_mov_b64_e32 v[16:17], v[36:37]
	s_and_saveexec_b32 s40, vcc_lo
; %bb.7075:                             ;   in Loop: Header=BB4_6675 Depth=2
	v_clz_i32_u32_e32 v3, v36
	s_delay_alu instid0(VALU_DEP_1) | instskip(NEXT) | instid1(VALU_DEP_1)
	v_min_u32_e32 v3, 32, v3
	v_subrev_nc_u32_e32 v16, 28, v3
	s_delay_alu instid0(VALU_DEP_1) | instskip(NEXT) | instid1(VALU_DEP_1)
	v_lshlrev_b64_e32 v[16:17], v16, v[36:37]
	v_dual_sub_nc_u32 v3, 29, v3 :: v_dual_bitop2_b32 v16, 7, v16 bitop3:0x40
; %bb.7076:                             ;   in Loop: Header=BB4_6675 Depth=2
	s_or_b32 exec_lo, exec_lo, s40
	s_delay_alu instid0(VALU_DEP_1) | instskip(NEXT) | instid1(VALU_DEP_2)
	v_dual_lshlrev_b32 v2, 24, v2 :: v_dual_lshlrev_b32 v16, 20, v16
	v_lshl_add_u32 v3, v3, 23, 0x3c000000
	s_delay_alu instid0(VALU_DEP_2) | instskip(NEXT) | instid1(VALU_DEP_1)
	v_and_b32_e32 v2, 0x80000000, v2
	v_or3_b32 v3, v16, v2, v3
.LBB4_7077:                             ;   in Loop: Header=BB4_6675 Depth=2
	s_or_b32 exec_lo, exec_lo, s11
.LBB4_7078:                             ;   in Loop: Header=BB4_6675 Depth=2
	s_delay_alu instid0(SALU_CYCLE_1)
	s_or_b32 exec_lo, exec_lo, s10
.LBB4_7079:                             ;   in Loop: Header=BB4_6675 Depth=2
	s_delay_alu instid0(SALU_CYCLE_1) | instskip(NEXT) | instid1(VALU_DEP_1)
	s_or_b32 exec_lo, exec_lo, s7
	v_mul_f32_e32 v3, s29, v3
                                        ; implicit-def: $vgpr84
	s_mov_b32 s7, exec_lo
	s_delay_alu instid0(VALU_DEP_1) | instskip(SKIP_1) | instid1(VALU_DEP_2)
	v_and_b32_e32 v36, 0x7f800000, v3
	v_lshrrev_b32_e32 v2, 24, v3
	v_cmpx_ne_u64_e32 0x7f800000, v[36:37]
	s_xor_b32 s10, exec_lo, s7
	s_cbranch_execz .LBB4_7097
; %bb.7080:                             ;   in Loop: Header=BB4_6675 Depth=2
	v_and_b32_e32 v36, 0x7fffffff, v3
	v_and_b32_e32 v2, 0x80, v2
                                        ; implicit-def: $vgpr84
	s_mov_b32 s7, exec_lo
	s_delay_alu instid0(VALU_DEP_2)
	v_cmpx_gt_u64_e32 0x43e00001, v[36:37]
	s_xor_b32 s11, exec_lo, s7
	s_cbranch_execz .LBB4_7094
; %bb.7081:                             ;   in Loop: Header=BB4_6675 Depth=2
	v_mov_b32_e32 v84, 0
	s_mov_b32 s40, exec_lo
	v_cmpx_ne_u32_e32 0, v3
	s_cbranch_execz .LBB4_7093
; %bb.7082:                             ;   in Loop: Header=BB4_6675 Depth=2
	v_bfe_u32 v70, v3, 23, 8
	v_and_b32_e32 v3, 0x7fffff, v3
	s_delay_alu instid0(VALU_DEP_2) | instskip(SKIP_1) | instid1(VALU_DEP_3)
	v_sub_nc_u32_e32 v16, 0x79, v70
	v_cmp_gt_u32_e32 vcc_lo, 0x7a, v70
	v_or_b32_e32 v20, 0x800000, v3
	s_delay_alu instid0(VALU_DEP_3) | instskip(SKIP_1) | instid1(VALU_DEP_2)
	v_cndmask_b32_e32 v16, 0, v16, vcc_lo
	v_cmp_eq_u32_e32 vcc_lo, 0, v70
	v_cndmask_b32_e64 v71, v16, 0x78, vcc_lo
	s_delay_alu instid0(VALU_DEP_4) | instskip(NEXT) | instid1(VALU_DEP_2)
	v_cndmask_b32_e32 v36, v20, v3, vcc_lo
	v_dual_add_nc_u32 v16, 20, v71 :: v_dual_add_nc_u32 v21, 19, v71
	s_delay_alu instid0(VALU_DEP_1) | instskip(NEXT) | instid1(VALU_DEP_2)
	v_lshlrev_b64_e64 v[16:17], v16, -1
	v_lshlrev_b64_e64 v[20:21], v21, 1
	s_delay_alu instid0(VALU_DEP_2) | instskip(NEXT) | instid1(VALU_DEP_3)
	v_bfi_b32 v69, v17, 0, 0
	v_bfi_b32 v68, v16, 0, v36
	v_lshrrev_b64 v[16:17], v71, v[36:37]
	s_delay_alu instid0(VALU_DEP_2) | instskip(NEXT) | instid1(VALU_DEP_2)
	v_cmp_eq_u64_e64 s7, v[68:69], v[20:21]
	v_mov_b64_e32 v[68:69], v[16:17]
	s_and_saveexec_b32 s41, s7
; %bb.7083:                             ;   in Loop: Header=BB4_6675 Depth=2
	v_bfe_u32 v36, v16, 20, 1
	s_delay_alu instid0(VALU_DEP_1) | instskip(NEXT) | instid1(VALU_DEP_1)
	v_add_nc_u64_e32 v[20:21], v[16:17], v[36:37]
	v_add_nc_u64_e32 v[68:69], -1, v[20:21]
; %bb.7084:                             ;   in Loop: Header=BB4_6675 Depth=2
	s_or_b32 exec_lo, exec_lo, s41
	v_add_nc_u32_e32 v3, 0xffffff81, v70
	v_lshrrev_b32_e32 v17, 23, v16
	s_mov_b32 s7, exec_lo
	s_delay_alu instid0(VALU_DEP_2) | instskip(NEXT) | instid1(VALU_DEP_1)
	v_cndmask_b32_e64 v3, v3, 0xffffff82, vcc_lo
	v_add3_u32 v69, v71, v3, v17
	v_and_b32_e32 v3, 0xfffff, v68
	s_delay_alu instid0(VALU_DEP_1) | instskip(NEXT) | instid1(VALU_DEP_1)
	v_dual_add_nc_u32 v68, 6, v69 :: v_dual_add_nc_u32 v36, v3, v16
                                        ; implicit-def: $vgpr16_vgpr17
                                        ; implicit-def: $vgpr3
	v_cmpx_ne_u32_e32 0, v68
	s_xor_b32 s7, exec_lo, s7
; %bb.7085:                             ;   in Loop: Header=BB4_6675 Depth=2
	s_delay_alu instid0(VALU_DEP_2) | instskip(SKIP_2) | instid1(VALU_DEP_2)
	v_cmp_lt_u64_e32 vcc_lo, 0xffffff, v[36:37]
	v_add_nc_u32_e32 v3, 7, v69
	v_cndmask_b32_e64 v16, 0, 1, vcc_lo
	v_cndmask_b32_e32 v3, v68, v3, vcc_lo
	s_delay_alu instid0(VALU_DEP_2)
	v_lshrrev_b64 v[16:17], v16, v[36:37]
; %bb.7086:                             ;   in Loop: Header=BB4_6675 Depth=2
	s_and_not1_saveexec_b32 s7, s7
; %bb.7087:                             ;   in Loop: Header=BB4_6675 Depth=2
	v_mov_b64_e32 v[16:17], v[36:37]
	v_bfe_u32 v3, v36, 23, 1
; %bb.7088:                             ;   in Loop: Header=BB4_6675 Depth=2
	s_or_b32 exec_lo, exec_lo, s7
	s_delay_alu instid0(VALU_DEP_2) | instskip(NEXT) | instid1(VALU_DEP_2)
	v_lshrrev_b64 v[16:17], 20, v[16:17]
	v_cmp_gt_i32_e32 vcc_lo, 16, v3
	v_cmp_ne_u32_e64 s7, 0, v3
                                        ; implicit-def: $vgpr84
	s_delay_alu instid0(VALU_DEP_3) | instskip(NEXT) | instid1(VALU_DEP_1)
	v_dual_cndmask_b32 v17, 0, v17 :: v_dual_cndmask_b32 v16, 7, v16
	v_cmp_ne_u64_e32 vcc_lo, 0, v[16:17]
	s_or_b32 s7, s7, vcc_lo
	s_delay_alu instid0(SALU_CYCLE_1) | instskip(NEXT) | instid1(SALU_CYCLE_1)
	s_and_saveexec_b32 s41, s7
	s_xor_b32 s7, exec_lo, s41
; %bb.7089:                             ;   in Loop: Header=BB4_6675 Depth=2
	v_min_i32_e32 v3, 15, v3
	s_delay_alu instid0(VALU_DEP_1) | instskip(NEXT) | instid1(VALU_DEP_1)
	v_lshl_or_b32 v2, v3, 3, v2
	v_and_or_b32 v84, v16, 7, v2
                                        ; implicit-def: $vgpr2
; %bb.7090:                             ;   in Loop: Header=BB4_6675 Depth=2
	s_and_not1_saveexec_b32 s7, s7
; %bb.7091:                             ;   in Loop: Header=BB4_6675 Depth=2
	v_mov_b32_e32 v84, v2
; %bb.7092:                             ;   in Loop: Header=BB4_6675 Depth=2
	s_or_b32 exec_lo, exec_lo, s7
.LBB4_7093:                             ;   in Loop: Header=BB4_6675 Depth=2
	s_delay_alu instid0(SALU_CYCLE_1)
	s_or_b32 exec_lo, exec_lo, s40
                                        ; implicit-def: $vgpr2
.LBB4_7094:                             ;   in Loop: Header=BB4_6675 Depth=2
	s_and_not1_saveexec_b32 s7, s11
; %bb.7095:                             ;   in Loop: Header=BB4_6675 Depth=2
	v_or_b32_e32 v84, 0x7e, v2
; %bb.7096:                             ;   in Loop: Header=BB4_6675 Depth=2
	s_or_b32 exec_lo, exec_lo, s7
                                        ; implicit-def: $vgpr2
.LBB4_7097:                             ;   in Loop: Header=BB4_6675 Depth=2
	s_and_not1_saveexec_b32 s7, s10
; %bb.7098:                             ;   in Loop: Header=BB4_6675 Depth=2
	v_or_b32_e32 v84, 0x7f, v2
; %bb.7099:                             ;   in Loop: Header=BB4_6675 Depth=2
	s_or_b32 exec_lo, exec_lo, s7
	flat_load_u8 v2, v[10:11] offset:480 th:TH_LOAD_NT
	v_mov_b32_e32 v3, 0
	s_mov_b32 s7, exec_lo
	s_wait_loadcnt_dscnt 0x0
	v_cmpx_ne_u16_e32 0, v2
	s_cbranch_execz .LBB4_7107
; %bb.7100:                             ;   in Loop: Header=BB4_6675 Depth=2
	v_bfrev_b32_e32 v3, 1
	s_mov_b32 s10, exec_lo
	v_cmpx_ne_u16_e32 0x80, v2
	s_cbranch_execz .LBB4_7106
; %bb.7101:                             ;   in Loop: Header=BB4_6675 Depth=2
	v_and_b32_e32 v17, 0xffff, v2
	v_mov_b32_e32 v3, 0x7f800001
	s_mov_b32 s11, exec_lo
	s_delay_alu instid0(VALU_DEP_2) | instskip(NEXT) | instid1(VALU_DEP_1)
	v_and_b32_e32 v16, 0x7f, v17
	v_cmpx_ne_u32_e32 0x7f, v16
	s_cbranch_execz .LBB4_7105
; %bb.7102:                             ;   in Loop: Header=BB4_6675 Depth=2
	v_dual_lshrrev_b32 v3, 3, v16 :: v_dual_bitop2_b32 v36, 7, v17 bitop3:0x40
	v_cmp_gt_u32_e32 vcc_lo, 8, v16
	s_delay_alu instid0(VALU_DEP_2)
	v_mov_b64_e32 v[16:17], v[36:37]
	s_and_saveexec_b32 s40, vcc_lo
; %bb.7103:                             ;   in Loop: Header=BB4_6675 Depth=2
	v_clz_i32_u32_e32 v3, v36
	s_delay_alu instid0(VALU_DEP_1) | instskip(NEXT) | instid1(VALU_DEP_1)
	v_min_u32_e32 v3, 32, v3
	v_subrev_nc_u32_e32 v16, 28, v3
	s_delay_alu instid0(VALU_DEP_1) | instskip(NEXT) | instid1(VALU_DEP_1)
	v_lshlrev_b64_e32 v[16:17], v16, v[36:37]
	v_dual_sub_nc_u32 v3, 29, v3 :: v_dual_bitop2_b32 v16, 7, v16 bitop3:0x40
; %bb.7104:                             ;   in Loop: Header=BB4_6675 Depth=2
	s_or_b32 exec_lo, exec_lo, s40
	s_delay_alu instid0(VALU_DEP_1) | instskip(NEXT) | instid1(VALU_DEP_2)
	v_dual_lshlrev_b32 v2, 24, v2 :: v_dual_lshlrev_b32 v16, 20, v16
	v_lshl_add_u32 v3, v3, 23, 0x3c000000
	s_delay_alu instid0(VALU_DEP_2) | instskip(NEXT) | instid1(VALU_DEP_1)
	v_and_b32_e32 v2, 0x80000000, v2
	v_or3_b32 v3, v16, v2, v3
.LBB4_7105:                             ;   in Loop: Header=BB4_6675 Depth=2
	s_or_b32 exec_lo, exec_lo, s11
.LBB4_7106:                             ;   in Loop: Header=BB4_6675 Depth=2
	s_delay_alu instid0(SALU_CYCLE_1)
	s_or_b32 exec_lo, exec_lo, s10
.LBB4_7107:                             ;   in Loop: Header=BB4_6675 Depth=2
	s_delay_alu instid0(SALU_CYCLE_1) | instskip(NEXT) | instid1(VALU_DEP_1)
	s_or_b32 exec_lo, exec_lo, s7
	v_mul_f32_e32 v3, s29, v3
                                        ; implicit-def: $vgpr70
	s_mov_b32 s7, exec_lo
	s_delay_alu instid0(VALU_DEP_1) | instskip(SKIP_1) | instid1(VALU_DEP_2)
	v_and_b32_e32 v36, 0x7f800000, v3
	v_lshrrev_b32_e32 v2, 24, v3
	v_cmpx_ne_u64_e32 0x7f800000, v[36:37]
	s_xor_b32 s10, exec_lo, s7
	s_cbranch_execz .LBB4_7125
; %bb.7108:                             ;   in Loop: Header=BB4_6675 Depth=2
	v_and_b32_e32 v36, 0x7fffffff, v3
	v_and_b32_e32 v2, 0x80, v2
                                        ; implicit-def: $vgpr70
	s_mov_b32 s7, exec_lo
	s_delay_alu instid0(VALU_DEP_2)
	v_cmpx_gt_u64_e32 0x43e00001, v[36:37]
	s_xor_b32 s11, exec_lo, s7
	s_cbranch_execz .LBB4_7122
; %bb.7109:                             ;   in Loop: Header=BB4_6675 Depth=2
	v_mov_b32_e32 v70, 0
	s_mov_b32 s29, exec_lo
	v_cmpx_ne_u32_e32 0, v3
	s_cbranch_execz .LBB4_7121
; %bb.7110:                             ;   in Loop: Header=BB4_6675 Depth=2
	v_bfe_u32 v70, v3, 23, 8
	v_and_b32_e32 v3, 0x7fffff, v3
	s_delay_alu instid0(VALU_DEP_2) | instskip(SKIP_1) | instid1(VALU_DEP_3)
	v_sub_nc_u32_e32 v16, 0x79, v70
	v_cmp_gt_u32_e32 vcc_lo, 0x7a, v70
	v_or_b32_e32 v20, 0x800000, v3
	s_delay_alu instid0(VALU_DEP_3) | instskip(SKIP_1) | instid1(VALU_DEP_2)
	v_cndmask_b32_e32 v16, 0, v16, vcc_lo
	v_cmp_eq_u32_e32 vcc_lo, 0, v70
	v_cndmask_b32_e64 v71, v16, 0x78, vcc_lo
	s_delay_alu instid0(VALU_DEP_4) | instskip(NEXT) | instid1(VALU_DEP_2)
	v_cndmask_b32_e32 v36, v20, v3, vcc_lo
	v_dual_add_nc_u32 v16, 20, v71 :: v_dual_add_nc_u32 v21, 19, v71
	s_delay_alu instid0(VALU_DEP_1) | instskip(NEXT) | instid1(VALU_DEP_2)
	v_lshlrev_b64_e64 v[16:17], v16, -1
	v_lshlrev_b64_e64 v[20:21], v21, 1
	s_delay_alu instid0(VALU_DEP_2) | instskip(NEXT) | instid1(VALU_DEP_3)
	v_bfi_b32 v69, v17, 0, 0
	v_bfi_b32 v68, v16, 0, v36
	v_lshrrev_b64 v[16:17], v71, v[36:37]
	s_delay_alu instid0(VALU_DEP_2) | instskip(NEXT) | instid1(VALU_DEP_2)
	v_cmp_eq_u64_e64 s7, v[68:69], v[20:21]
	v_mov_b64_e32 v[68:69], v[16:17]
	s_and_saveexec_b32 s40, s7
; %bb.7111:                             ;   in Loop: Header=BB4_6675 Depth=2
	v_bfe_u32 v36, v16, 20, 1
	s_delay_alu instid0(VALU_DEP_1) | instskip(NEXT) | instid1(VALU_DEP_1)
	v_add_nc_u64_e32 v[20:21], v[16:17], v[36:37]
	v_add_nc_u64_e32 v[68:69], -1, v[20:21]
; %bb.7112:                             ;   in Loop: Header=BB4_6675 Depth=2
	s_or_b32 exec_lo, exec_lo, s40
	v_add_nc_u32_e32 v3, 0xffffff81, v70
	v_lshrrev_b32_e32 v17, 23, v16
	s_mov_b32 s7, exec_lo
	s_delay_alu instid0(VALU_DEP_2) | instskip(NEXT) | instid1(VALU_DEP_1)
	v_cndmask_b32_e64 v3, v3, 0xffffff82, vcc_lo
	v_add3_u32 v69, v71, v3, v17
	v_and_b32_e32 v3, 0xfffff, v68
	s_delay_alu instid0(VALU_DEP_1) | instskip(NEXT) | instid1(VALU_DEP_1)
	v_dual_add_nc_u32 v68, 6, v69 :: v_dual_add_nc_u32 v36, v3, v16
                                        ; implicit-def: $vgpr16_vgpr17
                                        ; implicit-def: $vgpr3
	v_cmpx_ne_u32_e32 0, v68
	s_xor_b32 s7, exec_lo, s7
; %bb.7113:                             ;   in Loop: Header=BB4_6675 Depth=2
	s_delay_alu instid0(VALU_DEP_2) | instskip(SKIP_2) | instid1(VALU_DEP_2)
	v_cmp_lt_u64_e32 vcc_lo, 0xffffff, v[36:37]
	v_add_nc_u32_e32 v3, 7, v69
	v_cndmask_b32_e64 v16, 0, 1, vcc_lo
	v_cndmask_b32_e32 v3, v68, v3, vcc_lo
	s_delay_alu instid0(VALU_DEP_2)
	v_lshrrev_b64 v[16:17], v16, v[36:37]
; %bb.7114:                             ;   in Loop: Header=BB4_6675 Depth=2
	s_and_not1_saveexec_b32 s7, s7
; %bb.7115:                             ;   in Loop: Header=BB4_6675 Depth=2
	v_mov_b64_e32 v[16:17], v[36:37]
	v_bfe_u32 v3, v36, 23, 1
; %bb.7116:                             ;   in Loop: Header=BB4_6675 Depth=2
	s_or_b32 exec_lo, exec_lo, s7
	s_delay_alu instid0(VALU_DEP_2) | instskip(NEXT) | instid1(VALU_DEP_2)
	v_lshrrev_b64 v[16:17], 20, v[16:17]
	v_cmp_gt_i32_e32 vcc_lo, 16, v3
	v_cmp_ne_u32_e64 s7, 0, v3
                                        ; implicit-def: $vgpr70
	s_delay_alu instid0(VALU_DEP_3) | instskip(NEXT) | instid1(VALU_DEP_1)
	v_dual_cndmask_b32 v17, 0, v17 :: v_dual_cndmask_b32 v16, 7, v16
	v_cmp_ne_u64_e32 vcc_lo, 0, v[16:17]
	s_or_b32 s7, s7, vcc_lo
	s_delay_alu instid0(SALU_CYCLE_1) | instskip(NEXT) | instid1(SALU_CYCLE_1)
	s_and_saveexec_b32 s40, s7
	s_xor_b32 s7, exec_lo, s40
; %bb.7117:                             ;   in Loop: Header=BB4_6675 Depth=2
	v_min_i32_e32 v3, 15, v3
	s_delay_alu instid0(VALU_DEP_1) | instskip(NEXT) | instid1(VALU_DEP_1)
	v_lshl_or_b32 v2, v3, 3, v2
	v_and_or_b32 v70, v16, 7, v2
                                        ; implicit-def: $vgpr2
; %bb.7118:                             ;   in Loop: Header=BB4_6675 Depth=2
	s_and_not1_saveexec_b32 s7, s7
; %bb.7119:                             ;   in Loop: Header=BB4_6675 Depth=2
	v_mov_b32_e32 v70, v2
; %bb.7120:                             ;   in Loop: Header=BB4_6675 Depth=2
	s_or_b32 exec_lo, exec_lo, s7
.LBB4_7121:                             ;   in Loop: Header=BB4_6675 Depth=2
	s_delay_alu instid0(SALU_CYCLE_1)
	s_or_b32 exec_lo, exec_lo, s29
                                        ; implicit-def: $vgpr2
.LBB4_7122:                             ;   in Loop: Header=BB4_6675 Depth=2
	s_and_not1_saveexec_b32 s7, s11
; %bb.7123:                             ;   in Loop: Header=BB4_6675 Depth=2
	v_or_b32_e32 v70, 0x7e, v2
; %bb.7124:                             ;   in Loop: Header=BB4_6675 Depth=2
	s_or_b32 exec_lo, exec_lo, s7
                                        ; implicit-def: $vgpr2
.LBB4_7125:                             ;   in Loop: Header=BB4_6675 Depth=2
	s_and_not1_saveexec_b32 s7, s10
; %bb.7126:                             ;   in Loop: Header=BB4_6675 Depth=2
	v_or_b32_e32 v70, 0x7f, v2
; %bb.7127:                             ;   in Loop: Header=BB4_6675 Depth=2
	s_or_b32 exec_lo, exec_lo, s7
	s_clause 0xf
	flat_load_u8 v3, v[12:13] th:TH_LOAD_NT
	flat_load_u8 v2, v[12:13] offset:32 th:TH_LOAD_NT
	flat_load_u8 v62, v[12:13] offset:64 th:TH_LOAD_NT
	;; [unrolled: 1-line block ×15, first 2 shown]
	v_and_b32_e32 v16, 0xff, v85
	v_dual_mov_b32 v68, 0 :: v_dual_mov_b32 v69, 0
	s_mov_b32 s7, exec_lo
	s_wait_xcnt 0x0
	s_delay_alu instid0(VALU_DEP_2)
	v_cmpx_ne_u16_e32 0, v16
	s_cbranch_execz .LBB4_7135
; %bb.7128:                             ;   in Loop: Header=BB4_6675 Depth=2
	v_bfrev_b32_e32 v69, 1
	s_mov_b32 s10, exec_lo
	v_cmpx_ne_u16_e32 0x80, v16
	s_cbranch_execz .LBB4_7134
; %bb.7129:                             ;   in Loop: Header=BB4_6675 Depth=2
	v_and_b32_e32 v17, 0x7f, v85
	v_mov_b32_e32 v69, 0x7f800001
	s_mov_b32 s11, exec_lo
	s_delay_alu instid0(VALU_DEP_2)
	v_cmpx_ne_u32_e32 0x7f, v17
	s_cbranch_execz .LBB4_7133
; %bb.7130:                             ;   in Loop: Header=BB4_6675 Depth=2
	v_dual_lshrrev_b32 v69, 3, v17 :: v_dual_bitop2_b32 v36, 7, v16 bitop3:0x40
	v_cmp_gt_u32_e32 vcc_lo, 8, v17
	s_delay_alu instid0(VALU_DEP_2)
	v_mov_b64_e32 v[16:17], v[36:37]
	s_and_saveexec_b32 s29, vcc_lo
; %bb.7131:                             ;   in Loop: Header=BB4_6675 Depth=2
	v_clz_i32_u32_e32 v16, v36
	s_delay_alu instid0(VALU_DEP_1) | instskip(NEXT) | instid1(VALU_DEP_1)
	v_min_u32_e32 v20, 32, v16
	v_subrev_nc_u32_e32 v16, 28, v20
	v_sub_nc_u32_e32 v69, 29, v20
	s_delay_alu instid0(VALU_DEP_2) | instskip(NEXT) | instid1(VALU_DEP_1)
	v_lshlrev_b64_e32 v[16:17], v16, v[36:37]
	v_and_b32_e32 v16, 7, v16
; %bb.7132:                             ;   in Loop: Header=BB4_6675 Depth=2
	s_or_b32 exec_lo, exec_lo, s29
	s_delay_alu instid0(VALU_DEP_1) | instskip(SKIP_1) | instid1(VALU_DEP_2)
	v_dual_lshlrev_b32 v17, 24, v85 :: v_dual_lshlrev_b32 v16, 20, v16
	v_lshl_add_u32 v20, v69, 23, 0x3c000000
	v_and_b32_e32 v17, 0x80000000, v17
	s_delay_alu instid0(VALU_DEP_1)
	v_or3_b32 v69, v16, v17, v20
.LBB4_7133:                             ;   in Loop: Header=BB4_6675 Depth=2
	s_or_b32 exec_lo, exec_lo, s11
.LBB4_7134:                             ;   in Loop: Header=BB4_6675 Depth=2
	s_delay_alu instid0(SALU_CYCLE_1)
	s_or_b32 exec_lo, exec_lo, s10
.LBB4_7135:                             ;   in Loop: Header=BB4_6675 Depth=2
	s_delay_alu instid0(SALU_CYCLE_1) | instskip(SKIP_3) | instid1(VALU_DEP_1)
	s_or_b32 exec_lo, exec_lo, s7
	s_wait_loadcnt_dscnt 0xf0f
	v_and_b32_e32 v16, 0xff, v3
	s_mov_b32 s7, exec_lo
	v_cmpx_ne_u16_e32 0, v16
	s_cbranch_execz .LBB4_7143
; %bb.7136:                             ;   in Loop: Header=BB4_6675 Depth=2
	v_bfrev_b32_e32 v68, 1
	s_mov_b32 s10, exec_lo
	v_cmpx_ne_u16_e32 0x80, v16
	s_cbranch_execz .LBB4_7142
; %bb.7137:                             ;   in Loop: Header=BB4_6675 Depth=2
	v_and_b32_e32 v17, 0x7f, v3
	v_mov_b32_e32 v68, 0x7f800001
	s_mov_b32 s11, exec_lo
	s_delay_alu instid0(VALU_DEP_2)
	v_cmpx_ne_u32_e32 0x7f, v17
	s_cbranch_execz .LBB4_7141
; %bb.7138:                             ;   in Loop: Header=BB4_6675 Depth=2
	v_dual_lshrrev_b32 v68, 3, v17 :: v_dual_bitop2_b32 v36, 7, v16 bitop3:0x40
	v_cmp_gt_u32_e32 vcc_lo, 8, v17
	s_delay_alu instid0(VALU_DEP_2)
	v_mov_b64_e32 v[16:17], v[36:37]
	s_and_saveexec_b32 s29, vcc_lo
; %bb.7139:                             ;   in Loop: Header=BB4_6675 Depth=2
	v_clz_i32_u32_e32 v16, v36
	s_delay_alu instid0(VALU_DEP_1) | instskip(NEXT) | instid1(VALU_DEP_1)
	v_min_u32_e32 v20, 32, v16
	v_subrev_nc_u32_e32 v16, 28, v20
	v_sub_nc_u32_e32 v68, 29, v20
	s_delay_alu instid0(VALU_DEP_2) | instskip(NEXT) | instid1(VALU_DEP_1)
	v_lshlrev_b64_e32 v[16:17], v16, v[36:37]
	v_and_b32_e32 v16, 7, v16
; %bb.7140:                             ;   in Loop: Header=BB4_6675 Depth=2
	s_or_b32 exec_lo, exec_lo, s29
	s_delay_alu instid0(VALU_DEP_1) | instskip(SKIP_1) | instid1(VALU_DEP_2)
	v_dual_lshlrev_b32 v3, 24, v3 :: v_dual_lshlrev_b32 v16, 20, v16
	v_lshl_add_u32 v17, v68, 23, 0x3c000000
	v_and_b32_e32 v3, 0x80000000, v3
	s_delay_alu instid0(VALU_DEP_1)
	v_or3_b32 v68, v16, v3, v17
.LBB4_7141:                             ;   in Loop: Header=BB4_6675 Depth=2
	s_or_b32 exec_lo, exec_lo, s11
.LBB4_7142:                             ;   in Loop: Header=BB4_6675 Depth=2
	s_delay_alu instid0(SALU_CYCLE_1)
	s_or_b32 exec_lo, exec_lo, s10
.LBB4_7143:                             ;   in Loop: Header=BB4_6675 Depth=2
	s_delay_alu instid0(SALU_CYCLE_1) | instskip(NEXT) | instid1(VALU_DEP_1)
	s_or_b32 exec_lo, exec_lo, s7
	v_add_f32_e32 v16, v69, v68
                                        ; implicit-def: $vgpr85
	s_mov_b32 s7, exec_lo
	s_delay_alu instid0(VALU_DEP_1) | instskip(SKIP_1) | instid1(VALU_DEP_2)
	v_and_b32_e32 v36, 0x7f800000, v16
	v_lshrrev_b32_e32 v3, 24, v16
	v_cmpx_ne_u64_e32 0x7f800000, v[36:37]
	s_xor_b32 s10, exec_lo, s7
	s_cbranch_execz .LBB4_7161
; %bb.7144:                             ;   in Loop: Header=BB4_6675 Depth=2
	v_and_b32_e32 v36, 0x7fffffff, v16
	v_and_b32_e32 v3, 0x80, v3
                                        ; implicit-def: $vgpr85
	s_mov_b32 s7, exec_lo
	s_delay_alu instid0(VALU_DEP_2)
	v_cmpx_gt_u64_e32 0x43e00001, v[36:37]
	s_xor_b32 s11, exec_lo, s7
	s_cbranch_execz .LBB4_7158
; %bb.7145:                             ;   in Loop: Header=BB4_6675 Depth=2
	v_mov_b32_e32 v85, 0
	s_mov_b32 s29, exec_lo
	v_cmpx_ne_u32_e32 0, v16
	s_cbranch_execz .LBB4_7157
; %bb.7146:                             ;   in Loop: Header=BB4_6675 Depth=2
	v_bfe_u32 v85, v16, 23, 8
	v_and_b32_e32 v20, 0x7fffff, v16
	s_delay_alu instid0(VALU_DEP_2) | instskip(NEXT) | instid1(VALU_DEP_2)
	v_cmp_gt_u32_e32 vcc_lo, 0x7a, v85
	v_or_b32_e32 v21, 0x800000, v20
	v_sub_nc_u32_e32 v17, 0x79, v85
	s_delay_alu instid0(VALU_DEP_1) | instskip(SKIP_1) | instid1(VALU_DEP_2)
	v_cndmask_b32_e32 v17, 0, v17, vcc_lo
	v_cmp_eq_u32_e32 vcc_lo, 0, v85
	v_cndmask_b32_e64 v113, v17, 0x78, vcc_lo
	s_delay_alu instid0(VALU_DEP_1) | instskip(SKIP_1) | instid1(VALU_DEP_2)
	v_dual_cndmask_b32 v36, v21, v20, vcc_lo :: v_dual_add_nc_u32 v16, 20, v113
	v_add_nc_u32_e32 v68, 19, v113
	v_lshlrev_b64_e64 v[16:17], v16, -1
	s_delay_alu instid0(VALU_DEP_2) | instskip(NEXT) | instid1(VALU_DEP_2)
	v_lshlrev_b64_e64 v[20:21], v68, 1
	v_bfi_b32 v69, v17, 0, 0
	s_delay_alu instid0(VALU_DEP_3) | instskip(SKIP_1) | instid1(VALU_DEP_2)
	v_bfi_b32 v68, v16, 0, v36
	v_lshrrev_b64 v[16:17], v113, v[36:37]
	v_cmp_eq_u64_e64 s7, v[68:69], v[20:21]
	s_delay_alu instid0(VALU_DEP_2)
	v_mov_b64_e32 v[68:69], v[16:17]
	s_and_saveexec_b32 s40, s7
; %bb.7147:                             ;   in Loop: Header=BB4_6675 Depth=2
	v_bfe_u32 v36, v16, 20, 1
	s_delay_alu instid0(VALU_DEP_1) | instskip(NEXT) | instid1(VALU_DEP_1)
	v_add_nc_u64_e32 v[20:21], v[16:17], v[36:37]
	v_add_nc_u64_e32 v[68:69], -1, v[20:21]
; %bb.7148:                             ;   in Loop: Header=BB4_6675 Depth=2
	s_or_b32 exec_lo, exec_lo, s40
	v_add_nc_u32_e32 v17, 0xffffff81, v85
	v_lshrrev_b32_e32 v20, 23, v16
	s_mov_b32 s7, exec_lo
	s_delay_alu instid0(VALU_DEP_2) | instskip(NEXT) | instid1(VALU_DEP_1)
	v_cndmask_b32_e64 v17, v17, 0xffffff82, vcc_lo
	v_add3_u32 v69, v113, v17, v20
	v_and_b32_e32 v17, 0xfffff, v68
                                        ; implicit-def: $vgpr68
	s_delay_alu instid0(VALU_DEP_1) | instskip(NEXT) | instid1(VALU_DEP_1)
	v_dual_add_nc_u32 v85, 6, v69 :: v_dual_add_nc_u32 v36, v17, v16
                                        ; implicit-def: $vgpr16_vgpr17
	v_cmpx_ne_u32_e32 0, v85
	s_xor_b32 s7, exec_lo, s7
; %bb.7149:                             ;   in Loop: Header=BB4_6675 Depth=2
	s_delay_alu instid0(VALU_DEP_2) | instskip(SKIP_1) | instid1(VALU_DEP_1)
	v_cmp_lt_u64_e32 vcc_lo, 0xffffff, v[36:37]
	v_add_nc_u32_e32 v16, 7, v69
	v_cndmask_b32_e32 v68, v85, v16, vcc_lo
	v_cndmask_b32_e64 v16, 0, 1, vcc_lo
	s_delay_alu instid0(VALU_DEP_1)
	v_lshrrev_b64 v[16:17], v16, v[36:37]
; %bb.7150:                             ;   in Loop: Header=BB4_6675 Depth=2
	s_and_not1_saveexec_b32 s7, s7
; %bb.7151:                             ;   in Loop: Header=BB4_6675 Depth=2
	v_mov_b64_e32 v[16:17], v[36:37]
	v_bfe_u32 v68, v36, 23, 1
; %bb.7152:                             ;   in Loop: Header=BB4_6675 Depth=2
	s_or_b32 exec_lo, exec_lo, s7
	s_delay_alu instid0(VALU_DEP_2) | instskip(NEXT) | instid1(VALU_DEP_2)
	v_lshrrev_b64 v[16:17], 20, v[16:17]
	v_cmp_gt_i32_e32 vcc_lo, 16, v68
	v_cmp_ne_u32_e64 s7, 0, v68
                                        ; implicit-def: $vgpr85
	s_delay_alu instid0(VALU_DEP_3) | instskip(NEXT) | instid1(VALU_DEP_1)
	v_dual_cndmask_b32 v17, 0, v17 :: v_dual_cndmask_b32 v16, 7, v16
	v_cmp_ne_u64_e32 vcc_lo, 0, v[16:17]
	s_or_b32 s7, s7, vcc_lo
	s_delay_alu instid0(SALU_CYCLE_1) | instskip(NEXT) | instid1(SALU_CYCLE_1)
	s_and_saveexec_b32 s40, s7
	s_xor_b32 s7, exec_lo, s40
; %bb.7153:                             ;   in Loop: Header=BB4_6675 Depth=2
	v_min_i32_e32 v17, 15, v68
	s_delay_alu instid0(VALU_DEP_1) | instskip(NEXT) | instid1(VALU_DEP_1)
	v_lshl_or_b32 v3, v17, 3, v3
	v_and_or_b32 v85, v16, 7, v3
                                        ; implicit-def: $vgpr3
; %bb.7154:                             ;   in Loop: Header=BB4_6675 Depth=2
	s_and_not1_saveexec_b32 s7, s7
; %bb.7155:                             ;   in Loop: Header=BB4_6675 Depth=2
	v_mov_b32_e32 v85, v3
; %bb.7156:                             ;   in Loop: Header=BB4_6675 Depth=2
	s_or_b32 exec_lo, exec_lo, s7
.LBB4_7157:                             ;   in Loop: Header=BB4_6675 Depth=2
	s_delay_alu instid0(SALU_CYCLE_1)
	s_or_b32 exec_lo, exec_lo, s29
                                        ; implicit-def: $vgpr3
.LBB4_7158:                             ;   in Loop: Header=BB4_6675 Depth=2
	s_and_not1_saveexec_b32 s7, s11
; %bb.7159:                             ;   in Loop: Header=BB4_6675 Depth=2
	v_or_b32_e32 v85, 0x7e, v3
; %bb.7160:                             ;   in Loop: Header=BB4_6675 Depth=2
	s_or_b32 exec_lo, exec_lo, s7
                                        ; implicit-def: $vgpr3
.LBB4_7161:                             ;   in Loop: Header=BB4_6675 Depth=2
	s_and_not1_saveexec_b32 s7, s10
; %bb.7162:                             ;   in Loop: Header=BB4_6675 Depth=2
	v_or_b32_e32 v85, 0x7f, v3
; %bb.7163:                             ;   in Loop: Header=BB4_6675 Depth=2
	s_or_b32 exec_lo, exec_lo, s7
	v_and_b32_e32 v16, 0xff, v114
	v_dual_mov_b32 v3, 0 :: v_dual_mov_b32 v68, 0
	s_mov_b32 s7, exec_lo
	s_delay_alu instid0(VALU_DEP_2)
	v_cmpx_ne_u16_e32 0, v16
	s_cbranch_execz .LBB4_7171
; %bb.7164:                             ;   in Loop: Header=BB4_6675 Depth=2
	v_bfrev_b32_e32 v68, 1
	s_mov_b32 s10, exec_lo
	v_cmpx_ne_u16_e32 0x80, v16
	s_cbranch_execz .LBB4_7170
; %bb.7165:                             ;   in Loop: Header=BB4_6675 Depth=2
	v_and_b32_e32 v17, 0x7f, v114
	v_mov_b32_e32 v68, 0x7f800001
	s_mov_b32 s11, exec_lo
	s_delay_alu instid0(VALU_DEP_2)
	v_cmpx_ne_u32_e32 0x7f, v17
	s_cbranch_execz .LBB4_7169
; %bb.7166:                             ;   in Loop: Header=BB4_6675 Depth=2
	v_dual_lshrrev_b32 v68, 3, v17 :: v_dual_bitop2_b32 v36, 7, v16 bitop3:0x40
	v_cmp_gt_u32_e32 vcc_lo, 8, v17
	s_delay_alu instid0(VALU_DEP_2)
	v_mov_b64_e32 v[16:17], v[36:37]
	s_and_saveexec_b32 s29, vcc_lo
; %bb.7167:                             ;   in Loop: Header=BB4_6675 Depth=2
	v_clz_i32_u32_e32 v16, v36
	s_delay_alu instid0(VALU_DEP_1) | instskip(NEXT) | instid1(VALU_DEP_1)
	v_min_u32_e32 v20, 32, v16
	v_subrev_nc_u32_e32 v16, 28, v20
	v_sub_nc_u32_e32 v68, 29, v20
	s_delay_alu instid0(VALU_DEP_2) | instskip(NEXT) | instid1(VALU_DEP_1)
	v_lshlrev_b64_e32 v[16:17], v16, v[36:37]
	v_and_b32_e32 v16, 7, v16
; %bb.7168:                             ;   in Loop: Header=BB4_6675 Depth=2
	s_or_b32 exec_lo, exec_lo, s29
	s_delay_alu instid0(VALU_DEP_1) | instskip(SKIP_1) | instid1(VALU_DEP_2)
	v_dual_lshlrev_b32 v17, 24, v114 :: v_dual_lshlrev_b32 v16, 20, v16
	v_lshl_add_u32 v20, v68, 23, 0x3c000000
	v_and_b32_e32 v17, 0x80000000, v17
	s_delay_alu instid0(VALU_DEP_1)
	v_or3_b32 v68, v16, v17, v20
.LBB4_7169:                             ;   in Loop: Header=BB4_6675 Depth=2
	s_or_b32 exec_lo, exec_lo, s11
.LBB4_7170:                             ;   in Loop: Header=BB4_6675 Depth=2
	s_delay_alu instid0(SALU_CYCLE_1)
	s_or_b32 exec_lo, exec_lo, s10
.LBB4_7171:                             ;   in Loop: Header=BB4_6675 Depth=2
	s_delay_alu instid0(SALU_CYCLE_1) | instskip(SKIP_3) | instid1(VALU_DEP_1)
	s_or_b32 exec_lo, exec_lo, s7
	s_wait_loadcnt_dscnt 0xe0e
	v_and_b32_e32 v16, 0xff, v2
	s_mov_b32 s7, exec_lo
	v_cmpx_ne_u16_e32 0, v16
	s_cbranch_execz .LBB4_7179
; %bb.7172:                             ;   in Loop: Header=BB4_6675 Depth=2
	v_bfrev_b32_e32 v3, 1
	s_mov_b32 s10, exec_lo
	v_cmpx_ne_u16_e32 0x80, v16
	s_cbranch_execz .LBB4_7178
; %bb.7173:                             ;   in Loop: Header=BB4_6675 Depth=2
	v_and_b32_e32 v17, 0x7f, v2
	v_mov_b32_e32 v3, 0x7f800001
	s_mov_b32 s11, exec_lo
	s_delay_alu instid0(VALU_DEP_2)
	v_cmpx_ne_u32_e32 0x7f, v17
	s_cbranch_execz .LBB4_7177
; %bb.7174:                             ;   in Loop: Header=BB4_6675 Depth=2
	v_dual_lshrrev_b32 v3, 3, v17 :: v_dual_bitop2_b32 v36, 7, v16 bitop3:0x40
	v_cmp_gt_u32_e32 vcc_lo, 8, v17
	s_delay_alu instid0(VALU_DEP_2)
	v_mov_b64_e32 v[16:17], v[36:37]
	s_and_saveexec_b32 s29, vcc_lo
; %bb.7175:                             ;   in Loop: Header=BB4_6675 Depth=2
	v_clz_i32_u32_e32 v3, v36
	s_delay_alu instid0(VALU_DEP_1) | instskip(NEXT) | instid1(VALU_DEP_1)
	v_min_u32_e32 v3, 32, v3
	v_subrev_nc_u32_e32 v16, 28, v3
	s_delay_alu instid0(VALU_DEP_1) | instskip(NEXT) | instid1(VALU_DEP_1)
	v_lshlrev_b64_e32 v[16:17], v16, v[36:37]
	v_dual_sub_nc_u32 v3, 29, v3 :: v_dual_bitop2_b32 v16, 7, v16 bitop3:0x40
; %bb.7176:                             ;   in Loop: Header=BB4_6675 Depth=2
	s_or_b32 exec_lo, exec_lo, s29
	s_delay_alu instid0(VALU_DEP_1) | instskip(NEXT) | instid1(VALU_DEP_2)
	v_dual_lshlrev_b32 v2, 24, v2 :: v_dual_lshlrev_b32 v16, 20, v16
	v_lshl_add_u32 v3, v3, 23, 0x3c000000
	s_delay_alu instid0(VALU_DEP_2) | instskip(NEXT) | instid1(VALU_DEP_1)
	v_and_b32_e32 v2, 0x80000000, v2
	v_or3_b32 v3, v16, v2, v3
.LBB4_7177:                             ;   in Loop: Header=BB4_6675 Depth=2
	s_or_b32 exec_lo, exec_lo, s11
.LBB4_7178:                             ;   in Loop: Header=BB4_6675 Depth=2
	s_delay_alu instid0(SALU_CYCLE_1)
	s_or_b32 exec_lo, exec_lo, s10
.LBB4_7179:                             ;   in Loop: Header=BB4_6675 Depth=2
	s_delay_alu instid0(SALU_CYCLE_1) | instskip(NEXT) | instid1(VALU_DEP_1)
	s_or_b32 exec_lo, exec_lo, s7
	v_add_f32_e32 v3, v68, v3
                                        ; implicit-def: $vgpr114
	s_mov_b32 s7, exec_lo
	s_delay_alu instid0(VALU_DEP_1) | instskip(SKIP_1) | instid1(VALU_DEP_2)
	v_and_b32_e32 v36, 0x7f800000, v3
	v_lshrrev_b32_e32 v2, 24, v3
	v_cmpx_ne_u64_e32 0x7f800000, v[36:37]
	s_xor_b32 s10, exec_lo, s7
	s_cbranch_execz .LBB4_7197
; %bb.7180:                             ;   in Loop: Header=BB4_6675 Depth=2
	v_and_b32_e32 v36, 0x7fffffff, v3
	v_and_b32_e32 v2, 0x80, v2
                                        ; implicit-def: $vgpr114
	s_mov_b32 s7, exec_lo
	s_delay_alu instid0(VALU_DEP_2)
	v_cmpx_gt_u64_e32 0x43e00001, v[36:37]
	s_xor_b32 s11, exec_lo, s7
	s_cbranch_execz .LBB4_7194
; %bb.7181:                             ;   in Loop: Header=BB4_6675 Depth=2
	v_mov_b32_e32 v114, 0
	s_mov_b32 s29, exec_lo
	v_cmpx_ne_u32_e32 0, v3
	s_cbranch_execz .LBB4_7193
; %bb.7182:                             ;   in Loop: Header=BB4_6675 Depth=2
	v_bfe_u32 v113, v3, 23, 8
	v_and_b32_e32 v3, 0x7fffff, v3
	s_delay_alu instid0(VALU_DEP_2) | instskip(SKIP_1) | instid1(VALU_DEP_3)
	v_sub_nc_u32_e32 v16, 0x79, v113
	v_cmp_gt_u32_e32 vcc_lo, 0x7a, v113
	v_or_b32_e32 v20, 0x800000, v3
	s_delay_alu instid0(VALU_DEP_3) | instskip(SKIP_1) | instid1(VALU_DEP_2)
	v_cndmask_b32_e32 v16, 0, v16, vcc_lo
	v_cmp_eq_u32_e32 vcc_lo, 0, v113
	v_cndmask_b32_e64 v114, v16, 0x78, vcc_lo
	s_delay_alu instid0(VALU_DEP_1) | instskip(SKIP_1) | instid1(VALU_DEP_2)
	v_dual_cndmask_b32 v36, v20, v3, vcc_lo :: v_dual_add_nc_u32 v16, 20, v114
	v_add_nc_u32_e32 v21, 19, v114
	v_lshlrev_b64_e64 v[16:17], v16, -1
	s_delay_alu instid0(VALU_DEP_2) | instskip(NEXT) | instid1(VALU_DEP_2)
	v_lshlrev_b64_e64 v[20:21], v21, 1
	v_bfi_b32 v69, v17, 0, 0
	s_delay_alu instid0(VALU_DEP_3) | instskip(SKIP_1) | instid1(VALU_DEP_2)
	v_bfi_b32 v68, v16, 0, v36
	v_lshrrev_b64 v[16:17], v114, v[36:37]
	v_cmp_eq_u64_e64 s7, v[68:69], v[20:21]
	s_delay_alu instid0(VALU_DEP_2)
	v_mov_b64_e32 v[68:69], v[16:17]
	s_and_saveexec_b32 s40, s7
; %bb.7183:                             ;   in Loop: Header=BB4_6675 Depth=2
	v_bfe_u32 v36, v16, 20, 1
	s_delay_alu instid0(VALU_DEP_1) | instskip(NEXT) | instid1(VALU_DEP_1)
	v_add_nc_u64_e32 v[20:21], v[16:17], v[36:37]
	v_add_nc_u64_e32 v[68:69], -1, v[20:21]
; %bb.7184:                             ;   in Loop: Header=BB4_6675 Depth=2
	s_or_b32 exec_lo, exec_lo, s40
	v_add_nc_u32_e32 v3, 0xffffff81, v113
	v_lshrrev_b32_e32 v17, 23, v16
	s_mov_b32 s7, exec_lo
	s_delay_alu instid0(VALU_DEP_2) | instskip(NEXT) | instid1(VALU_DEP_1)
	v_cndmask_b32_e64 v3, v3, 0xffffff82, vcc_lo
	v_add3_u32 v69, v114, v3, v17
	v_and_b32_e32 v3, 0xfffff, v68
	s_delay_alu instid0(VALU_DEP_1) | instskip(NEXT) | instid1(VALU_DEP_1)
	v_dual_add_nc_u32 v68, 6, v69 :: v_dual_add_nc_u32 v36, v3, v16
                                        ; implicit-def: $vgpr16_vgpr17
                                        ; implicit-def: $vgpr3
	v_cmpx_ne_u32_e32 0, v68
	s_xor_b32 s7, exec_lo, s7
; %bb.7185:                             ;   in Loop: Header=BB4_6675 Depth=2
	s_delay_alu instid0(VALU_DEP_2) | instskip(SKIP_2) | instid1(VALU_DEP_2)
	v_cmp_lt_u64_e32 vcc_lo, 0xffffff, v[36:37]
	v_add_nc_u32_e32 v3, 7, v69
	v_cndmask_b32_e64 v16, 0, 1, vcc_lo
	v_cndmask_b32_e32 v3, v68, v3, vcc_lo
	s_delay_alu instid0(VALU_DEP_2)
	v_lshrrev_b64 v[16:17], v16, v[36:37]
; %bb.7186:                             ;   in Loop: Header=BB4_6675 Depth=2
	s_and_not1_saveexec_b32 s7, s7
; %bb.7187:                             ;   in Loop: Header=BB4_6675 Depth=2
	v_mov_b64_e32 v[16:17], v[36:37]
	v_bfe_u32 v3, v36, 23, 1
; %bb.7188:                             ;   in Loop: Header=BB4_6675 Depth=2
	s_or_b32 exec_lo, exec_lo, s7
	s_delay_alu instid0(VALU_DEP_2) | instskip(NEXT) | instid1(VALU_DEP_2)
	v_lshrrev_b64 v[16:17], 20, v[16:17]
	v_cmp_gt_i32_e32 vcc_lo, 16, v3
	v_cmp_ne_u32_e64 s7, 0, v3
                                        ; implicit-def: $vgpr114
	s_delay_alu instid0(VALU_DEP_3) | instskip(NEXT) | instid1(VALU_DEP_1)
	v_dual_cndmask_b32 v17, 0, v17 :: v_dual_cndmask_b32 v16, 7, v16
	v_cmp_ne_u64_e32 vcc_lo, 0, v[16:17]
	s_or_b32 s7, s7, vcc_lo
	s_delay_alu instid0(SALU_CYCLE_1) | instskip(NEXT) | instid1(SALU_CYCLE_1)
	s_and_saveexec_b32 s40, s7
	s_xor_b32 s7, exec_lo, s40
; %bb.7189:                             ;   in Loop: Header=BB4_6675 Depth=2
	v_min_i32_e32 v3, 15, v3
	s_delay_alu instid0(VALU_DEP_1) | instskip(NEXT) | instid1(VALU_DEP_1)
	v_lshl_or_b32 v2, v3, 3, v2
	v_and_or_b32 v114, v16, 7, v2
                                        ; implicit-def: $vgpr2
; %bb.7190:                             ;   in Loop: Header=BB4_6675 Depth=2
	s_and_not1_saveexec_b32 s7, s7
; %bb.7191:                             ;   in Loop: Header=BB4_6675 Depth=2
	v_mov_b32_e32 v114, v2
; %bb.7192:                             ;   in Loop: Header=BB4_6675 Depth=2
	s_or_b32 exec_lo, exec_lo, s7
.LBB4_7193:                             ;   in Loop: Header=BB4_6675 Depth=2
	s_delay_alu instid0(SALU_CYCLE_1)
	s_or_b32 exec_lo, exec_lo, s29
                                        ; implicit-def: $vgpr2
.LBB4_7194:                             ;   in Loop: Header=BB4_6675 Depth=2
	s_and_not1_saveexec_b32 s7, s11
; %bb.7195:                             ;   in Loop: Header=BB4_6675 Depth=2
	v_or_b32_e32 v114, 0x7e, v2
; %bb.7196:                             ;   in Loop: Header=BB4_6675 Depth=2
	s_or_b32 exec_lo, exec_lo, s7
                                        ; implicit-def: $vgpr2
.LBB4_7197:                             ;   in Loop: Header=BB4_6675 Depth=2
	s_and_not1_saveexec_b32 s7, s10
; %bb.7198:                             ;   in Loop: Header=BB4_6675 Depth=2
	v_or_b32_e32 v114, 0x7f, v2
; %bb.7199:                             ;   in Loop: Header=BB4_6675 Depth=2
	s_or_b32 exec_lo, exec_lo, s7
	v_and_b32_e32 v16, 0xff, v41
	v_dual_mov_b32 v2, 0 :: v_dual_mov_b32 v3, 0
	s_mov_b32 s7, exec_lo
	s_delay_alu instid0(VALU_DEP_2)
	v_cmpx_ne_u16_e32 0, v16
	s_cbranch_execz .LBB4_7207
; %bb.7200:                             ;   in Loop: Header=BB4_6675 Depth=2
	v_bfrev_b32_e32 v3, 1
	s_mov_b32 s10, exec_lo
	v_cmpx_ne_u16_e32 0x80, v16
	s_cbranch_execz .LBB4_7206
; %bb.7201:                             ;   in Loop: Header=BB4_6675 Depth=2
	v_and_b32_e32 v17, 0x7f, v41
	v_mov_b32_e32 v3, 0x7f800001
	s_mov_b32 s11, exec_lo
	s_delay_alu instid0(VALU_DEP_2)
	v_cmpx_ne_u32_e32 0x7f, v17
	s_cbranch_execz .LBB4_7205
; %bb.7202:                             ;   in Loop: Header=BB4_6675 Depth=2
	v_dual_lshrrev_b32 v3, 3, v17 :: v_dual_bitop2_b32 v36, 7, v16 bitop3:0x40
	v_cmp_gt_u32_e32 vcc_lo, 8, v17
	s_delay_alu instid0(VALU_DEP_2)
	v_mov_b64_e32 v[16:17], v[36:37]
	s_and_saveexec_b32 s29, vcc_lo
; %bb.7203:                             ;   in Loop: Header=BB4_6675 Depth=2
	v_clz_i32_u32_e32 v3, v36
	s_delay_alu instid0(VALU_DEP_1) | instskip(NEXT) | instid1(VALU_DEP_1)
	v_min_u32_e32 v3, 32, v3
	v_subrev_nc_u32_e32 v16, 28, v3
	s_delay_alu instid0(VALU_DEP_1) | instskip(NEXT) | instid1(VALU_DEP_1)
	v_lshlrev_b64_e32 v[16:17], v16, v[36:37]
	v_dual_sub_nc_u32 v3, 29, v3 :: v_dual_bitop2_b32 v16, 7, v16 bitop3:0x40
; %bb.7204:                             ;   in Loop: Header=BB4_6675 Depth=2
	s_or_b32 exec_lo, exec_lo, s29
	s_delay_alu instid0(VALU_DEP_1) | instskip(NEXT) | instid1(VALU_DEP_2)
	v_dual_lshlrev_b32 v17, 24, v41 :: v_dual_lshlrev_b32 v16, 20, v16
	v_lshl_add_u32 v3, v3, 23, 0x3c000000
	s_delay_alu instid0(VALU_DEP_2) | instskip(NEXT) | instid1(VALU_DEP_1)
	v_and_b32_e32 v17, 0x80000000, v17
	v_or3_b32 v3, v16, v17, v3
.LBB4_7205:                             ;   in Loop: Header=BB4_6675 Depth=2
	s_or_b32 exec_lo, exec_lo, s11
.LBB4_7206:                             ;   in Loop: Header=BB4_6675 Depth=2
	s_delay_alu instid0(SALU_CYCLE_1)
	s_or_b32 exec_lo, exec_lo, s10
.LBB4_7207:                             ;   in Loop: Header=BB4_6675 Depth=2
	s_delay_alu instid0(SALU_CYCLE_1) | instskip(SKIP_3) | instid1(VALU_DEP_1)
	s_or_b32 exec_lo, exec_lo, s7
	s_wait_loadcnt_dscnt 0xd0d
	v_and_b32_e32 v16, 0xff, v62
	s_mov_b32 s7, exec_lo
	v_cmpx_ne_u16_e32 0, v16
	s_cbranch_execz .LBB4_7215
; %bb.7208:                             ;   in Loop: Header=BB4_6675 Depth=2
	v_bfrev_b32_e32 v2, 1
	s_mov_b32 s10, exec_lo
	v_cmpx_ne_u16_e32 0x80, v16
	s_cbranch_execz .LBB4_7214
; %bb.7209:                             ;   in Loop: Header=BB4_6675 Depth=2
	v_and_b32_e32 v17, 0x7f, v62
	v_mov_b32_e32 v2, 0x7f800001
	s_mov_b32 s11, exec_lo
	s_delay_alu instid0(VALU_DEP_2)
	v_cmpx_ne_u32_e32 0x7f, v17
	s_cbranch_execz .LBB4_7213
; %bb.7210:                             ;   in Loop: Header=BB4_6675 Depth=2
	v_dual_lshrrev_b32 v2, 3, v17 :: v_dual_bitop2_b32 v36, 7, v16 bitop3:0x40
	v_cmp_gt_u32_e32 vcc_lo, 8, v17
	s_delay_alu instid0(VALU_DEP_2)
	v_mov_b64_e32 v[16:17], v[36:37]
	s_and_saveexec_b32 s29, vcc_lo
; %bb.7211:                             ;   in Loop: Header=BB4_6675 Depth=2
	v_clz_i32_u32_e32 v2, v36
	s_delay_alu instid0(VALU_DEP_1) | instskip(NEXT) | instid1(VALU_DEP_1)
	v_min_u32_e32 v2, 32, v2
	v_subrev_nc_u32_e32 v16, 28, v2
	s_delay_alu instid0(VALU_DEP_1) | instskip(NEXT) | instid1(VALU_DEP_1)
	v_lshlrev_b64_e32 v[16:17], v16, v[36:37]
	v_dual_sub_nc_u32 v2, 29, v2 :: v_dual_bitop2_b32 v16, 7, v16 bitop3:0x40
; %bb.7212:                             ;   in Loop: Header=BB4_6675 Depth=2
	s_or_b32 exec_lo, exec_lo, s29
	s_delay_alu instid0(VALU_DEP_1) | instskip(NEXT) | instid1(VALU_DEP_2)
	v_dual_lshlrev_b32 v17, 24, v62 :: v_dual_lshlrev_b32 v16, 20, v16
	v_lshl_add_u32 v2, v2, 23, 0x3c000000
	s_delay_alu instid0(VALU_DEP_2) | instskip(NEXT) | instid1(VALU_DEP_1)
	v_and_b32_e32 v17, 0x80000000, v17
	v_or3_b32 v2, v16, v17, v2
.LBB4_7213:                             ;   in Loop: Header=BB4_6675 Depth=2
	s_or_b32 exec_lo, exec_lo, s11
.LBB4_7214:                             ;   in Loop: Header=BB4_6675 Depth=2
	s_delay_alu instid0(SALU_CYCLE_1)
	s_or_b32 exec_lo, exec_lo, s10
.LBB4_7215:                             ;   in Loop: Header=BB4_6675 Depth=2
	s_delay_alu instid0(SALU_CYCLE_1) | instskip(NEXT) | instid1(VALU_DEP_1)
	s_or_b32 exec_lo, exec_lo, s7
	v_add_f32_e32 v3, v3, v2
                                        ; implicit-def: $vgpr41
	s_mov_b32 s7, exec_lo
	s_delay_alu instid0(VALU_DEP_1) | instskip(SKIP_1) | instid1(VALU_DEP_2)
	v_and_b32_e32 v36, 0x7f800000, v3
	v_lshrrev_b32_e32 v2, 24, v3
	v_cmpx_ne_u64_e32 0x7f800000, v[36:37]
	s_xor_b32 s10, exec_lo, s7
	s_cbranch_execz .LBB4_7233
; %bb.7216:                             ;   in Loop: Header=BB4_6675 Depth=2
	v_and_b32_e32 v36, 0x7fffffff, v3
	v_and_b32_e32 v2, 0x80, v2
                                        ; implicit-def: $vgpr41
	s_mov_b32 s7, exec_lo
	s_delay_alu instid0(VALU_DEP_2)
	v_cmpx_gt_u64_e32 0x43e00001, v[36:37]
	s_xor_b32 s11, exec_lo, s7
	s_cbranch_execz .LBB4_7230
; %bb.7217:                             ;   in Loop: Header=BB4_6675 Depth=2
	v_mov_b32_e32 v41, 0
	s_mov_b32 s29, exec_lo
	v_cmpx_ne_u32_e32 0, v3
	s_cbranch_execz .LBB4_7229
; %bb.7218:                             ;   in Loop: Header=BB4_6675 Depth=2
	v_bfe_u32 v113, v3, 23, 8
	v_and_b32_e32 v3, 0x7fffff, v3
	s_delay_alu instid0(VALU_DEP_2) | instskip(SKIP_1) | instid1(VALU_DEP_3)
	v_sub_nc_u32_e32 v16, 0x79, v113
	v_cmp_gt_u32_e32 vcc_lo, 0x7a, v113
	v_or_b32_e32 v20, 0x800000, v3
	s_delay_alu instid0(VALU_DEP_3) | instskip(SKIP_1) | instid1(VALU_DEP_2)
	v_cndmask_b32_e32 v16, 0, v16, vcc_lo
	v_cmp_eq_u32_e32 vcc_lo, 0, v113
	v_cndmask_b32_e64 v41, v16, 0x78, vcc_lo
	s_delay_alu instid0(VALU_DEP_1) | instskip(SKIP_1) | instid1(VALU_DEP_2)
	v_dual_cndmask_b32 v36, v20, v3, vcc_lo :: v_dual_add_nc_u32 v16, 20, v41
	v_add_nc_u32_e32 v21, 19, v41
	v_lshlrev_b64_e64 v[16:17], v16, -1
	s_delay_alu instid0(VALU_DEP_2) | instskip(NEXT) | instid1(VALU_DEP_2)
	v_lshlrev_b64_e64 v[20:21], v21, 1
	v_bfi_b32 v69, v17, 0, 0
	s_delay_alu instid0(VALU_DEP_3) | instskip(SKIP_1) | instid1(VALU_DEP_2)
	v_bfi_b32 v68, v16, 0, v36
	v_lshrrev_b64 v[16:17], v41, v[36:37]
	v_cmp_eq_u64_e64 s7, v[68:69], v[20:21]
	s_delay_alu instid0(VALU_DEP_2)
	v_mov_b64_e32 v[68:69], v[16:17]
	s_and_saveexec_b32 s40, s7
; %bb.7219:                             ;   in Loop: Header=BB4_6675 Depth=2
	v_bfe_u32 v36, v16, 20, 1
	s_delay_alu instid0(VALU_DEP_1) | instskip(NEXT) | instid1(VALU_DEP_1)
	v_add_nc_u64_e32 v[20:21], v[16:17], v[36:37]
	v_add_nc_u64_e32 v[68:69], -1, v[20:21]
; %bb.7220:                             ;   in Loop: Header=BB4_6675 Depth=2
	s_or_b32 exec_lo, exec_lo, s40
	v_add_nc_u32_e32 v3, 0xffffff81, v113
	v_lshrrev_b32_e32 v17, 23, v16
	s_mov_b32 s7, exec_lo
	s_delay_alu instid0(VALU_DEP_2) | instskip(NEXT) | instid1(VALU_DEP_1)
	v_cndmask_b32_e64 v3, v3, 0xffffff82, vcc_lo
	v_add3_u32 v69, v41, v3, v17
	v_and_b32_e32 v3, 0xfffff, v68
	s_delay_alu instid0(VALU_DEP_1) | instskip(NEXT) | instid1(VALU_DEP_1)
	v_dual_add_nc_u32 v68, 6, v69 :: v_dual_add_nc_u32 v36, v3, v16
                                        ; implicit-def: $vgpr16_vgpr17
                                        ; implicit-def: $vgpr3
	v_cmpx_ne_u32_e32 0, v68
	s_xor_b32 s7, exec_lo, s7
; %bb.7221:                             ;   in Loop: Header=BB4_6675 Depth=2
	s_delay_alu instid0(VALU_DEP_2) | instskip(SKIP_2) | instid1(VALU_DEP_2)
	v_cmp_lt_u64_e32 vcc_lo, 0xffffff, v[36:37]
	v_add_nc_u32_e32 v3, 7, v69
	v_cndmask_b32_e64 v16, 0, 1, vcc_lo
	v_cndmask_b32_e32 v3, v68, v3, vcc_lo
	s_delay_alu instid0(VALU_DEP_2)
	v_lshrrev_b64 v[16:17], v16, v[36:37]
; %bb.7222:                             ;   in Loop: Header=BB4_6675 Depth=2
	s_and_not1_saveexec_b32 s7, s7
; %bb.7223:                             ;   in Loop: Header=BB4_6675 Depth=2
	v_mov_b64_e32 v[16:17], v[36:37]
	v_bfe_u32 v3, v36, 23, 1
; %bb.7224:                             ;   in Loop: Header=BB4_6675 Depth=2
	s_or_b32 exec_lo, exec_lo, s7
	s_delay_alu instid0(VALU_DEP_2) | instskip(NEXT) | instid1(VALU_DEP_2)
	v_lshrrev_b64 v[16:17], 20, v[16:17]
	v_cmp_gt_i32_e32 vcc_lo, 16, v3
	v_cmp_ne_u32_e64 s7, 0, v3
                                        ; implicit-def: $vgpr41
	s_delay_alu instid0(VALU_DEP_3) | instskip(NEXT) | instid1(VALU_DEP_1)
	v_dual_cndmask_b32 v17, 0, v17 :: v_dual_cndmask_b32 v16, 7, v16
	v_cmp_ne_u64_e32 vcc_lo, 0, v[16:17]
	s_or_b32 s7, s7, vcc_lo
	s_delay_alu instid0(SALU_CYCLE_1) | instskip(NEXT) | instid1(SALU_CYCLE_1)
	s_and_saveexec_b32 s40, s7
	s_xor_b32 s7, exec_lo, s40
; %bb.7225:                             ;   in Loop: Header=BB4_6675 Depth=2
	v_min_i32_e32 v3, 15, v3
	s_delay_alu instid0(VALU_DEP_1) | instskip(NEXT) | instid1(VALU_DEP_1)
	v_lshl_or_b32 v2, v3, 3, v2
	v_and_or_b32 v41, v16, 7, v2
                                        ; implicit-def: $vgpr2
; %bb.7226:                             ;   in Loop: Header=BB4_6675 Depth=2
	s_and_not1_saveexec_b32 s7, s7
; %bb.7227:                             ;   in Loop: Header=BB4_6675 Depth=2
	v_mov_b32_e32 v41, v2
; %bb.7228:                             ;   in Loop: Header=BB4_6675 Depth=2
	s_or_b32 exec_lo, exec_lo, s7
.LBB4_7229:                             ;   in Loop: Header=BB4_6675 Depth=2
	s_delay_alu instid0(SALU_CYCLE_1)
	s_or_b32 exec_lo, exec_lo, s29
                                        ; implicit-def: $vgpr2
.LBB4_7230:                             ;   in Loop: Header=BB4_6675 Depth=2
	s_and_not1_saveexec_b32 s7, s11
; %bb.7231:                             ;   in Loop: Header=BB4_6675 Depth=2
	v_or_b32_e32 v41, 0x7e, v2
; %bb.7232:                             ;   in Loop: Header=BB4_6675 Depth=2
	s_or_b32 exec_lo, exec_lo, s7
                                        ; implicit-def: $vgpr2
.LBB4_7233:                             ;   in Loop: Header=BB4_6675 Depth=2
	s_and_not1_saveexec_b32 s7, s10
; %bb.7234:                             ;   in Loop: Header=BB4_6675 Depth=2
	v_or_b32_e32 v41, 0x7f, v2
; %bb.7235:                             ;   in Loop: Header=BB4_6675 Depth=2
	s_or_b32 exec_lo, exec_lo, s7
	v_and_b32_e32 v16, 0xff, v43
	v_dual_mov_b32 v2, 0 :: v_dual_mov_b32 v3, 0
	s_mov_b32 s7, exec_lo
	s_delay_alu instid0(VALU_DEP_2)
	v_cmpx_ne_u16_e32 0, v16
	s_cbranch_execz .LBB4_7243
; %bb.7236:                             ;   in Loop: Header=BB4_6675 Depth=2
	v_bfrev_b32_e32 v3, 1
	s_mov_b32 s10, exec_lo
	v_cmpx_ne_u16_e32 0x80, v16
	s_cbranch_execz .LBB4_7242
; %bb.7237:                             ;   in Loop: Header=BB4_6675 Depth=2
	v_and_b32_e32 v17, 0x7f, v43
	v_mov_b32_e32 v3, 0x7f800001
	s_mov_b32 s11, exec_lo
	s_delay_alu instid0(VALU_DEP_2)
	v_cmpx_ne_u32_e32 0x7f, v17
	s_cbranch_execz .LBB4_7241
; %bb.7238:                             ;   in Loop: Header=BB4_6675 Depth=2
	v_dual_lshrrev_b32 v3, 3, v17 :: v_dual_bitop2_b32 v36, 7, v16 bitop3:0x40
	v_cmp_gt_u32_e32 vcc_lo, 8, v17
	s_delay_alu instid0(VALU_DEP_2)
	v_mov_b64_e32 v[16:17], v[36:37]
	s_and_saveexec_b32 s29, vcc_lo
; %bb.7239:                             ;   in Loop: Header=BB4_6675 Depth=2
	v_clz_i32_u32_e32 v3, v36
	s_delay_alu instid0(VALU_DEP_1) | instskip(NEXT) | instid1(VALU_DEP_1)
	v_min_u32_e32 v3, 32, v3
	v_subrev_nc_u32_e32 v16, 28, v3
	s_delay_alu instid0(VALU_DEP_1) | instskip(NEXT) | instid1(VALU_DEP_1)
	v_lshlrev_b64_e32 v[16:17], v16, v[36:37]
	v_dual_sub_nc_u32 v3, 29, v3 :: v_dual_bitop2_b32 v16, 7, v16 bitop3:0x40
; %bb.7240:                             ;   in Loop: Header=BB4_6675 Depth=2
	s_or_b32 exec_lo, exec_lo, s29
	s_delay_alu instid0(VALU_DEP_1) | instskip(NEXT) | instid1(VALU_DEP_2)
	v_dual_lshlrev_b32 v17, 24, v43 :: v_dual_lshlrev_b32 v16, 20, v16
	v_lshl_add_u32 v3, v3, 23, 0x3c000000
	s_delay_alu instid0(VALU_DEP_2) | instskip(NEXT) | instid1(VALU_DEP_1)
	v_and_b32_e32 v17, 0x80000000, v17
	v_or3_b32 v3, v16, v17, v3
.LBB4_7241:                             ;   in Loop: Header=BB4_6675 Depth=2
	s_or_b32 exec_lo, exec_lo, s11
.LBB4_7242:                             ;   in Loop: Header=BB4_6675 Depth=2
	s_delay_alu instid0(SALU_CYCLE_1)
	s_or_b32 exec_lo, exec_lo, s10
.LBB4_7243:                             ;   in Loop: Header=BB4_6675 Depth=2
	s_delay_alu instid0(SALU_CYCLE_1) | instskip(SKIP_3) | instid1(VALU_DEP_1)
	s_or_b32 exec_lo, exec_lo, s7
	s_wait_loadcnt_dscnt 0xc0c
	v_and_b32_e32 v16, 0xff, v61
	s_mov_b32 s7, exec_lo
	v_cmpx_ne_u16_e32 0, v16
	s_cbranch_execz .LBB4_7251
; %bb.7244:                             ;   in Loop: Header=BB4_6675 Depth=2
	v_bfrev_b32_e32 v2, 1
	s_mov_b32 s10, exec_lo
	v_cmpx_ne_u16_e32 0x80, v16
	s_cbranch_execz .LBB4_7250
; %bb.7245:                             ;   in Loop: Header=BB4_6675 Depth=2
	v_and_b32_e32 v17, 0x7f, v61
	v_mov_b32_e32 v2, 0x7f800001
	s_mov_b32 s11, exec_lo
	s_delay_alu instid0(VALU_DEP_2)
	v_cmpx_ne_u32_e32 0x7f, v17
	s_cbranch_execz .LBB4_7249
; %bb.7246:                             ;   in Loop: Header=BB4_6675 Depth=2
	v_dual_lshrrev_b32 v2, 3, v17 :: v_dual_bitop2_b32 v36, 7, v16 bitop3:0x40
	v_cmp_gt_u32_e32 vcc_lo, 8, v17
	s_delay_alu instid0(VALU_DEP_2)
	v_mov_b64_e32 v[16:17], v[36:37]
	s_and_saveexec_b32 s29, vcc_lo
; %bb.7247:                             ;   in Loop: Header=BB4_6675 Depth=2
	v_clz_i32_u32_e32 v2, v36
	s_delay_alu instid0(VALU_DEP_1) | instskip(NEXT) | instid1(VALU_DEP_1)
	v_min_u32_e32 v2, 32, v2
	v_subrev_nc_u32_e32 v16, 28, v2
	s_delay_alu instid0(VALU_DEP_1) | instskip(NEXT) | instid1(VALU_DEP_1)
	v_lshlrev_b64_e32 v[16:17], v16, v[36:37]
	v_dual_sub_nc_u32 v2, 29, v2 :: v_dual_bitop2_b32 v16, 7, v16 bitop3:0x40
; %bb.7248:                             ;   in Loop: Header=BB4_6675 Depth=2
	s_or_b32 exec_lo, exec_lo, s29
	s_delay_alu instid0(VALU_DEP_1) | instskip(NEXT) | instid1(VALU_DEP_2)
	v_dual_lshlrev_b32 v17, 24, v61 :: v_dual_lshlrev_b32 v16, 20, v16
	v_lshl_add_u32 v2, v2, 23, 0x3c000000
	s_delay_alu instid0(VALU_DEP_2) | instskip(NEXT) | instid1(VALU_DEP_1)
	v_and_b32_e32 v17, 0x80000000, v17
	v_or3_b32 v2, v16, v17, v2
.LBB4_7249:                             ;   in Loop: Header=BB4_6675 Depth=2
	s_or_b32 exec_lo, exec_lo, s11
.LBB4_7250:                             ;   in Loop: Header=BB4_6675 Depth=2
	s_delay_alu instid0(SALU_CYCLE_1)
	s_or_b32 exec_lo, exec_lo, s10
.LBB4_7251:                             ;   in Loop: Header=BB4_6675 Depth=2
	s_delay_alu instid0(SALU_CYCLE_1) | instskip(NEXT) | instid1(VALU_DEP_1)
	s_or_b32 exec_lo, exec_lo, s7
	v_add_f32_e32 v3, v3, v2
                                        ; implicit-def: $vgpr43
	s_mov_b32 s7, exec_lo
	s_delay_alu instid0(VALU_DEP_1) | instskip(SKIP_1) | instid1(VALU_DEP_2)
	v_and_b32_e32 v36, 0x7f800000, v3
	v_lshrrev_b32_e32 v2, 24, v3
	v_cmpx_ne_u64_e32 0x7f800000, v[36:37]
	s_xor_b32 s10, exec_lo, s7
	s_cbranch_execz .LBB4_7269
; %bb.7252:                             ;   in Loop: Header=BB4_6675 Depth=2
	v_and_b32_e32 v36, 0x7fffffff, v3
	v_and_b32_e32 v2, 0x80, v2
                                        ; implicit-def: $vgpr43
	s_mov_b32 s7, exec_lo
	s_delay_alu instid0(VALU_DEP_2)
	v_cmpx_gt_u64_e32 0x43e00001, v[36:37]
	s_xor_b32 s11, exec_lo, s7
	s_cbranch_execz .LBB4_7266
; %bb.7253:                             ;   in Loop: Header=BB4_6675 Depth=2
	v_mov_b32_e32 v43, 0
	s_mov_b32 s29, exec_lo
	v_cmpx_ne_u32_e32 0, v3
	s_cbranch_execz .LBB4_7265
; %bb.7254:                             ;   in Loop: Header=BB4_6675 Depth=2
	v_bfe_u32 v113, v3, 23, 8
	v_and_b32_e32 v3, 0x7fffff, v3
	s_delay_alu instid0(VALU_DEP_2) | instskip(SKIP_1) | instid1(VALU_DEP_3)
	v_sub_nc_u32_e32 v16, 0x79, v113
	v_cmp_gt_u32_e32 vcc_lo, 0x7a, v113
	v_or_b32_e32 v20, 0x800000, v3
	s_delay_alu instid0(VALU_DEP_3) | instskip(SKIP_1) | instid1(VALU_DEP_2)
	v_cndmask_b32_e32 v16, 0, v16, vcc_lo
	v_cmp_eq_u32_e32 vcc_lo, 0, v113
	v_cndmask_b32_e64 v43, v16, 0x78, vcc_lo
	s_delay_alu instid0(VALU_DEP_4) | instskip(NEXT) | instid1(VALU_DEP_2)
	v_cndmask_b32_e32 v36, v20, v3, vcc_lo
	v_dual_add_nc_u32 v16, 20, v43 :: v_dual_add_nc_u32 v21, 19, v43
	s_delay_alu instid0(VALU_DEP_1) | instskip(NEXT) | instid1(VALU_DEP_2)
	v_lshlrev_b64_e64 v[16:17], v16, -1
	v_lshlrev_b64_e64 v[20:21], v21, 1
	s_delay_alu instid0(VALU_DEP_2) | instskip(NEXT) | instid1(VALU_DEP_3)
	v_bfi_b32 v69, v17, 0, 0
	v_bfi_b32 v68, v16, 0, v36
	v_lshrrev_b64 v[16:17], v43, v[36:37]
	s_delay_alu instid0(VALU_DEP_2) | instskip(NEXT) | instid1(VALU_DEP_2)
	v_cmp_eq_u64_e64 s7, v[68:69], v[20:21]
	v_mov_b64_e32 v[68:69], v[16:17]
	s_and_saveexec_b32 s40, s7
; %bb.7255:                             ;   in Loop: Header=BB4_6675 Depth=2
	v_bfe_u32 v36, v16, 20, 1
	s_delay_alu instid0(VALU_DEP_1) | instskip(NEXT) | instid1(VALU_DEP_1)
	v_add_nc_u64_e32 v[20:21], v[16:17], v[36:37]
	v_add_nc_u64_e32 v[68:69], -1, v[20:21]
; %bb.7256:                             ;   in Loop: Header=BB4_6675 Depth=2
	s_or_b32 exec_lo, exec_lo, s40
	v_add_nc_u32_e32 v3, 0xffffff81, v113
	v_lshrrev_b32_e32 v17, 23, v16
	s_mov_b32 s7, exec_lo
	s_delay_alu instid0(VALU_DEP_2) | instskip(NEXT) | instid1(VALU_DEP_1)
	v_cndmask_b32_e64 v3, v3, 0xffffff82, vcc_lo
	v_add3_u32 v69, v43, v3, v17
	v_and_b32_e32 v3, 0xfffff, v68
	s_delay_alu instid0(VALU_DEP_1) | instskip(NEXT) | instid1(VALU_DEP_1)
	v_dual_add_nc_u32 v68, 6, v69 :: v_dual_add_nc_u32 v36, v3, v16
                                        ; implicit-def: $vgpr16_vgpr17
                                        ; implicit-def: $vgpr3
	v_cmpx_ne_u32_e32 0, v68
	s_xor_b32 s7, exec_lo, s7
; %bb.7257:                             ;   in Loop: Header=BB4_6675 Depth=2
	s_delay_alu instid0(VALU_DEP_2) | instskip(SKIP_2) | instid1(VALU_DEP_2)
	v_cmp_lt_u64_e32 vcc_lo, 0xffffff, v[36:37]
	v_add_nc_u32_e32 v3, 7, v69
	v_cndmask_b32_e64 v16, 0, 1, vcc_lo
	v_cndmask_b32_e32 v3, v68, v3, vcc_lo
	s_delay_alu instid0(VALU_DEP_2)
	v_lshrrev_b64 v[16:17], v16, v[36:37]
; %bb.7258:                             ;   in Loop: Header=BB4_6675 Depth=2
	s_and_not1_saveexec_b32 s7, s7
; %bb.7259:                             ;   in Loop: Header=BB4_6675 Depth=2
	v_mov_b64_e32 v[16:17], v[36:37]
	v_bfe_u32 v3, v36, 23, 1
; %bb.7260:                             ;   in Loop: Header=BB4_6675 Depth=2
	s_or_b32 exec_lo, exec_lo, s7
	s_delay_alu instid0(VALU_DEP_2) | instskip(NEXT) | instid1(VALU_DEP_2)
	v_lshrrev_b64 v[16:17], 20, v[16:17]
	v_cmp_gt_i32_e32 vcc_lo, 16, v3
	v_cmp_ne_u32_e64 s7, 0, v3
                                        ; implicit-def: $vgpr43
	s_delay_alu instid0(VALU_DEP_3) | instskip(NEXT) | instid1(VALU_DEP_1)
	v_dual_cndmask_b32 v17, 0, v17 :: v_dual_cndmask_b32 v16, 7, v16
	v_cmp_ne_u64_e32 vcc_lo, 0, v[16:17]
	s_or_b32 s7, s7, vcc_lo
	s_delay_alu instid0(SALU_CYCLE_1) | instskip(NEXT) | instid1(SALU_CYCLE_1)
	s_and_saveexec_b32 s40, s7
	s_xor_b32 s7, exec_lo, s40
; %bb.7261:                             ;   in Loop: Header=BB4_6675 Depth=2
	v_min_i32_e32 v3, 15, v3
	s_delay_alu instid0(VALU_DEP_1) | instskip(NEXT) | instid1(VALU_DEP_1)
	v_lshl_or_b32 v2, v3, 3, v2
	v_and_or_b32 v43, v16, 7, v2
                                        ; implicit-def: $vgpr2
; %bb.7262:                             ;   in Loop: Header=BB4_6675 Depth=2
	s_and_not1_saveexec_b32 s7, s7
; %bb.7263:                             ;   in Loop: Header=BB4_6675 Depth=2
	v_mov_b32_e32 v43, v2
; %bb.7264:                             ;   in Loop: Header=BB4_6675 Depth=2
	s_or_b32 exec_lo, exec_lo, s7
.LBB4_7265:                             ;   in Loop: Header=BB4_6675 Depth=2
	s_delay_alu instid0(SALU_CYCLE_1)
	s_or_b32 exec_lo, exec_lo, s29
                                        ; implicit-def: $vgpr2
.LBB4_7266:                             ;   in Loop: Header=BB4_6675 Depth=2
	s_and_not1_saveexec_b32 s7, s11
; %bb.7267:                             ;   in Loop: Header=BB4_6675 Depth=2
	v_or_b32_e32 v43, 0x7e, v2
; %bb.7268:                             ;   in Loop: Header=BB4_6675 Depth=2
	s_or_b32 exec_lo, exec_lo, s7
                                        ; implicit-def: $vgpr2
.LBB4_7269:                             ;   in Loop: Header=BB4_6675 Depth=2
	s_and_not1_saveexec_b32 s7, s10
; %bb.7270:                             ;   in Loop: Header=BB4_6675 Depth=2
	v_or_b32_e32 v43, 0x7f, v2
; %bb.7271:                             ;   in Loop: Header=BB4_6675 Depth=2
	s_or_b32 exec_lo, exec_lo, s7
	v_and_b32_e32 v16, 0xff, v42
	v_dual_mov_b32 v2, 0 :: v_dual_mov_b32 v3, 0
	s_mov_b32 s7, exec_lo
	s_delay_alu instid0(VALU_DEP_2)
	v_cmpx_ne_u16_e32 0, v16
	s_cbranch_execz .LBB4_7279
; %bb.7272:                             ;   in Loop: Header=BB4_6675 Depth=2
	v_bfrev_b32_e32 v3, 1
	s_mov_b32 s10, exec_lo
	v_cmpx_ne_u16_e32 0x80, v16
	s_cbranch_execz .LBB4_7278
; %bb.7273:                             ;   in Loop: Header=BB4_6675 Depth=2
	v_and_b32_e32 v17, 0x7f, v42
	v_mov_b32_e32 v3, 0x7f800001
	s_mov_b32 s11, exec_lo
	s_delay_alu instid0(VALU_DEP_2)
	v_cmpx_ne_u32_e32 0x7f, v17
	s_cbranch_execz .LBB4_7277
; %bb.7274:                             ;   in Loop: Header=BB4_6675 Depth=2
	v_dual_lshrrev_b32 v3, 3, v17 :: v_dual_bitop2_b32 v36, 7, v16 bitop3:0x40
	v_cmp_gt_u32_e32 vcc_lo, 8, v17
	s_delay_alu instid0(VALU_DEP_2)
	v_mov_b64_e32 v[16:17], v[36:37]
	s_and_saveexec_b32 s29, vcc_lo
; %bb.7275:                             ;   in Loop: Header=BB4_6675 Depth=2
	v_clz_i32_u32_e32 v3, v36
	s_delay_alu instid0(VALU_DEP_1) | instskip(NEXT) | instid1(VALU_DEP_1)
	v_min_u32_e32 v3, 32, v3
	v_subrev_nc_u32_e32 v16, 28, v3
	s_delay_alu instid0(VALU_DEP_1) | instskip(NEXT) | instid1(VALU_DEP_1)
	v_lshlrev_b64_e32 v[16:17], v16, v[36:37]
	v_dual_sub_nc_u32 v3, 29, v3 :: v_dual_bitop2_b32 v16, 7, v16 bitop3:0x40
; %bb.7276:                             ;   in Loop: Header=BB4_6675 Depth=2
	s_or_b32 exec_lo, exec_lo, s29
	s_delay_alu instid0(VALU_DEP_1) | instskip(NEXT) | instid1(VALU_DEP_2)
	v_dual_lshlrev_b32 v17, 24, v42 :: v_dual_lshlrev_b32 v16, 20, v16
	v_lshl_add_u32 v3, v3, 23, 0x3c000000
	s_delay_alu instid0(VALU_DEP_2) | instskip(NEXT) | instid1(VALU_DEP_1)
	v_and_b32_e32 v17, 0x80000000, v17
	v_or3_b32 v3, v16, v17, v3
.LBB4_7277:                             ;   in Loop: Header=BB4_6675 Depth=2
	s_or_b32 exec_lo, exec_lo, s11
.LBB4_7278:                             ;   in Loop: Header=BB4_6675 Depth=2
	s_delay_alu instid0(SALU_CYCLE_1)
	s_or_b32 exec_lo, exec_lo, s10
.LBB4_7279:                             ;   in Loop: Header=BB4_6675 Depth=2
	s_delay_alu instid0(SALU_CYCLE_1) | instskip(SKIP_3) | instid1(VALU_DEP_1)
	s_or_b32 exec_lo, exec_lo, s7
	s_wait_loadcnt_dscnt 0xb0b
	v_and_b32_e32 v16, 0xff, v60
	s_mov_b32 s7, exec_lo
	v_cmpx_ne_u16_e32 0, v16
	s_cbranch_execz .LBB4_7287
; %bb.7280:                             ;   in Loop: Header=BB4_6675 Depth=2
	v_bfrev_b32_e32 v2, 1
	s_mov_b32 s10, exec_lo
	v_cmpx_ne_u16_e32 0x80, v16
	s_cbranch_execz .LBB4_7286
; %bb.7281:                             ;   in Loop: Header=BB4_6675 Depth=2
	v_and_b32_e32 v17, 0x7f, v60
	v_mov_b32_e32 v2, 0x7f800001
	s_mov_b32 s11, exec_lo
	s_delay_alu instid0(VALU_DEP_2)
	v_cmpx_ne_u32_e32 0x7f, v17
	s_cbranch_execz .LBB4_7285
; %bb.7282:                             ;   in Loop: Header=BB4_6675 Depth=2
	v_dual_lshrrev_b32 v2, 3, v17 :: v_dual_bitop2_b32 v36, 7, v16 bitop3:0x40
	v_cmp_gt_u32_e32 vcc_lo, 8, v17
	s_delay_alu instid0(VALU_DEP_2)
	v_mov_b64_e32 v[16:17], v[36:37]
	s_and_saveexec_b32 s29, vcc_lo
; %bb.7283:                             ;   in Loop: Header=BB4_6675 Depth=2
	v_clz_i32_u32_e32 v2, v36
	s_delay_alu instid0(VALU_DEP_1) | instskip(NEXT) | instid1(VALU_DEP_1)
	v_min_u32_e32 v2, 32, v2
	v_subrev_nc_u32_e32 v16, 28, v2
	s_delay_alu instid0(VALU_DEP_1) | instskip(NEXT) | instid1(VALU_DEP_1)
	v_lshlrev_b64_e32 v[16:17], v16, v[36:37]
	v_dual_sub_nc_u32 v2, 29, v2 :: v_dual_bitop2_b32 v16, 7, v16 bitop3:0x40
; %bb.7284:                             ;   in Loop: Header=BB4_6675 Depth=2
	s_or_b32 exec_lo, exec_lo, s29
	v_lshlrev_b32_e32 v17, 24, v60
	s_delay_alu instid0(VALU_DEP_2) | instskip(NEXT) | instid1(VALU_DEP_3)
	v_lshlrev_b32_e32 v16, 20, v16
	v_lshl_add_u32 v2, v2, 23, 0x3c000000
	s_delay_alu instid0(VALU_DEP_3) | instskip(NEXT) | instid1(VALU_DEP_1)
	v_and_b32_e32 v17, 0x80000000, v17
	v_or3_b32 v2, v16, v17, v2
.LBB4_7285:                             ;   in Loop: Header=BB4_6675 Depth=2
	s_or_b32 exec_lo, exec_lo, s11
.LBB4_7286:                             ;   in Loop: Header=BB4_6675 Depth=2
	s_delay_alu instid0(SALU_CYCLE_1)
	s_or_b32 exec_lo, exec_lo, s10
.LBB4_7287:                             ;   in Loop: Header=BB4_6675 Depth=2
	s_delay_alu instid0(SALU_CYCLE_1) | instskip(NEXT) | instid1(VALU_DEP_1)
	s_or_b32 exec_lo, exec_lo, s7
	v_add_f32_e32 v3, v3, v2
                                        ; implicit-def: $vgpr42
	s_mov_b32 s7, exec_lo
	s_delay_alu instid0(VALU_DEP_1) | instskip(SKIP_1) | instid1(VALU_DEP_2)
	v_and_b32_e32 v36, 0x7f800000, v3
	v_lshrrev_b32_e32 v2, 24, v3
	v_cmpx_ne_u64_e32 0x7f800000, v[36:37]
	s_xor_b32 s10, exec_lo, s7
	s_cbranch_execz .LBB4_7305
; %bb.7288:                             ;   in Loop: Header=BB4_6675 Depth=2
	v_and_b32_e32 v36, 0x7fffffff, v3
	v_and_b32_e32 v2, 0x80, v2
                                        ; implicit-def: $vgpr42
	s_mov_b32 s7, exec_lo
	s_delay_alu instid0(VALU_DEP_2)
	v_cmpx_gt_u64_e32 0x43e00001, v[36:37]
	s_xor_b32 s11, exec_lo, s7
	s_cbranch_execz .LBB4_7302
; %bb.7289:                             ;   in Loop: Header=BB4_6675 Depth=2
	v_mov_b32_e32 v42, 0
	s_mov_b32 s29, exec_lo
	v_cmpx_ne_u32_e32 0, v3
	s_cbranch_execz .LBB4_7301
; %bb.7290:                             ;   in Loop: Header=BB4_6675 Depth=2
	v_bfe_u32 v113, v3, 23, 8
	v_and_b32_e32 v3, 0x7fffff, v3
	s_delay_alu instid0(VALU_DEP_2) | instskip(SKIP_1) | instid1(VALU_DEP_3)
	v_sub_nc_u32_e32 v16, 0x79, v113
	v_cmp_gt_u32_e32 vcc_lo, 0x7a, v113
	v_or_b32_e32 v20, 0x800000, v3
	s_delay_alu instid0(VALU_DEP_3) | instskip(SKIP_1) | instid1(VALU_DEP_2)
	v_cndmask_b32_e32 v16, 0, v16, vcc_lo
	v_cmp_eq_u32_e32 vcc_lo, 0, v113
	v_cndmask_b32_e64 v42, v16, 0x78, vcc_lo
	s_delay_alu instid0(VALU_DEP_1) | instskip(SKIP_1) | instid1(VALU_DEP_2)
	v_dual_cndmask_b32 v36, v20, v3, vcc_lo :: v_dual_add_nc_u32 v16, 20, v42
	v_add_nc_u32_e32 v21, 19, v42
	v_lshlrev_b64_e64 v[16:17], v16, -1
	s_delay_alu instid0(VALU_DEP_2) | instskip(NEXT) | instid1(VALU_DEP_2)
	v_lshlrev_b64_e64 v[20:21], v21, 1
	v_bfi_b32 v69, v17, 0, 0
	s_delay_alu instid0(VALU_DEP_3) | instskip(SKIP_1) | instid1(VALU_DEP_2)
	v_bfi_b32 v68, v16, 0, v36
	v_lshrrev_b64 v[16:17], v42, v[36:37]
	v_cmp_eq_u64_e64 s7, v[68:69], v[20:21]
	s_delay_alu instid0(VALU_DEP_2)
	v_mov_b64_e32 v[68:69], v[16:17]
	s_and_saveexec_b32 s40, s7
; %bb.7291:                             ;   in Loop: Header=BB4_6675 Depth=2
	v_bfe_u32 v36, v16, 20, 1
	s_delay_alu instid0(VALU_DEP_1) | instskip(NEXT) | instid1(VALU_DEP_1)
	v_add_nc_u64_e32 v[20:21], v[16:17], v[36:37]
	v_add_nc_u64_e32 v[68:69], -1, v[20:21]
; %bb.7292:                             ;   in Loop: Header=BB4_6675 Depth=2
	s_or_b32 exec_lo, exec_lo, s40
	v_add_nc_u32_e32 v3, 0xffffff81, v113
	v_lshrrev_b32_e32 v17, 23, v16
	s_mov_b32 s7, exec_lo
	s_delay_alu instid0(VALU_DEP_2) | instskip(NEXT) | instid1(VALU_DEP_1)
	v_cndmask_b32_e64 v3, v3, 0xffffff82, vcc_lo
	v_add3_u32 v69, v42, v3, v17
	v_and_b32_e32 v3, 0xfffff, v68
	s_delay_alu instid0(VALU_DEP_1) | instskip(NEXT) | instid1(VALU_DEP_1)
	v_dual_add_nc_u32 v68, 6, v69 :: v_dual_add_nc_u32 v36, v3, v16
                                        ; implicit-def: $vgpr16_vgpr17
                                        ; implicit-def: $vgpr3
	v_cmpx_ne_u32_e32 0, v68
	s_xor_b32 s7, exec_lo, s7
; %bb.7293:                             ;   in Loop: Header=BB4_6675 Depth=2
	s_delay_alu instid0(VALU_DEP_2) | instskip(SKIP_2) | instid1(VALU_DEP_2)
	v_cmp_lt_u64_e32 vcc_lo, 0xffffff, v[36:37]
	v_add_nc_u32_e32 v3, 7, v69
	v_cndmask_b32_e64 v16, 0, 1, vcc_lo
	v_cndmask_b32_e32 v3, v68, v3, vcc_lo
	s_delay_alu instid0(VALU_DEP_2)
	v_lshrrev_b64 v[16:17], v16, v[36:37]
; %bb.7294:                             ;   in Loop: Header=BB4_6675 Depth=2
	s_and_not1_saveexec_b32 s7, s7
; %bb.7295:                             ;   in Loop: Header=BB4_6675 Depth=2
	v_mov_b64_e32 v[16:17], v[36:37]
	v_bfe_u32 v3, v36, 23, 1
; %bb.7296:                             ;   in Loop: Header=BB4_6675 Depth=2
	s_or_b32 exec_lo, exec_lo, s7
	s_delay_alu instid0(VALU_DEP_2) | instskip(NEXT) | instid1(VALU_DEP_2)
	v_lshrrev_b64 v[16:17], 20, v[16:17]
	v_cmp_gt_i32_e32 vcc_lo, 16, v3
	v_cmp_ne_u32_e64 s7, 0, v3
                                        ; implicit-def: $vgpr42
	s_delay_alu instid0(VALU_DEP_3) | instskip(NEXT) | instid1(VALU_DEP_1)
	v_dual_cndmask_b32 v17, 0, v17 :: v_dual_cndmask_b32 v16, 7, v16
	v_cmp_ne_u64_e32 vcc_lo, 0, v[16:17]
	s_or_b32 s7, s7, vcc_lo
	s_delay_alu instid0(SALU_CYCLE_1) | instskip(NEXT) | instid1(SALU_CYCLE_1)
	s_and_saveexec_b32 s40, s7
	s_xor_b32 s7, exec_lo, s40
; %bb.7297:                             ;   in Loop: Header=BB4_6675 Depth=2
	v_min_i32_e32 v3, 15, v3
	s_delay_alu instid0(VALU_DEP_1) | instskip(NEXT) | instid1(VALU_DEP_1)
	v_lshl_or_b32 v2, v3, 3, v2
	v_and_or_b32 v42, v16, 7, v2
                                        ; implicit-def: $vgpr2
; %bb.7298:                             ;   in Loop: Header=BB4_6675 Depth=2
	s_and_not1_saveexec_b32 s7, s7
; %bb.7299:                             ;   in Loop: Header=BB4_6675 Depth=2
	v_mov_b32_e32 v42, v2
; %bb.7300:                             ;   in Loop: Header=BB4_6675 Depth=2
	s_or_b32 exec_lo, exec_lo, s7
.LBB4_7301:                             ;   in Loop: Header=BB4_6675 Depth=2
	s_delay_alu instid0(SALU_CYCLE_1)
	s_or_b32 exec_lo, exec_lo, s29
                                        ; implicit-def: $vgpr2
.LBB4_7302:                             ;   in Loop: Header=BB4_6675 Depth=2
	s_and_not1_saveexec_b32 s7, s11
; %bb.7303:                             ;   in Loop: Header=BB4_6675 Depth=2
	v_or_b32_e32 v42, 0x7e, v2
; %bb.7304:                             ;   in Loop: Header=BB4_6675 Depth=2
	s_or_b32 exec_lo, exec_lo, s7
                                        ; implicit-def: $vgpr2
.LBB4_7305:                             ;   in Loop: Header=BB4_6675 Depth=2
	s_and_not1_saveexec_b32 s7, s10
; %bb.7306:                             ;   in Loop: Header=BB4_6675 Depth=2
	v_or_b32_e32 v42, 0x7f, v2
; %bb.7307:                             ;   in Loop: Header=BB4_6675 Depth=2
	s_or_b32 exec_lo, exec_lo, s7
	v_and_b32_e32 v16, 0xff, v119
	v_dual_mov_b32 v2, 0 :: v_dual_mov_b32 v3, 0
	s_mov_b32 s7, exec_lo
	s_delay_alu instid0(VALU_DEP_2)
	v_cmpx_ne_u16_e32 0, v16
	s_cbranch_execz .LBB4_7315
; %bb.7308:                             ;   in Loop: Header=BB4_6675 Depth=2
	v_bfrev_b32_e32 v3, 1
	s_mov_b32 s10, exec_lo
	v_cmpx_ne_u16_e32 0x80, v16
	s_cbranch_execz .LBB4_7314
; %bb.7309:                             ;   in Loop: Header=BB4_6675 Depth=2
	v_and_b32_e32 v17, 0x7f, v119
	v_mov_b32_e32 v3, 0x7f800001
	s_mov_b32 s11, exec_lo
	s_delay_alu instid0(VALU_DEP_2)
	v_cmpx_ne_u32_e32 0x7f, v17
	s_cbranch_execz .LBB4_7313
; %bb.7310:                             ;   in Loop: Header=BB4_6675 Depth=2
	v_dual_lshrrev_b32 v3, 3, v17 :: v_dual_bitop2_b32 v36, 7, v16 bitop3:0x40
	v_cmp_gt_u32_e32 vcc_lo, 8, v17
	s_delay_alu instid0(VALU_DEP_2)
	v_mov_b64_e32 v[16:17], v[36:37]
	s_and_saveexec_b32 s29, vcc_lo
; %bb.7311:                             ;   in Loop: Header=BB4_6675 Depth=2
	v_clz_i32_u32_e32 v3, v36
	s_delay_alu instid0(VALU_DEP_1) | instskip(NEXT) | instid1(VALU_DEP_1)
	v_min_u32_e32 v3, 32, v3
	v_subrev_nc_u32_e32 v16, 28, v3
	s_delay_alu instid0(VALU_DEP_1) | instskip(NEXT) | instid1(VALU_DEP_1)
	v_lshlrev_b64_e32 v[16:17], v16, v[36:37]
	v_dual_sub_nc_u32 v3, 29, v3 :: v_dual_bitop2_b32 v16, 7, v16 bitop3:0x40
; %bb.7312:                             ;   in Loop: Header=BB4_6675 Depth=2
	s_or_b32 exec_lo, exec_lo, s29
	s_delay_alu instid0(VALU_DEP_1) | instskip(NEXT) | instid1(VALU_DEP_2)
	v_dual_lshlrev_b32 v17, 24, v119 :: v_dual_lshlrev_b32 v16, 20, v16
	v_lshl_add_u32 v3, v3, 23, 0x3c000000
	s_delay_alu instid0(VALU_DEP_2) | instskip(NEXT) | instid1(VALU_DEP_1)
	v_and_b32_e32 v17, 0x80000000, v17
	v_or3_b32 v3, v16, v17, v3
.LBB4_7313:                             ;   in Loop: Header=BB4_6675 Depth=2
	s_or_b32 exec_lo, exec_lo, s11
.LBB4_7314:                             ;   in Loop: Header=BB4_6675 Depth=2
	s_delay_alu instid0(SALU_CYCLE_1)
	s_or_b32 exec_lo, exec_lo, s10
.LBB4_7315:                             ;   in Loop: Header=BB4_6675 Depth=2
	s_delay_alu instid0(SALU_CYCLE_1) | instskip(SKIP_3) | instid1(VALU_DEP_1)
	s_or_b32 exec_lo, exec_lo, s7
	s_wait_loadcnt_dscnt 0xa0a
	v_and_b32_e32 v16, 0xff, v59
	s_mov_b32 s7, exec_lo
	v_cmpx_ne_u16_e32 0, v16
	s_cbranch_execz .LBB4_7323
; %bb.7316:                             ;   in Loop: Header=BB4_6675 Depth=2
	v_bfrev_b32_e32 v2, 1
	s_mov_b32 s10, exec_lo
	v_cmpx_ne_u16_e32 0x80, v16
	s_cbranch_execz .LBB4_7322
; %bb.7317:                             ;   in Loop: Header=BB4_6675 Depth=2
	v_and_b32_e32 v17, 0x7f, v59
	v_mov_b32_e32 v2, 0x7f800001
	s_mov_b32 s11, exec_lo
	s_delay_alu instid0(VALU_DEP_2)
	v_cmpx_ne_u32_e32 0x7f, v17
	s_cbranch_execz .LBB4_7321
; %bb.7318:                             ;   in Loop: Header=BB4_6675 Depth=2
	v_dual_lshrrev_b32 v2, 3, v17 :: v_dual_bitop2_b32 v36, 7, v16 bitop3:0x40
	v_cmp_gt_u32_e32 vcc_lo, 8, v17
	s_delay_alu instid0(VALU_DEP_2)
	v_mov_b64_e32 v[16:17], v[36:37]
	s_and_saveexec_b32 s29, vcc_lo
; %bb.7319:                             ;   in Loop: Header=BB4_6675 Depth=2
	v_clz_i32_u32_e32 v2, v36
	s_delay_alu instid0(VALU_DEP_1) | instskip(NEXT) | instid1(VALU_DEP_1)
	v_min_u32_e32 v2, 32, v2
	v_subrev_nc_u32_e32 v16, 28, v2
	s_delay_alu instid0(VALU_DEP_1) | instskip(NEXT) | instid1(VALU_DEP_1)
	v_lshlrev_b64_e32 v[16:17], v16, v[36:37]
	v_dual_sub_nc_u32 v2, 29, v2 :: v_dual_bitop2_b32 v16, 7, v16 bitop3:0x40
; %bb.7320:                             ;   in Loop: Header=BB4_6675 Depth=2
	s_or_b32 exec_lo, exec_lo, s29
	s_delay_alu instid0(VALU_DEP_1) | instskip(NEXT) | instid1(VALU_DEP_2)
	v_dual_lshlrev_b32 v17, 24, v59 :: v_dual_lshlrev_b32 v16, 20, v16
	v_lshl_add_u32 v2, v2, 23, 0x3c000000
	s_delay_alu instid0(VALU_DEP_2) | instskip(NEXT) | instid1(VALU_DEP_1)
	v_and_b32_e32 v17, 0x80000000, v17
	v_or3_b32 v2, v16, v17, v2
.LBB4_7321:                             ;   in Loop: Header=BB4_6675 Depth=2
	s_or_b32 exec_lo, exec_lo, s11
.LBB4_7322:                             ;   in Loop: Header=BB4_6675 Depth=2
	s_delay_alu instid0(SALU_CYCLE_1)
	s_or_b32 exec_lo, exec_lo, s10
.LBB4_7323:                             ;   in Loop: Header=BB4_6675 Depth=2
	s_delay_alu instid0(SALU_CYCLE_1) | instskip(NEXT) | instid1(VALU_DEP_1)
	s_or_b32 exec_lo, exec_lo, s7
	v_add_f32_e32 v3, v3, v2
                                        ; implicit-def: $vgpr119
	s_mov_b32 s7, exec_lo
	s_delay_alu instid0(VALU_DEP_1) | instskip(SKIP_1) | instid1(VALU_DEP_2)
	v_and_b32_e32 v36, 0x7f800000, v3
	v_lshrrev_b32_e32 v2, 24, v3
	v_cmpx_ne_u64_e32 0x7f800000, v[36:37]
	s_xor_b32 s10, exec_lo, s7
	s_cbranch_execz .LBB4_7341
; %bb.7324:                             ;   in Loop: Header=BB4_6675 Depth=2
	v_and_b32_e32 v36, 0x7fffffff, v3
	v_and_b32_e32 v2, 0x80, v2
                                        ; implicit-def: $vgpr119
	s_mov_b32 s7, exec_lo
	s_delay_alu instid0(VALU_DEP_2)
	v_cmpx_gt_u64_e32 0x43e00001, v[36:37]
	s_xor_b32 s11, exec_lo, s7
	s_cbranch_execz .LBB4_7338
; %bb.7325:                             ;   in Loop: Header=BB4_6675 Depth=2
	v_mov_b32_e32 v119, 0
	s_mov_b32 s29, exec_lo
	v_cmpx_ne_u32_e32 0, v3
	s_cbranch_execz .LBB4_7337
; %bb.7326:                             ;   in Loop: Header=BB4_6675 Depth=2
	v_bfe_u32 v113, v3, 23, 8
	v_and_b32_e32 v3, 0x7fffff, v3
	s_delay_alu instid0(VALU_DEP_2) | instskip(SKIP_1) | instid1(VALU_DEP_3)
	v_sub_nc_u32_e32 v16, 0x79, v113
	v_cmp_gt_u32_e32 vcc_lo, 0x7a, v113
	v_or_b32_e32 v20, 0x800000, v3
	s_delay_alu instid0(VALU_DEP_3) | instskip(SKIP_1) | instid1(VALU_DEP_2)
	v_cndmask_b32_e32 v16, 0, v16, vcc_lo
	v_cmp_eq_u32_e32 vcc_lo, 0, v113
	v_cndmask_b32_e64 v119, v16, 0x78, vcc_lo
	s_delay_alu instid0(VALU_DEP_4) | instskip(NEXT) | instid1(VALU_DEP_2)
	v_cndmask_b32_e32 v36, v20, v3, vcc_lo
	v_dual_add_nc_u32 v16, 20, v119 :: v_dual_add_nc_u32 v21, 19, v119
	s_delay_alu instid0(VALU_DEP_1) | instskip(NEXT) | instid1(VALU_DEP_2)
	v_lshlrev_b64_e64 v[16:17], v16, -1
	v_lshlrev_b64_e64 v[20:21], v21, 1
	s_delay_alu instid0(VALU_DEP_2) | instskip(NEXT) | instid1(VALU_DEP_3)
	v_bfi_b32 v69, v17, 0, 0
	v_bfi_b32 v68, v16, 0, v36
	v_lshrrev_b64 v[16:17], v119, v[36:37]
	s_delay_alu instid0(VALU_DEP_2) | instskip(NEXT) | instid1(VALU_DEP_2)
	v_cmp_eq_u64_e64 s7, v[68:69], v[20:21]
	v_mov_b64_e32 v[68:69], v[16:17]
	s_and_saveexec_b32 s40, s7
; %bb.7327:                             ;   in Loop: Header=BB4_6675 Depth=2
	v_bfe_u32 v36, v16, 20, 1
	s_delay_alu instid0(VALU_DEP_1) | instskip(NEXT) | instid1(VALU_DEP_1)
	v_add_nc_u64_e32 v[20:21], v[16:17], v[36:37]
	v_add_nc_u64_e32 v[68:69], -1, v[20:21]
; %bb.7328:                             ;   in Loop: Header=BB4_6675 Depth=2
	s_or_b32 exec_lo, exec_lo, s40
	v_add_nc_u32_e32 v3, 0xffffff81, v113
	v_lshrrev_b32_e32 v17, 23, v16
	s_mov_b32 s7, exec_lo
	s_delay_alu instid0(VALU_DEP_2) | instskip(NEXT) | instid1(VALU_DEP_1)
	v_cndmask_b32_e64 v3, v3, 0xffffff82, vcc_lo
	v_add3_u32 v69, v119, v3, v17
	v_and_b32_e32 v3, 0xfffff, v68
	s_delay_alu instid0(VALU_DEP_1) | instskip(NEXT) | instid1(VALU_DEP_1)
	v_dual_add_nc_u32 v68, 6, v69 :: v_dual_add_nc_u32 v36, v3, v16
                                        ; implicit-def: $vgpr16_vgpr17
                                        ; implicit-def: $vgpr3
	v_cmpx_ne_u32_e32 0, v68
	s_xor_b32 s7, exec_lo, s7
; %bb.7329:                             ;   in Loop: Header=BB4_6675 Depth=2
	s_delay_alu instid0(VALU_DEP_2) | instskip(SKIP_2) | instid1(VALU_DEP_2)
	v_cmp_lt_u64_e32 vcc_lo, 0xffffff, v[36:37]
	v_add_nc_u32_e32 v3, 7, v69
	v_cndmask_b32_e64 v16, 0, 1, vcc_lo
	v_cndmask_b32_e32 v3, v68, v3, vcc_lo
	s_delay_alu instid0(VALU_DEP_2)
	v_lshrrev_b64 v[16:17], v16, v[36:37]
; %bb.7330:                             ;   in Loop: Header=BB4_6675 Depth=2
	s_and_not1_saveexec_b32 s7, s7
; %bb.7331:                             ;   in Loop: Header=BB4_6675 Depth=2
	v_mov_b64_e32 v[16:17], v[36:37]
	v_bfe_u32 v3, v36, 23, 1
; %bb.7332:                             ;   in Loop: Header=BB4_6675 Depth=2
	s_or_b32 exec_lo, exec_lo, s7
	s_delay_alu instid0(VALU_DEP_2) | instskip(NEXT) | instid1(VALU_DEP_2)
	v_lshrrev_b64 v[16:17], 20, v[16:17]
	v_cmp_gt_i32_e32 vcc_lo, 16, v3
	v_cmp_ne_u32_e64 s7, 0, v3
                                        ; implicit-def: $vgpr119
	s_delay_alu instid0(VALU_DEP_3) | instskip(NEXT) | instid1(VALU_DEP_1)
	v_dual_cndmask_b32 v17, 0, v17 :: v_dual_cndmask_b32 v16, 7, v16
	v_cmp_ne_u64_e32 vcc_lo, 0, v[16:17]
	s_or_b32 s7, s7, vcc_lo
	s_delay_alu instid0(SALU_CYCLE_1) | instskip(NEXT) | instid1(SALU_CYCLE_1)
	s_and_saveexec_b32 s40, s7
	s_xor_b32 s7, exec_lo, s40
; %bb.7333:                             ;   in Loop: Header=BB4_6675 Depth=2
	v_min_i32_e32 v3, 15, v3
	s_delay_alu instid0(VALU_DEP_1) | instskip(NEXT) | instid1(VALU_DEP_1)
	v_lshl_or_b32 v2, v3, 3, v2
	v_and_or_b32 v119, v16, 7, v2
                                        ; implicit-def: $vgpr2
; %bb.7334:                             ;   in Loop: Header=BB4_6675 Depth=2
	s_and_not1_saveexec_b32 s7, s7
; %bb.7335:                             ;   in Loop: Header=BB4_6675 Depth=2
	v_mov_b32_e32 v119, v2
; %bb.7336:                             ;   in Loop: Header=BB4_6675 Depth=2
	s_or_b32 exec_lo, exec_lo, s7
.LBB4_7337:                             ;   in Loop: Header=BB4_6675 Depth=2
	s_delay_alu instid0(SALU_CYCLE_1)
	s_or_b32 exec_lo, exec_lo, s29
                                        ; implicit-def: $vgpr2
.LBB4_7338:                             ;   in Loop: Header=BB4_6675 Depth=2
	s_and_not1_saveexec_b32 s7, s11
; %bb.7339:                             ;   in Loop: Header=BB4_6675 Depth=2
	v_or_b32_e32 v119, 0x7e, v2
; %bb.7340:                             ;   in Loop: Header=BB4_6675 Depth=2
	s_or_b32 exec_lo, exec_lo, s7
                                        ; implicit-def: $vgpr2
.LBB4_7341:                             ;   in Loop: Header=BB4_6675 Depth=2
	s_and_not1_saveexec_b32 s7, s10
; %bb.7342:                             ;   in Loop: Header=BB4_6675 Depth=2
	v_or_b32_e32 v119, 0x7f, v2
; %bb.7343:                             ;   in Loop: Header=BB4_6675 Depth=2
	s_or_b32 exec_lo, exec_lo, s7
	v_and_b32_e32 v16, 0xff, v118
	v_dual_mov_b32 v2, 0 :: v_dual_mov_b32 v3, 0
	s_mov_b32 s7, exec_lo
	s_delay_alu instid0(VALU_DEP_2)
	v_cmpx_ne_u16_e32 0, v16
	s_cbranch_execz .LBB4_7351
; %bb.7344:                             ;   in Loop: Header=BB4_6675 Depth=2
	v_bfrev_b32_e32 v3, 1
	s_mov_b32 s10, exec_lo
	v_cmpx_ne_u16_e32 0x80, v16
	s_cbranch_execz .LBB4_7350
; %bb.7345:                             ;   in Loop: Header=BB4_6675 Depth=2
	v_and_b32_e32 v17, 0x7f, v118
	v_mov_b32_e32 v3, 0x7f800001
	s_mov_b32 s11, exec_lo
	s_delay_alu instid0(VALU_DEP_2)
	v_cmpx_ne_u32_e32 0x7f, v17
	s_cbranch_execz .LBB4_7349
; %bb.7346:                             ;   in Loop: Header=BB4_6675 Depth=2
	v_dual_lshrrev_b32 v3, 3, v17 :: v_dual_bitop2_b32 v36, 7, v16 bitop3:0x40
	v_cmp_gt_u32_e32 vcc_lo, 8, v17
	s_delay_alu instid0(VALU_DEP_2)
	v_mov_b64_e32 v[16:17], v[36:37]
	s_and_saveexec_b32 s29, vcc_lo
; %bb.7347:                             ;   in Loop: Header=BB4_6675 Depth=2
	v_clz_i32_u32_e32 v3, v36
	s_delay_alu instid0(VALU_DEP_1) | instskip(NEXT) | instid1(VALU_DEP_1)
	v_min_u32_e32 v3, 32, v3
	v_subrev_nc_u32_e32 v16, 28, v3
	s_delay_alu instid0(VALU_DEP_1) | instskip(NEXT) | instid1(VALU_DEP_1)
	v_lshlrev_b64_e32 v[16:17], v16, v[36:37]
	v_dual_sub_nc_u32 v3, 29, v3 :: v_dual_bitop2_b32 v16, 7, v16 bitop3:0x40
; %bb.7348:                             ;   in Loop: Header=BB4_6675 Depth=2
	s_or_b32 exec_lo, exec_lo, s29
	s_delay_alu instid0(VALU_DEP_1) | instskip(NEXT) | instid1(VALU_DEP_2)
	v_dual_lshlrev_b32 v17, 24, v118 :: v_dual_lshlrev_b32 v16, 20, v16
	v_lshl_add_u32 v3, v3, 23, 0x3c000000
	s_delay_alu instid0(VALU_DEP_2) | instskip(NEXT) | instid1(VALU_DEP_1)
	v_and_b32_e32 v17, 0x80000000, v17
	v_or3_b32 v3, v16, v17, v3
.LBB4_7349:                             ;   in Loop: Header=BB4_6675 Depth=2
	s_or_b32 exec_lo, exec_lo, s11
.LBB4_7350:                             ;   in Loop: Header=BB4_6675 Depth=2
	s_delay_alu instid0(SALU_CYCLE_1)
	s_or_b32 exec_lo, exec_lo, s10
.LBB4_7351:                             ;   in Loop: Header=BB4_6675 Depth=2
	s_delay_alu instid0(SALU_CYCLE_1) | instskip(SKIP_3) | instid1(VALU_DEP_1)
	s_or_b32 exec_lo, exec_lo, s7
	s_wait_loadcnt_dscnt 0x909
	v_and_b32_e32 v16, 0xff, v58
	s_mov_b32 s7, exec_lo
	v_cmpx_ne_u16_e32 0, v16
	s_cbranch_execz .LBB4_7359
; %bb.7352:                             ;   in Loop: Header=BB4_6675 Depth=2
	v_bfrev_b32_e32 v2, 1
	s_mov_b32 s10, exec_lo
	v_cmpx_ne_u16_e32 0x80, v16
	s_cbranch_execz .LBB4_7358
; %bb.7353:                             ;   in Loop: Header=BB4_6675 Depth=2
	v_and_b32_e32 v17, 0x7f, v58
	v_mov_b32_e32 v2, 0x7f800001
	s_mov_b32 s11, exec_lo
	s_delay_alu instid0(VALU_DEP_2)
	v_cmpx_ne_u32_e32 0x7f, v17
	s_cbranch_execz .LBB4_7357
; %bb.7354:                             ;   in Loop: Header=BB4_6675 Depth=2
	v_dual_lshrrev_b32 v2, 3, v17 :: v_dual_bitop2_b32 v36, 7, v16 bitop3:0x40
	v_cmp_gt_u32_e32 vcc_lo, 8, v17
	s_delay_alu instid0(VALU_DEP_2)
	v_mov_b64_e32 v[16:17], v[36:37]
	s_and_saveexec_b32 s29, vcc_lo
; %bb.7355:                             ;   in Loop: Header=BB4_6675 Depth=2
	v_clz_i32_u32_e32 v2, v36
	s_delay_alu instid0(VALU_DEP_1) | instskip(NEXT) | instid1(VALU_DEP_1)
	v_min_u32_e32 v2, 32, v2
	v_subrev_nc_u32_e32 v16, 28, v2
	s_delay_alu instid0(VALU_DEP_1) | instskip(NEXT) | instid1(VALU_DEP_1)
	v_lshlrev_b64_e32 v[16:17], v16, v[36:37]
	v_dual_sub_nc_u32 v2, 29, v2 :: v_dual_bitop2_b32 v16, 7, v16 bitop3:0x40
; %bb.7356:                             ;   in Loop: Header=BB4_6675 Depth=2
	s_or_b32 exec_lo, exec_lo, s29
	s_delay_alu instid0(VALU_DEP_1) | instskip(NEXT) | instid1(VALU_DEP_2)
	v_dual_lshlrev_b32 v17, 24, v58 :: v_dual_lshlrev_b32 v16, 20, v16
	v_lshl_add_u32 v2, v2, 23, 0x3c000000
	s_delay_alu instid0(VALU_DEP_2) | instskip(NEXT) | instid1(VALU_DEP_1)
	v_and_b32_e32 v17, 0x80000000, v17
	v_or3_b32 v2, v16, v17, v2
.LBB4_7357:                             ;   in Loop: Header=BB4_6675 Depth=2
	s_or_b32 exec_lo, exec_lo, s11
.LBB4_7358:                             ;   in Loop: Header=BB4_6675 Depth=2
	s_delay_alu instid0(SALU_CYCLE_1)
	s_or_b32 exec_lo, exec_lo, s10
.LBB4_7359:                             ;   in Loop: Header=BB4_6675 Depth=2
	s_delay_alu instid0(SALU_CYCLE_1) | instskip(NEXT) | instid1(VALU_DEP_1)
	s_or_b32 exec_lo, exec_lo, s7
	v_add_f32_e32 v3, v3, v2
                                        ; implicit-def: $vgpr118
	s_mov_b32 s7, exec_lo
	s_delay_alu instid0(VALU_DEP_1) | instskip(SKIP_1) | instid1(VALU_DEP_2)
	v_and_b32_e32 v36, 0x7f800000, v3
	v_lshrrev_b32_e32 v2, 24, v3
	v_cmpx_ne_u64_e32 0x7f800000, v[36:37]
	s_xor_b32 s10, exec_lo, s7
	s_cbranch_execz .LBB4_7377
; %bb.7360:                             ;   in Loop: Header=BB4_6675 Depth=2
	v_and_b32_e32 v36, 0x7fffffff, v3
	v_and_b32_e32 v2, 0x80, v2
                                        ; implicit-def: $vgpr118
	s_mov_b32 s7, exec_lo
	s_delay_alu instid0(VALU_DEP_2)
	v_cmpx_gt_u64_e32 0x43e00001, v[36:37]
	s_xor_b32 s11, exec_lo, s7
	s_cbranch_execz .LBB4_7374
; %bb.7361:                             ;   in Loop: Header=BB4_6675 Depth=2
	v_mov_b32_e32 v118, 0
	s_mov_b32 s29, exec_lo
	v_cmpx_ne_u32_e32 0, v3
	s_cbranch_execz .LBB4_7373
; %bb.7362:                             ;   in Loop: Header=BB4_6675 Depth=2
	v_bfe_u32 v113, v3, 23, 8
	v_and_b32_e32 v3, 0x7fffff, v3
	s_delay_alu instid0(VALU_DEP_2) | instskip(SKIP_1) | instid1(VALU_DEP_3)
	v_sub_nc_u32_e32 v16, 0x79, v113
	v_cmp_gt_u32_e32 vcc_lo, 0x7a, v113
	v_or_b32_e32 v20, 0x800000, v3
	s_delay_alu instid0(VALU_DEP_3) | instskip(SKIP_1) | instid1(VALU_DEP_2)
	v_cndmask_b32_e32 v16, 0, v16, vcc_lo
	v_cmp_eq_u32_e32 vcc_lo, 0, v113
	v_cndmask_b32_e64 v118, v16, 0x78, vcc_lo
	s_delay_alu instid0(VALU_DEP_1) | instskip(SKIP_1) | instid1(VALU_DEP_2)
	v_dual_cndmask_b32 v36, v20, v3, vcc_lo :: v_dual_add_nc_u32 v16, 20, v118
	v_add_nc_u32_e32 v21, 19, v118
	v_lshlrev_b64_e64 v[16:17], v16, -1
	s_delay_alu instid0(VALU_DEP_2) | instskip(NEXT) | instid1(VALU_DEP_2)
	v_lshlrev_b64_e64 v[20:21], v21, 1
	v_bfi_b32 v69, v17, 0, 0
	s_delay_alu instid0(VALU_DEP_3) | instskip(SKIP_1) | instid1(VALU_DEP_2)
	v_bfi_b32 v68, v16, 0, v36
	v_lshrrev_b64 v[16:17], v118, v[36:37]
	v_cmp_eq_u64_e64 s7, v[68:69], v[20:21]
	s_delay_alu instid0(VALU_DEP_2)
	v_mov_b64_e32 v[68:69], v[16:17]
	s_and_saveexec_b32 s40, s7
; %bb.7363:                             ;   in Loop: Header=BB4_6675 Depth=2
	v_bfe_u32 v36, v16, 20, 1
	s_delay_alu instid0(VALU_DEP_1) | instskip(NEXT) | instid1(VALU_DEP_1)
	v_add_nc_u64_e32 v[20:21], v[16:17], v[36:37]
	v_add_nc_u64_e32 v[68:69], -1, v[20:21]
; %bb.7364:                             ;   in Loop: Header=BB4_6675 Depth=2
	s_or_b32 exec_lo, exec_lo, s40
	v_add_nc_u32_e32 v3, 0xffffff81, v113
	v_lshrrev_b32_e32 v17, 23, v16
	s_mov_b32 s7, exec_lo
	s_delay_alu instid0(VALU_DEP_2) | instskip(NEXT) | instid1(VALU_DEP_1)
	v_cndmask_b32_e64 v3, v3, 0xffffff82, vcc_lo
	v_add3_u32 v69, v118, v3, v17
	v_and_b32_e32 v3, 0xfffff, v68
	s_delay_alu instid0(VALU_DEP_1) | instskip(NEXT) | instid1(VALU_DEP_1)
	v_dual_add_nc_u32 v68, 6, v69 :: v_dual_add_nc_u32 v36, v3, v16
                                        ; implicit-def: $vgpr16_vgpr17
                                        ; implicit-def: $vgpr3
	v_cmpx_ne_u32_e32 0, v68
	s_xor_b32 s7, exec_lo, s7
; %bb.7365:                             ;   in Loop: Header=BB4_6675 Depth=2
	s_delay_alu instid0(VALU_DEP_2) | instskip(SKIP_2) | instid1(VALU_DEP_2)
	v_cmp_lt_u64_e32 vcc_lo, 0xffffff, v[36:37]
	v_add_nc_u32_e32 v3, 7, v69
	v_cndmask_b32_e64 v16, 0, 1, vcc_lo
	v_cndmask_b32_e32 v3, v68, v3, vcc_lo
	s_delay_alu instid0(VALU_DEP_2)
	v_lshrrev_b64 v[16:17], v16, v[36:37]
; %bb.7366:                             ;   in Loop: Header=BB4_6675 Depth=2
	s_and_not1_saveexec_b32 s7, s7
; %bb.7367:                             ;   in Loop: Header=BB4_6675 Depth=2
	v_mov_b64_e32 v[16:17], v[36:37]
	v_bfe_u32 v3, v36, 23, 1
; %bb.7368:                             ;   in Loop: Header=BB4_6675 Depth=2
	s_or_b32 exec_lo, exec_lo, s7
	s_delay_alu instid0(VALU_DEP_2) | instskip(NEXT) | instid1(VALU_DEP_2)
	v_lshrrev_b64 v[16:17], 20, v[16:17]
	v_cmp_gt_i32_e32 vcc_lo, 16, v3
	v_cmp_ne_u32_e64 s7, 0, v3
                                        ; implicit-def: $vgpr118
	s_delay_alu instid0(VALU_DEP_3) | instskip(NEXT) | instid1(VALU_DEP_1)
	v_dual_cndmask_b32 v17, 0, v17 :: v_dual_cndmask_b32 v16, 7, v16
	v_cmp_ne_u64_e32 vcc_lo, 0, v[16:17]
	s_or_b32 s7, s7, vcc_lo
	s_delay_alu instid0(SALU_CYCLE_1) | instskip(NEXT) | instid1(SALU_CYCLE_1)
	s_and_saveexec_b32 s40, s7
	s_xor_b32 s7, exec_lo, s40
; %bb.7369:                             ;   in Loop: Header=BB4_6675 Depth=2
	v_min_i32_e32 v3, 15, v3
	s_delay_alu instid0(VALU_DEP_1) | instskip(NEXT) | instid1(VALU_DEP_1)
	v_lshl_or_b32 v2, v3, 3, v2
	v_and_or_b32 v118, v16, 7, v2
                                        ; implicit-def: $vgpr2
; %bb.7370:                             ;   in Loop: Header=BB4_6675 Depth=2
	s_and_not1_saveexec_b32 s7, s7
; %bb.7371:                             ;   in Loop: Header=BB4_6675 Depth=2
	v_mov_b32_e32 v118, v2
; %bb.7372:                             ;   in Loop: Header=BB4_6675 Depth=2
	s_or_b32 exec_lo, exec_lo, s7
.LBB4_7373:                             ;   in Loop: Header=BB4_6675 Depth=2
	s_delay_alu instid0(SALU_CYCLE_1)
	s_or_b32 exec_lo, exec_lo, s29
                                        ; implicit-def: $vgpr2
.LBB4_7374:                             ;   in Loop: Header=BB4_6675 Depth=2
	s_and_not1_saveexec_b32 s7, s11
; %bb.7375:                             ;   in Loop: Header=BB4_6675 Depth=2
	v_or_b32_e32 v118, 0x7e, v2
; %bb.7376:                             ;   in Loop: Header=BB4_6675 Depth=2
	s_or_b32 exec_lo, exec_lo, s7
                                        ; implicit-def: $vgpr2
.LBB4_7377:                             ;   in Loop: Header=BB4_6675 Depth=2
	s_and_not1_saveexec_b32 s7, s10
; %bb.7378:                             ;   in Loop: Header=BB4_6675 Depth=2
	v_or_b32_e32 v118, 0x7f, v2
; %bb.7379:                             ;   in Loop: Header=BB4_6675 Depth=2
	s_or_b32 exec_lo, exec_lo, s7
	v_and_b32_e32 v16, 0xff, v117
	v_dual_mov_b32 v2, 0 :: v_dual_mov_b32 v3, 0
	s_mov_b32 s7, exec_lo
	s_delay_alu instid0(VALU_DEP_2)
	v_cmpx_ne_u16_e32 0, v16
	s_cbranch_execz .LBB4_7387
; %bb.7380:                             ;   in Loop: Header=BB4_6675 Depth=2
	v_bfrev_b32_e32 v3, 1
	s_mov_b32 s10, exec_lo
	v_cmpx_ne_u16_e32 0x80, v16
	s_cbranch_execz .LBB4_7386
; %bb.7381:                             ;   in Loop: Header=BB4_6675 Depth=2
	v_and_b32_e32 v17, 0x7f, v117
	v_mov_b32_e32 v3, 0x7f800001
	s_mov_b32 s11, exec_lo
	s_delay_alu instid0(VALU_DEP_2)
	v_cmpx_ne_u32_e32 0x7f, v17
	s_cbranch_execz .LBB4_7385
; %bb.7382:                             ;   in Loop: Header=BB4_6675 Depth=2
	v_dual_lshrrev_b32 v3, 3, v17 :: v_dual_bitop2_b32 v36, 7, v16 bitop3:0x40
	v_cmp_gt_u32_e32 vcc_lo, 8, v17
	s_delay_alu instid0(VALU_DEP_2)
	v_mov_b64_e32 v[16:17], v[36:37]
	s_and_saveexec_b32 s29, vcc_lo
; %bb.7383:                             ;   in Loop: Header=BB4_6675 Depth=2
	v_clz_i32_u32_e32 v3, v36
	s_delay_alu instid0(VALU_DEP_1) | instskip(NEXT) | instid1(VALU_DEP_1)
	v_min_u32_e32 v3, 32, v3
	v_subrev_nc_u32_e32 v16, 28, v3
	s_delay_alu instid0(VALU_DEP_1) | instskip(NEXT) | instid1(VALU_DEP_1)
	v_lshlrev_b64_e32 v[16:17], v16, v[36:37]
	v_dual_sub_nc_u32 v3, 29, v3 :: v_dual_bitop2_b32 v16, 7, v16 bitop3:0x40
; %bb.7384:                             ;   in Loop: Header=BB4_6675 Depth=2
	s_or_b32 exec_lo, exec_lo, s29
	s_delay_alu instid0(VALU_DEP_1) | instskip(NEXT) | instid1(VALU_DEP_2)
	v_dual_lshlrev_b32 v17, 24, v117 :: v_dual_lshlrev_b32 v16, 20, v16
	v_lshl_add_u32 v3, v3, 23, 0x3c000000
	s_delay_alu instid0(VALU_DEP_2) | instskip(NEXT) | instid1(VALU_DEP_1)
	v_and_b32_e32 v17, 0x80000000, v17
	v_or3_b32 v3, v16, v17, v3
.LBB4_7385:                             ;   in Loop: Header=BB4_6675 Depth=2
	s_or_b32 exec_lo, exec_lo, s11
.LBB4_7386:                             ;   in Loop: Header=BB4_6675 Depth=2
	s_delay_alu instid0(SALU_CYCLE_1)
	s_or_b32 exec_lo, exec_lo, s10
.LBB4_7387:                             ;   in Loop: Header=BB4_6675 Depth=2
	s_delay_alu instid0(SALU_CYCLE_1) | instskip(SKIP_3) | instid1(VALU_DEP_1)
	s_or_b32 exec_lo, exec_lo, s7
	s_wait_loadcnt_dscnt 0x808
	v_and_b32_e32 v16, 0xff, v57
	s_mov_b32 s7, exec_lo
	v_cmpx_ne_u16_e32 0, v16
	s_cbranch_execz .LBB4_7395
; %bb.7388:                             ;   in Loop: Header=BB4_6675 Depth=2
	v_bfrev_b32_e32 v2, 1
	s_mov_b32 s10, exec_lo
	v_cmpx_ne_u16_e32 0x80, v16
	s_cbranch_execz .LBB4_7394
; %bb.7389:                             ;   in Loop: Header=BB4_6675 Depth=2
	v_and_b32_e32 v17, 0x7f, v57
	v_mov_b32_e32 v2, 0x7f800001
	s_mov_b32 s11, exec_lo
	s_delay_alu instid0(VALU_DEP_2)
	v_cmpx_ne_u32_e32 0x7f, v17
	s_cbranch_execz .LBB4_7393
; %bb.7390:                             ;   in Loop: Header=BB4_6675 Depth=2
	v_dual_lshrrev_b32 v2, 3, v17 :: v_dual_bitop2_b32 v36, 7, v16 bitop3:0x40
	v_cmp_gt_u32_e32 vcc_lo, 8, v17
	s_delay_alu instid0(VALU_DEP_2)
	v_mov_b64_e32 v[16:17], v[36:37]
	s_and_saveexec_b32 s29, vcc_lo
; %bb.7391:                             ;   in Loop: Header=BB4_6675 Depth=2
	v_clz_i32_u32_e32 v2, v36
	s_delay_alu instid0(VALU_DEP_1) | instskip(NEXT) | instid1(VALU_DEP_1)
	v_min_u32_e32 v2, 32, v2
	v_subrev_nc_u32_e32 v16, 28, v2
	s_delay_alu instid0(VALU_DEP_1) | instskip(NEXT) | instid1(VALU_DEP_1)
	v_lshlrev_b64_e32 v[16:17], v16, v[36:37]
	v_dual_sub_nc_u32 v2, 29, v2 :: v_dual_bitop2_b32 v16, 7, v16 bitop3:0x40
; %bb.7392:                             ;   in Loop: Header=BB4_6675 Depth=2
	s_or_b32 exec_lo, exec_lo, s29
	s_delay_alu instid0(VALU_DEP_1) | instskip(NEXT) | instid1(VALU_DEP_2)
	v_dual_lshlrev_b32 v17, 24, v57 :: v_dual_lshlrev_b32 v16, 20, v16
	v_lshl_add_u32 v2, v2, 23, 0x3c000000
	s_delay_alu instid0(VALU_DEP_2) | instskip(NEXT) | instid1(VALU_DEP_1)
	v_and_b32_e32 v17, 0x80000000, v17
	v_or3_b32 v2, v16, v17, v2
.LBB4_7393:                             ;   in Loop: Header=BB4_6675 Depth=2
	s_or_b32 exec_lo, exec_lo, s11
.LBB4_7394:                             ;   in Loop: Header=BB4_6675 Depth=2
	s_delay_alu instid0(SALU_CYCLE_1)
	s_or_b32 exec_lo, exec_lo, s10
.LBB4_7395:                             ;   in Loop: Header=BB4_6675 Depth=2
	s_delay_alu instid0(SALU_CYCLE_1) | instskip(NEXT) | instid1(VALU_DEP_1)
	s_or_b32 exec_lo, exec_lo, s7
	v_add_f32_e32 v3, v3, v2
                                        ; implicit-def: $vgpr117
	s_mov_b32 s7, exec_lo
	s_delay_alu instid0(VALU_DEP_1) | instskip(SKIP_1) | instid1(VALU_DEP_2)
	v_and_b32_e32 v36, 0x7f800000, v3
	v_lshrrev_b32_e32 v2, 24, v3
	v_cmpx_ne_u64_e32 0x7f800000, v[36:37]
	s_xor_b32 s10, exec_lo, s7
	s_cbranch_execz .LBB4_7413
; %bb.7396:                             ;   in Loop: Header=BB4_6675 Depth=2
	v_and_b32_e32 v36, 0x7fffffff, v3
	v_and_b32_e32 v2, 0x80, v2
                                        ; implicit-def: $vgpr117
	s_mov_b32 s7, exec_lo
	s_delay_alu instid0(VALU_DEP_2)
	v_cmpx_gt_u64_e32 0x43e00001, v[36:37]
	s_xor_b32 s11, exec_lo, s7
	s_cbranch_execz .LBB4_7410
; %bb.7397:                             ;   in Loop: Header=BB4_6675 Depth=2
	v_mov_b32_e32 v117, 0
	s_mov_b32 s29, exec_lo
	v_cmpx_ne_u32_e32 0, v3
	s_cbranch_execz .LBB4_7409
; %bb.7398:                             ;   in Loop: Header=BB4_6675 Depth=2
	v_bfe_u32 v113, v3, 23, 8
	v_and_b32_e32 v3, 0x7fffff, v3
	s_delay_alu instid0(VALU_DEP_2) | instskip(SKIP_1) | instid1(VALU_DEP_3)
	v_sub_nc_u32_e32 v16, 0x79, v113
	v_cmp_gt_u32_e32 vcc_lo, 0x7a, v113
	v_or_b32_e32 v20, 0x800000, v3
	s_delay_alu instid0(VALU_DEP_3) | instskip(SKIP_1) | instid1(VALU_DEP_2)
	v_cndmask_b32_e32 v16, 0, v16, vcc_lo
	v_cmp_eq_u32_e32 vcc_lo, 0, v113
	v_cndmask_b32_e64 v117, v16, 0x78, vcc_lo
	s_delay_alu instid0(VALU_DEP_1) | instskip(SKIP_1) | instid1(VALU_DEP_2)
	v_dual_cndmask_b32 v36, v20, v3, vcc_lo :: v_dual_add_nc_u32 v16, 20, v117
	v_add_nc_u32_e32 v21, 19, v117
	v_lshlrev_b64_e64 v[16:17], v16, -1
	s_delay_alu instid0(VALU_DEP_2) | instskip(NEXT) | instid1(VALU_DEP_2)
	v_lshlrev_b64_e64 v[20:21], v21, 1
	v_bfi_b32 v69, v17, 0, 0
	s_delay_alu instid0(VALU_DEP_3) | instskip(SKIP_1) | instid1(VALU_DEP_2)
	v_bfi_b32 v68, v16, 0, v36
	v_lshrrev_b64 v[16:17], v117, v[36:37]
	v_cmp_eq_u64_e64 s7, v[68:69], v[20:21]
	s_delay_alu instid0(VALU_DEP_2)
	v_mov_b64_e32 v[68:69], v[16:17]
	s_and_saveexec_b32 s40, s7
; %bb.7399:                             ;   in Loop: Header=BB4_6675 Depth=2
	v_bfe_u32 v36, v16, 20, 1
	s_delay_alu instid0(VALU_DEP_1) | instskip(NEXT) | instid1(VALU_DEP_1)
	v_add_nc_u64_e32 v[20:21], v[16:17], v[36:37]
	v_add_nc_u64_e32 v[68:69], -1, v[20:21]
; %bb.7400:                             ;   in Loop: Header=BB4_6675 Depth=2
	s_or_b32 exec_lo, exec_lo, s40
	v_add_nc_u32_e32 v3, 0xffffff81, v113
	v_lshrrev_b32_e32 v17, 23, v16
	s_mov_b32 s7, exec_lo
	s_delay_alu instid0(VALU_DEP_2) | instskip(NEXT) | instid1(VALU_DEP_1)
	v_cndmask_b32_e64 v3, v3, 0xffffff82, vcc_lo
	v_add3_u32 v69, v117, v3, v17
	v_and_b32_e32 v3, 0xfffff, v68
	s_delay_alu instid0(VALU_DEP_1) | instskip(NEXT) | instid1(VALU_DEP_1)
	v_dual_add_nc_u32 v68, 6, v69 :: v_dual_add_nc_u32 v36, v3, v16
                                        ; implicit-def: $vgpr16_vgpr17
                                        ; implicit-def: $vgpr3
	v_cmpx_ne_u32_e32 0, v68
	s_xor_b32 s7, exec_lo, s7
; %bb.7401:                             ;   in Loop: Header=BB4_6675 Depth=2
	s_delay_alu instid0(VALU_DEP_2) | instskip(SKIP_2) | instid1(VALU_DEP_2)
	v_cmp_lt_u64_e32 vcc_lo, 0xffffff, v[36:37]
	v_add_nc_u32_e32 v3, 7, v69
	v_cndmask_b32_e64 v16, 0, 1, vcc_lo
	v_cndmask_b32_e32 v3, v68, v3, vcc_lo
	s_delay_alu instid0(VALU_DEP_2)
	v_lshrrev_b64 v[16:17], v16, v[36:37]
; %bb.7402:                             ;   in Loop: Header=BB4_6675 Depth=2
	s_and_not1_saveexec_b32 s7, s7
; %bb.7403:                             ;   in Loop: Header=BB4_6675 Depth=2
	v_mov_b64_e32 v[16:17], v[36:37]
	v_bfe_u32 v3, v36, 23, 1
; %bb.7404:                             ;   in Loop: Header=BB4_6675 Depth=2
	s_or_b32 exec_lo, exec_lo, s7
	s_delay_alu instid0(VALU_DEP_2) | instskip(NEXT) | instid1(VALU_DEP_2)
	v_lshrrev_b64 v[16:17], 20, v[16:17]
	v_cmp_gt_i32_e32 vcc_lo, 16, v3
	v_cmp_ne_u32_e64 s7, 0, v3
                                        ; implicit-def: $vgpr117
	s_delay_alu instid0(VALU_DEP_3) | instskip(NEXT) | instid1(VALU_DEP_1)
	v_dual_cndmask_b32 v17, 0, v17 :: v_dual_cndmask_b32 v16, 7, v16
	v_cmp_ne_u64_e32 vcc_lo, 0, v[16:17]
	s_or_b32 s7, s7, vcc_lo
	s_delay_alu instid0(SALU_CYCLE_1) | instskip(NEXT) | instid1(SALU_CYCLE_1)
	s_and_saveexec_b32 s40, s7
	s_xor_b32 s7, exec_lo, s40
; %bb.7405:                             ;   in Loop: Header=BB4_6675 Depth=2
	v_min_i32_e32 v3, 15, v3
	s_delay_alu instid0(VALU_DEP_1) | instskip(NEXT) | instid1(VALU_DEP_1)
	v_lshl_or_b32 v2, v3, 3, v2
	v_and_or_b32 v117, v16, 7, v2
                                        ; implicit-def: $vgpr2
; %bb.7406:                             ;   in Loop: Header=BB4_6675 Depth=2
	s_and_not1_saveexec_b32 s7, s7
; %bb.7407:                             ;   in Loop: Header=BB4_6675 Depth=2
	v_mov_b32_e32 v117, v2
; %bb.7408:                             ;   in Loop: Header=BB4_6675 Depth=2
	s_or_b32 exec_lo, exec_lo, s7
.LBB4_7409:                             ;   in Loop: Header=BB4_6675 Depth=2
	s_delay_alu instid0(SALU_CYCLE_1)
	s_or_b32 exec_lo, exec_lo, s29
                                        ; implicit-def: $vgpr2
.LBB4_7410:                             ;   in Loop: Header=BB4_6675 Depth=2
	s_and_not1_saveexec_b32 s7, s11
; %bb.7411:                             ;   in Loop: Header=BB4_6675 Depth=2
	v_or_b32_e32 v117, 0x7e, v2
; %bb.7412:                             ;   in Loop: Header=BB4_6675 Depth=2
	s_or_b32 exec_lo, exec_lo, s7
                                        ; implicit-def: $vgpr2
.LBB4_7413:                             ;   in Loop: Header=BB4_6675 Depth=2
	s_and_not1_saveexec_b32 s7, s10
; %bb.7414:                             ;   in Loop: Header=BB4_6675 Depth=2
	v_or_b32_e32 v117, 0x7f, v2
; %bb.7415:                             ;   in Loop: Header=BB4_6675 Depth=2
	s_or_b32 exec_lo, exec_lo, s7
	v_and_b32_e32 v16, 0xff, v116
	v_dual_mov_b32 v2, 0 :: v_dual_mov_b32 v3, 0
	s_mov_b32 s7, exec_lo
	s_delay_alu instid0(VALU_DEP_2)
	v_cmpx_ne_u16_e32 0, v16
	s_cbranch_execz .LBB4_7423
; %bb.7416:                             ;   in Loop: Header=BB4_6675 Depth=2
	v_bfrev_b32_e32 v3, 1
	s_mov_b32 s10, exec_lo
	v_cmpx_ne_u16_e32 0x80, v16
	s_cbranch_execz .LBB4_7422
; %bb.7417:                             ;   in Loop: Header=BB4_6675 Depth=2
	v_and_b32_e32 v17, 0x7f, v116
	v_mov_b32_e32 v3, 0x7f800001
	s_mov_b32 s11, exec_lo
	s_delay_alu instid0(VALU_DEP_2)
	v_cmpx_ne_u32_e32 0x7f, v17
	s_cbranch_execz .LBB4_7421
; %bb.7418:                             ;   in Loop: Header=BB4_6675 Depth=2
	v_dual_lshrrev_b32 v3, 3, v17 :: v_dual_bitop2_b32 v36, 7, v16 bitop3:0x40
	v_cmp_gt_u32_e32 vcc_lo, 8, v17
	s_delay_alu instid0(VALU_DEP_2)
	v_mov_b64_e32 v[16:17], v[36:37]
	s_and_saveexec_b32 s29, vcc_lo
; %bb.7419:                             ;   in Loop: Header=BB4_6675 Depth=2
	v_clz_i32_u32_e32 v3, v36
	s_delay_alu instid0(VALU_DEP_1) | instskip(NEXT) | instid1(VALU_DEP_1)
	v_min_u32_e32 v3, 32, v3
	v_subrev_nc_u32_e32 v16, 28, v3
	s_delay_alu instid0(VALU_DEP_1) | instskip(NEXT) | instid1(VALU_DEP_1)
	v_lshlrev_b64_e32 v[16:17], v16, v[36:37]
	v_dual_sub_nc_u32 v3, 29, v3 :: v_dual_bitop2_b32 v16, 7, v16 bitop3:0x40
; %bb.7420:                             ;   in Loop: Header=BB4_6675 Depth=2
	s_or_b32 exec_lo, exec_lo, s29
	v_lshlrev_b32_e32 v17, 24, v116
	s_delay_alu instid0(VALU_DEP_2) | instskip(NEXT) | instid1(VALU_DEP_3)
	v_lshlrev_b32_e32 v16, 20, v16
	v_lshl_add_u32 v3, v3, 23, 0x3c000000
	s_delay_alu instid0(VALU_DEP_3) | instskip(NEXT) | instid1(VALU_DEP_1)
	v_and_b32_e32 v17, 0x80000000, v17
	v_or3_b32 v3, v16, v17, v3
.LBB4_7421:                             ;   in Loop: Header=BB4_6675 Depth=2
	s_or_b32 exec_lo, exec_lo, s11
.LBB4_7422:                             ;   in Loop: Header=BB4_6675 Depth=2
	s_delay_alu instid0(SALU_CYCLE_1)
	s_or_b32 exec_lo, exec_lo, s10
.LBB4_7423:                             ;   in Loop: Header=BB4_6675 Depth=2
	s_delay_alu instid0(SALU_CYCLE_1) | instskip(SKIP_3) | instid1(VALU_DEP_1)
	s_or_b32 exec_lo, exec_lo, s7
	s_wait_loadcnt_dscnt 0x707
	v_and_b32_e32 v16, 0xff, v56
	s_mov_b32 s7, exec_lo
	v_cmpx_ne_u16_e32 0, v16
	s_cbranch_execz .LBB4_7431
; %bb.7424:                             ;   in Loop: Header=BB4_6675 Depth=2
	v_bfrev_b32_e32 v2, 1
	s_mov_b32 s10, exec_lo
	v_cmpx_ne_u16_e32 0x80, v16
	s_cbranch_execz .LBB4_7430
; %bb.7425:                             ;   in Loop: Header=BB4_6675 Depth=2
	v_and_b32_e32 v17, 0x7f, v56
	v_mov_b32_e32 v2, 0x7f800001
	s_mov_b32 s11, exec_lo
	s_delay_alu instid0(VALU_DEP_2)
	v_cmpx_ne_u32_e32 0x7f, v17
	s_cbranch_execz .LBB4_7429
; %bb.7426:                             ;   in Loop: Header=BB4_6675 Depth=2
	v_dual_lshrrev_b32 v2, 3, v17 :: v_dual_bitop2_b32 v36, 7, v16 bitop3:0x40
	v_cmp_gt_u32_e32 vcc_lo, 8, v17
	s_delay_alu instid0(VALU_DEP_2)
	v_mov_b64_e32 v[16:17], v[36:37]
	s_and_saveexec_b32 s29, vcc_lo
; %bb.7427:                             ;   in Loop: Header=BB4_6675 Depth=2
	v_clz_i32_u32_e32 v2, v36
	s_delay_alu instid0(VALU_DEP_1) | instskip(NEXT) | instid1(VALU_DEP_1)
	v_min_u32_e32 v2, 32, v2
	v_subrev_nc_u32_e32 v16, 28, v2
	s_delay_alu instid0(VALU_DEP_1) | instskip(NEXT) | instid1(VALU_DEP_1)
	v_lshlrev_b64_e32 v[16:17], v16, v[36:37]
	v_dual_sub_nc_u32 v2, 29, v2 :: v_dual_bitop2_b32 v16, 7, v16 bitop3:0x40
; %bb.7428:                             ;   in Loop: Header=BB4_6675 Depth=2
	s_or_b32 exec_lo, exec_lo, s29
	v_lshlrev_b32_e32 v17, 24, v56
	s_delay_alu instid0(VALU_DEP_2) | instskip(NEXT) | instid1(VALU_DEP_3)
	v_lshlrev_b32_e32 v16, 20, v16
	v_lshl_add_u32 v2, v2, 23, 0x3c000000
	s_delay_alu instid0(VALU_DEP_3) | instskip(NEXT) | instid1(VALU_DEP_1)
	v_and_b32_e32 v17, 0x80000000, v17
	v_or3_b32 v2, v16, v17, v2
.LBB4_7429:                             ;   in Loop: Header=BB4_6675 Depth=2
	s_or_b32 exec_lo, exec_lo, s11
.LBB4_7430:                             ;   in Loop: Header=BB4_6675 Depth=2
	s_delay_alu instid0(SALU_CYCLE_1)
	s_or_b32 exec_lo, exec_lo, s10
.LBB4_7431:                             ;   in Loop: Header=BB4_6675 Depth=2
	s_delay_alu instid0(SALU_CYCLE_1) | instskip(NEXT) | instid1(VALU_DEP_1)
	s_or_b32 exec_lo, exec_lo, s7
	v_add_f32_e32 v3, v3, v2
                                        ; implicit-def: $vgpr116
	s_mov_b32 s7, exec_lo
	s_delay_alu instid0(VALU_DEP_1) | instskip(SKIP_1) | instid1(VALU_DEP_2)
	v_and_b32_e32 v36, 0x7f800000, v3
	v_lshrrev_b32_e32 v2, 24, v3
	v_cmpx_ne_u64_e32 0x7f800000, v[36:37]
	s_xor_b32 s10, exec_lo, s7
	s_cbranch_execz .LBB4_7449
; %bb.7432:                             ;   in Loop: Header=BB4_6675 Depth=2
	v_and_b32_e32 v36, 0x7fffffff, v3
	v_and_b32_e32 v2, 0x80, v2
                                        ; implicit-def: $vgpr116
	s_mov_b32 s7, exec_lo
	s_delay_alu instid0(VALU_DEP_2)
	v_cmpx_gt_u64_e32 0x43e00001, v[36:37]
	s_xor_b32 s11, exec_lo, s7
	s_cbranch_execz .LBB4_7446
; %bb.7433:                             ;   in Loop: Header=BB4_6675 Depth=2
	v_mov_b32_e32 v116, 0
	s_mov_b32 s29, exec_lo
	v_cmpx_ne_u32_e32 0, v3
	s_cbranch_execz .LBB4_7445
; %bb.7434:                             ;   in Loop: Header=BB4_6675 Depth=2
	v_bfe_u32 v113, v3, 23, 8
	v_and_b32_e32 v3, 0x7fffff, v3
	s_delay_alu instid0(VALU_DEP_2) | instskip(SKIP_1) | instid1(VALU_DEP_3)
	v_sub_nc_u32_e32 v16, 0x79, v113
	v_cmp_gt_u32_e32 vcc_lo, 0x7a, v113
	v_or_b32_e32 v20, 0x800000, v3
	s_delay_alu instid0(VALU_DEP_3) | instskip(SKIP_1) | instid1(VALU_DEP_3)
	v_cndmask_b32_e32 v16, 0, v16, vcc_lo
	v_cmp_eq_u32_e32 vcc_lo, 0, v113
	v_cndmask_b32_e32 v36, v20, v3, vcc_lo
	s_delay_alu instid0(VALU_DEP_3) | instskip(NEXT) | instid1(VALU_DEP_1)
	v_cndmask_b32_e64 v116, v16, 0x78, vcc_lo
	v_dual_add_nc_u32 v16, 20, v116 :: v_dual_add_nc_u32 v21, 19, v116
	s_delay_alu instid0(VALU_DEP_1) | instskip(NEXT) | instid1(VALU_DEP_2)
	v_lshlrev_b64_e64 v[16:17], v16, -1
	v_lshlrev_b64_e64 v[20:21], v21, 1
	s_delay_alu instid0(VALU_DEP_2) | instskip(NEXT) | instid1(VALU_DEP_3)
	v_bfi_b32 v69, v17, 0, 0
	v_bfi_b32 v68, v16, 0, v36
	v_lshrrev_b64 v[16:17], v116, v[36:37]
	s_delay_alu instid0(VALU_DEP_2) | instskip(NEXT) | instid1(VALU_DEP_2)
	v_cmp_eq_u64_e64 s7, v[68:69], v[20:21]
	v_mov_b64_e32 v[68:69], v[16:17]
	s_and_saveexec_b32 s40, s7
; %bb.7435:                             ;   in Loop: Header=BB4_6675 Depth=2
	v_bfe_u32 v36, v16, 20, 1
	s_delay_alu instid0(VALU_DEP_1) | instskip(NEXT) | instid1(VALU_DEP_1)
	v_add_nc_u64_e32 v[20:21], v[16:17], v[36:37]
	v_add_nc_u64_e32 v[68:69], -1, v[20:21]
; %bb.7436:                             ;   in Loop: Header=BB4_6675 Depth=2
	s_or_b32 exec_lo, exec_lo, s40
	v_add_nc_u32_e32 v3, 0xffffff81, v113
	v_lshrrev_b32_e32 v17, 23, v16
	s_mov_b32 s7, exec_lo
	s_delay_alu instid0(VALU_DEP_2) | instskip(NEXT) | instid1(VALU_DEP_1)
	v_cndmask_b32_e64 v3, v3, 0xffffff82, vcc_lo
	v_add3_u32 v69, v116, v3, v17
	v_and_b32_e32 v3, 0xfffff, v68
	s_delay_alu instid0(VALU_DEP_1) | instskip(NEXT) | instid1(VALU_DEP_1)
	v_dual_add_nc_u32 v68, 6, v69 :: v_dual_add_nc_u32 v36, v3, v16
                                        ; implicit-def: $vgpr16_vgpr17
                                        ; implicit-def: $vgpr3
	v_cmpx_ne_u32_e32 0, v68
	s_xor_b32 s7, exec_lo, s7
; %bb.7437:                             ;   in Loop: Header=BB4_6675 Depth=2
	s_delay_alu instid0(VALU_DEP_2) | instskip(SKIP_2) | instid1(VALU_DEP_2)
	v_cmp_lt_u64_e32 vcc_lo, 0xffffff, v[36:37]
	v_add_nc_u32_e32 v3, 7, v69
	v_cndmask_b32_e64 v16, 0, 1, vcc_lo
	v_cndmask_b32_e32 v3, v68, v3, vcc_lo
	s_delay_alu instid0(VALU_DEP_2)
	v_lshrrev_b64 v[16:17], v16, v[36:37]
; %bb.7438:                             ;   in Loop: Header=BB4_6675 Depth=2
	s_and_not1_saveexec_b32 s7, s7
; %bb.7439:                             ;   in Loop: Header=BB4_6675 Depth=2
	v_mov_b64_e32 v[16:17], v[36:37]
	v_bfe_u32 v3, v36, 23, 1
; %bb.7440:                             ;   in Loop: Header=BB4_6675 Depth=2
	s_or_b32 exec_lo, exec_lo, s7
	s_delay_alu instid0(VALU_DEP_2) | instskip(NEXT) | instid1(VALU_DEP_2)
	v_lshrrev_b64 v[16:17], 20, v[16:17]
	v_cmp_gt_i32_e32 vcc_lo, 16, v3
	v_cmp_ne_u32_e64 s7, 0, v3
                                        ; implicit-def: $vgpr116
	s_delay_alu instid0(VALU_DEP_3) | instskip(NEXT) | instid1(VALU_DEP_1)
	v_dual_cndmask_b32 v17, 0, v17 :: v_dual_cndmask_b32 v16, 7, v16
	v_cmp_ne_u64_e32 vcc_lo, 0, v[16:17]
	s_or_b32 s7, s7, vcc_lo
	s_delay_alu instid0(SALU_CYCLE_1) | instskip(NEXT) | instid1(SALU_CYCLE_1)
	s_and_saveexec_b32 s40, s7
	s_xor_b32 s7, exec_lo, s40
; %bb.7441:                             ;   in Loop: Header=BB4_6675 Depth=2
	v_min_i32_e32 v3, 15, v3
	s_delay_alu instid0(VALU_DEP_1) | instskip(NEXT) | instid1(VALU_DEP_1)
	v_lshl_or_b32 v2, v3, 3, v2
	v_and_or_b32 v116, v16, 7, v2
                                        ; implicit-def: $vgpr2
; %bb.7442:                             ;   in Loop: Header=BB4_6675 Depth=2
	s_and_not1_saveexec_b32 s7, s7
; %bb.7443:                             ;   in Loop: Header=BB4_6675 Depth=2
	v_mov_b32_e32 v116, v2
; %bb.7444:                             ;   in Loop: Header=BB4_6675 Depth=2
	s_or_b32 exec_lo, exec_lo, s7
.LBB4_7445:                             ;   in Loop: Header=BB4_6675 Depth=2
	s_delay_alu instid0(SALU_CYCLE_1)
	s_or_b32 exec_lo, exec_lo, s29
                                        ; implicit-def: $vgpr2
.LBB4_7446:                             ;   in Loop: Header=BB4_6675 Depth=2
	s_and_not1_saveexec_b32 s7, s11
; %bb.7447:                             ;   in Loop: Header=BB4_6675 Depth=2
	v_or_b32_e32 v116, 0x7e, v2
; %bb.7448:                             ;   in Loop: Header=BB4_6675 Depth=2
	s_or_b32 exec_lo, exec_lo, s7
                                        ; implicit-def: $vgpr2
.LBB4_7449:                             ;   in Loop: Header=BB4_6675 Depth=2
	s_and_not1_saveexec_b32 s7, s10
; %bb.7450:                             ;   in Loop: Header=BB4_6675 Depth=2
	v_or_b32_e32 v116, 0x7f, v2
; %bb.7451:                             ;   in Loop: Header=BB4_6675 Depth=2
	s_or_b32 exec_lo, exec_lo, s7
	v_and_b32_e32 v16, 0xff, v115
	v_dual_mov_b32 v2, 0 :: v_dual_mov_b32 v3, 0
	s_mov_b32 s7, exec_lo
	s_delay_alu instid0(VALU_DEP_2)
	v_cmpx_ne_u16_e32 0, v16
	s_cbranch_execz .LBB4_7459
; %bb.7452:                             ;   in Loop: Header=BB4_6675 Depth=2
	v_bfrev_b32_e32 v3, 1
	s_mov_b32 s10, exec_lo
	v_cmpx_ne_u16_e32 0x80, v16
	s_cbranch_execz .LBB4_7458
; %bb.7453:                             ;   in Loop: Header=BB4_6675 Depth=2
	v_and_b32_e32 v17, 0x7f, v115
	v_mov_b32_e32 v3, 0x7f800001
	s_mov_b32 s11, exec_lo
	s_delay_alu instid0(VALU_DEP_2)
	v_cmpx_ne_u32_e32 0x7f, v17
	s_cbranch_execz .LBB4_7457
; %bb.7454:                             ;   in Loop: Header=BB4_6675 Depth=2
	v_dual_lshrrev_b32 v3, 3, v17 :: v_dual_bitop2_b32 v36, 7, v16 bitop3:0x40
	v_cmp_gt_u32_e32 vcc_lo, 8, v17
	s_delay_alu instid0(VALU_DEP_2)
	v_mov_b64_e32 v[16:17], v[36:37]
	s_and_saveexec_b32 s29, vcc_lo
; %bb.7455:                             ;   in Loop: Header=BB4_6675 Depth=2
	v_clz_i32_u32_e32 v3, v36
	s_delay_alu instid0(VALU_DEP_1) | instskip(NEXT) | instid1(VALU_DEP_1)
	v_min_u32_e32 v3, 32, v3
	v_subrev_nc_u32_e32 v16, 28, v3
	s_delay_alu instid0(VALU_DEP_1) | instskip(NEXT) | instid1(VALU_DEP_1)
	v_lshlrev_b64_e32 v[16:17], v16, v[36:37]
	v_dual_sub_nc_u32 v3, 29, v3 :: v_dual_bitop2_b32 v16, 7, v16 bitop3:0x40
; %bb.7456:                             ;   in Loop: Header=BB4_6675 Depth=2
	s_or_b32 exec_lo, exec_lo, s29
	s_delay_alu instid0(VALU_DEP_1) | instskip(NEXT) | instid1(VALU_DEP_2)
	v_dual_lshlrev_b32 v17, 24, v115 :: v_dual_lshlrev_b32 v16, 20, v16
	v_lshl_add_u32 v3, v3, 23, 0x3c000000
	s_delay_alu instid0(VALU_DEP_2) | instskip(NEXT) | instid1(VALU_DEP_1)
	v_and_b32_e32 v17, 0x80000000, v17
	v_or3_b32 v3, v16, v17, v3
.LBB4_7457:                             ;   in Loop: Header=BB4_6675 Depth=2
	s_or_b32 exec_lo, exec_lo, s11
.LBB4_7458:                             ;   in Loop: Header=BB4_6675 Depth=2
	s_delay_alu instid0(SALU_CYCLE_1)
	s_or_b32 exec_lo, exec_lo, s10
.LBB4_7459:                             ;   in Loop: Header=BB4_6675 Depth=2
	s_delay_alu instid0(SALU_CYCLE_1) | instskip(SKIP_3) | instid1(VALU_DEP_1)
	s_or_b32 exec_lo, exec_lo, s7
	s_wait_loadcnt_dscnt 0x606
	v_and_b32_e32 v16, 0xff, v47
	s_mov_b32 s7, exec_lo
	v_cmpx_ne_u16_e32 0, v16
	s_cbranch_execz .LBB4_7467
; %bb.7460:                             ;   in Loop: Header=BB4_6675 Depth=2
	v_bfrev_b32_e32 v2, 1
	s_mov_b32 s10, exec_lo
	v_cmpx_ne_u16_e32 0x80, v16
	s_cbranch_execz .LBB4_7466
; %bb.7461:                             ;   in Loop: Header=BB4_6675 Depth=2
	v_and_b32_e32 v17, 0x7f, v47
	v_mov_b32_e32 v2, 0x7f800001
	s_mov_b32 s11, exec_lo
	s_delay_alu instid0(VALU_DEP_2)
	v_cmpx_ne_u32_e32 0x7f, v17
	s_cbranch_execz .LBB4_7465
; %bb.7462:                             ;   in Loop: Header=BB4_6675 Depth=2
	v_dual_lshrrev_b32 v2, 3, v17 :: v_dual_bitop2_b32 v36, 7, v16 bitop3:0x40
	v_cmp_gt_u32_e32 vcc_lo, 8, v17
	s_delay_alu instid0(VALU_DEP_2)
	v_mov_b64_e32 v[16:17], v[36:37]
	s_and_saveexec_b32 s29, vcc_lo
; %bb.7463:                             ;   in Loop: Header=BB4_6675 Depth=2
	v_clz_i32_u32_e32 v2, v36
	s_delay_alu instid0(VALU_DEP_1) | instskip(NEXT) | instid1(VALU_DEP_1)
	v_min_u32_e32 v2, 32, v2
	v_subrev_nc_u32_e32 v16, 28, v2
	s_delay_alu instid0(VALU_DEP_1) | instskip(NEXT) | instid1(VALU_DEP_1)
	v_lshlrev_b64_e32 v[16:17], v16, v[36:37]
	v_dual_sub_nc_u32 v2, 29, v2 :: v_dual_bitop2_b32 v16, 7, v16 bitop3:0x40
; %bb.7464:                             ;   in Loop: Header=BB4_6675 Depth=2
	s_or_b32 exec_lo, exec_lo, s29
	s_delay_alu instid0(VALU_DEP_1) | instskip(NEXT) | instid1(VALU_DEP_2)
	v_dual_lshlrev_b32 v17, 24, v47 :: v_dual_lshlrev_b32 v16, 20, v16
	v_lshl_add_u32 v2, v2, 23, 0x3c000000
	s_delay_alu instid0(VALU_DEP_2) | instskip(NEXT) | instid1(VALU_DEP_1)
	v_and_b32_e32 v17, 0x80000000, v17
	v_or3_b32 v2, v16, v17, v2
.LBB4_7465:                             ;   in Loop: Header=BB4_6675 Depth=2
	s_or_b32 exec_lo, exec_lo, s11
.LBB4_7466:                             ;   in Loop: Header=BB4_6675 Depth=2
	s_delay_alu instid0(SALU_CYCLE_1)
	s_or_b32 exec_lo, exec_lo, s10
.LBB4_7467:                             ;   in Loop: Header=BB4_6675 Depth=2
	s_delay_alu instid0(SALU_CYCLE_1) | instskip(NEXT) | instid1(VALU_DEP_1)
	s_or_b32 exec_lo, exec_lo, s7
	v_add_f32_e32 v3, v3, v2
                                        ; implicit-def: $vgpr115
	s_mov_b32 s7, exec_lo
	s_delay_alu instid0(VALU_DEP_1) | instskip(SKIP_1) | instid1(VALU_DEP_2)
	v_and_b32_e32 v36, 0x7f800000, v3
	v_lshrrev_b32_e32 v2, 24, v3
	v_cmpx_ne_u64_e32 0x7f800000, v[36:37]
	s_xor_b32 s10, exec_lo, s7
	s_cbranch_execz .LBB4_7485
; %bb.7468:                             ;   in Loop: Header=BB4_6675 Depth=2
	v_and_b32_e32 v36, 0x7fffffff, v3
	v_and_b32_e32 v2, 0x80, v2
                                        ; implicit-def: $vgpr115
	s_mov_b32 s7, exec_lo
	s_delay_alu instid0(VALU_DEP_2)
	v_cmpx_gt_u64_e32 0x43e00001, v[36:37]
	s_xor_b32 s11, exec_lo, s7
	s_cbranch_execz .LBB4_7482
; %bb.7469:                             ;   in Loop: Header=BB4_6675 Depth=2
	v_mov_b32_e32 v115, 0
	s_mov_b32 s29, exec_lo
	v_cmpx_ne_u32_e32 0, v3
	s_cbranch_execz .LBB4_7481
; %bb.7470:                             ;   in Loop: Header=BB4_6675 Depth=2
	v_bfe_u32 v113, v3, 23, 8
	v_and_b32_e32 v3, 0x7fffff, v3
	s_delay_alu instid0(VALU_DEP_2) | instskip(SKIP_1) | instid1(VALU_DEP_3)
	v_sub_nc_u32_e32 v16, 0x79, v113
	v_cmp_gt_u32_e32 vcc_lo, 0x7a, v113
	v_or_b32_e32 v20, 0x800000, v3
	s_delay_alu instid0(VALU_DEP_3) | instskip(SKIP_1) | instid1(VALU_DEP_2)
	v_cndmask_b32_e32 v16, 0, v16, vcc_lo
	v_cmp_eq_u32_e32 vcc_lo, 0, v113
	v_cndmask_b32_e64 v115, v16, 0x78, vcc_lo
	s_delay_alu instid0(VALU_DEP_4) | instskip(NEXT) | instid1(VALU_DEP_2)
	v_cndmask_b32_e32 v36, v20, v3, vcc_lo
	v_dual_add_nc_u32 v16, 20, v115 :: v_dual_add_nc_u32 v21, 19, v115
	s_delay_alu instid0(VALU_DEP_1) | instskip(NEXT) | instid1(VALU_DEP_2)
	v_lshlrev_b64_e64 v[16:17], v16, -1
	v_lshlrev_b64_e64 v[20:21], v21, 1
	s_delay_alu instid0(VALU_DEP_2) | instskip(NEXT) | instid1(VALU_DEP_3)
	v_bfi_b32 v69, v17, 0, 0
	v_bfi_b32 v68, v16, 0, v36
	v_lshrrev_b64 v[16:17], v115, v[36:37]
	s_delay_alu instid0(VALU_DEP_2) | instskip(NEXT) | instid1(VALU_DEP_2)
	v_cmp_eq_u64_e64 s7, v[68:69], v[20:21]
	v_mov_b64_e32 v[68:69], v[16:17]
	s_and_saveexec_b32 s40, s7
; %bb.7471:                             ;   in Loop: Header=BB4_6675 Depth=2
	v_bfe_u32 v36, v16, 20, 1
	s_delay_alu instid0(VALU_DEP_1) | instskip(NEXT) | instid1(VALU_DEP_1)
	v_add_nc_u64_e32 v[20:21], v[16:17], v[36:37]
	v_add_nc_u64_e32 v[68:69], -1, v[20:21]
; %bb.7472:                             ;   in Loop: Header=BB4_6675 Depth=2
	s_or_b32 exec_lo, exec_lo, s40
	v_add_nc_u32_e32 v3, 0xffffff81, v113
	v_lshrrev_b32_e32 v17, 23, v16
	s_mov_b32 s7, exec_lo
	s_delay_alu instid0(VALU_DEP_2) | instskip(NEXT) | instid1(VALU_DEP_1)
	v_cndmask_b32_e64 v3, v3, 0xffffff82, vcc_lo
	v_add3_u32 v69, v115, v3, v17
	v_and_b32_e32 v3, 0xfffff, v68
	s_delay_alu instid0(VALU_DEP_1) | instskip(NEXT) | instid1(VALU_DEP_1)
	v_dual_add_nc_u32 v68, 6, v69 :: v_dual_add_nc_u32 v36, v3, v16
                                        ; implicit-def: $vgpr16_vgpr17
                                        ; implicit-def: $vgpr3
	v_cmpx_ne_u32_e32 0, v68
	s_xor_b32 s7, exec_lo, s7
; %bb.7473:                             ;   in Loop: Header=BB4_6675 Depth=2
	s_delay_alu instid0(VALU_DEP_2) | instskip(SKIP_2) | instid1(VALU_DEP_2)
	v_cmp_lt_u64_e32 vcc_lo, 0xffffff, v[36:37]
	v_add_nc_u32_e32 v3, 7, v69
	v_cndmask_b32_e64 v16, 0, 1, vcc_lo
	v_cndmask_b32_e32 v3, v68, v3, vcc_lo
	s_delay_alu instid0(VALU_DEP_2)
	v_lshrrev_b64 v[16:17], v16, v[36:37]
; %bb.7474:                             ;   in Loop: Header=BB4_6675 Depth=2
	s_and_not1_saveexec_b32 s7, s7
; %bb.7475:                             ;   in Loop: Header=BB4_6675 Depth=2
	v_mov_b64_e32 v[16:17], v[36:37]
	v_bfe_u32 v3, v36, 23, 1
; %bb.7476:                             ;   in Loop: Header=BB4_6675 Depth=2
	s_or_b32 exec_lo, exec_lo, s7
	s_delay_alu instid0(VALU_DEP_2) | instskip(NEXT) | instid1(VALU_DEP_2)
	v_lshrrev_b64 v[16:17], 20, v[16:17]
	v_cmp_gt_i32_e32 vcc_lo, 16, v3
	v_cmp_ne_u32_e64 s7, 0, v3
                                        ; implicit-def: $vgpr115
	s_delay_alu instid0(VALU_DEP_3) | instskip(NEXT) | instid1(VALU_DEP_1)
	v_dual_cndmask_b32 v17, 0, v17 :: v_dual_cndmask_b32 v16, 7, v16
	v_cmp_ne_u64_e32 vcc_lo, 0, v[16:17]
	s_or_b32 s7, s7, vcc_lo
	s_delay_alu instid0(SALU_CYCLE_1) | instskip(NEXT) | instid1(SALU_CYCLE_1)
	s_and_saveexec_b32 s40, s7
	s_xor_b32 s7, exec_lo, s40
; %bb.7477:                             ;   in Loop: Header=BB4_6675 Depth=2
	v_min_i32_e32 v3, 15, v3
	s_delay_alu instid0(VALU_DEP_1) | instskip(NEXT) | instid1(VALU_DEP_1)
	v_lshl_or_b32 v2, v3, 3, v2
	v_and_or_b32 v115, v16, 7, v2
                                        ; implicit-def: $vgpr2
; %bb.7478:                             ;   in Loop: Header=BB4_6675 Depth=2
	s_and_not1_saveexec_b32 s7, s7
; %bb.7479:                             ;   in Loop: Header=BB4_6675 Depth=2
	v_mov_b32_e32 v115, v2
; %bb.7480:                             ;   in Loop: Header=BB4_6675 Depth=2
	s_or_b32 exec_lo, exec_lo, s7
.LBB4_7481:                             ;   in Loop: Header=BB4_6675 Depth=2
	s_delay_alu instid0(SALU_CYCLE_1)
	s_or_b32 exec_lo, exec_lo, s29
                                        ; implicit-def: $vgpr2
.LBB4_7482:                             ;   in Loop: Header=BB4_6675 Depth=2
	s_and_not1_saveexec_b32 s7, s11
; %bb.7483:                             ;   in Loop: Header=BB4_6675 Depth=2
	v_or_b32_e32 v115, 0x7e, v2
; %bb.7484:                             ;   in Loop: Header=BB4_6675 Depth=2
	s_or_b32 exec_lo, exec_lo, s7
                                        ; implicit-def: $vgpr2
.LBB4_7485:                             ;   in Loop: Header=BB4_6675 Depth=2
	s_and_not1_saveexec_b32 s7, s10
; %bb.7486:                             ;   in Loop: Header=BB4_6675 Depth=2
	v_or_b32_e32 v115, 0x7f, v2
; %bb.7487:                             ;   in Loop: Header=BB4_6675 Depth=2
	s_or_b32 exec_lo, exec_lo, s7
	v_and_b32_e32 v16, 0xff, v97
	v_dual_mov_b32 v2, 0 :: v_dual_mov_b32 v3, 0
	s_mov_b32 s7, exec_lo
	s_delay_alu instid0(VALU_DEP_2)
	v_cmpx_ne_u16_e32 0, v16
	s_cbranch_execz .LBB4_7495
; %bb.7488:                             ;   in Loop: Header=BB4_6675 Depth=2
	v_bfrev_b32_e32 v3, 1
	s_mov_b32 s10, exec_lo
	v_cmpx_ne_u16_e32 0x80, v16
	s_cbranch_execz .LBB4_7494
; %bb.7489:                             ;   in Loop: Header=BB4_6675 Depth=2
	v_and_b32_e32 v17, 0x7f, v97
	v_mov_b32_e32 v3, 0x7f800001
	s_mov_b32 s11, exec_lo
	s_delay_alu instid0(VALU_DEP_2)
	v_cmpx_ne_u32_e32 0x7f, v17
	s_cbranch_execz .LBB4_7493
; %bb.7490:                             ;   in Loop: Header=BB4_6675 Depth=2
	v_dual_lshrrev_b32 v3, 3, v17 :: v_dual_bitop2_b32 v36, 7, v16 bitop3:0x40
	v_cmp_gt_u32_e32 vcc_lo, 8, v17
	s_delay_alu instid0(VALU_DEP_2)
	v_mov_b64_e32 v[16:17], v[36:37]
	s_and_saveexec_b32 s29, vcc_lo
; %bb.7491:                             ;   in Loop: Header=BB4_6675 Depth=2
	v_clz_i32_u32_e32 v3, v36
	s_delay_alu instid0(VALU_DEP_1) | instskip(NEXT) | instid1(VALU_DEP_1)
	v_min_u32_e32 v3, 32, v3
	v_subrev_nc_u32_e32 v16, 28, v3
	s_delay_alu instid0(VALU_DEP_1) | instskip(NEXT) | instid1(VALU_DEP_1)
	v_lshlrev_b64_e32 v[16:17], v16, v[36:37]
	v_dual_sub_nc_u32 v3, 29, v3 :: v_dual_bitop2_b32 v16, 7, v16 bitop3:0x40
; %bb.7492:                             ;   in Loop: Header=BB4_6675 Depth=2
	s_or_b32 exec_lo, exec_lo, s29
	s_delay_alu instid0(VALU_DEP_1) | instskip(NEXT) | instid1(VALU_DEP_2)
	v_dual_lshlrev_b32 v17, 24, v97 :: v_dual_lshlrev_b32 v16, 20, v16
	v_lshl_add_u32 v3, v3, 23, 0x3c000000
	s_delay_alu instid0(VALU_DEP_2) | instskip(NEXT) | instid1(VALU_DEP_1)
	v_and_b32_e32 v17, 0x80000000, v17
	v_or3_b32 v3, v16, v17, v3
.LBB4_7493:                             ;   in Loop: Header=BB4_6675 Depth=2
	s_or_b32 exec_lo, exec_lo, s11
.LBB4_7494:                             ;   in Loop: Header=BB4_6675 Depth=2
	s_delay_alu instid0(SALU_CYCLE_1)
	s_or_b32 exec_lo, exec_lo, s10
.LBB4_7495:                             ;   in Loop: Header=BB4_6675 Depth=2
	s_delay_alu instid0(SALU_CYCLE_1) | instskip(SKIP_3) | instid1(VALU_DEP_1)
	s_or_b32 exec_lo, exec_lo, s7
	s_wait_loadcnt_dscnt 0x505
	v_and_b32_e32 v16, 0xff, v46
	s_mov_b32 s7, exec_lo
	v_cmpx_ne_u16_e32 0, v16
	s_cbranch_execz .LBB4_7503
; %bb.7496:                             ;   in Loop: Header=BB4_6675 Depth=2
	v_bfrev_b32_e32 v2, 1
	s_mov_b32 s10, exec_lo
	v_cmpx_ne_u16_e32 0x80, v16
	s_cbranch_execz .LBB4_7502
; %bb.7497:                             ;   in Loop: Header=BB4_6675 Depth=2
	v_and_b32_e32 v17, 0x7f, v46
	v_mov_b32_e32 v2, 0x7f800001
	s_mov_b32 s11, exec_lo
	s_delay_alu instid0(VALU_DEP_2)
	v_cmpx_ne_u32_e32 0x7f, v17
	s_cbranch_execz .LBB4_7501
; %bb.7498:                             ;   in Loop: Header=BB4_6675 Depth=2
	v_dual_lshrrev_b32 v2, 3, v17 :: v_dual_bitop2_b32 v36, 7, v16 bitop3:0x40
	v_cmp_gt_u32_e32 vcc_lo, 8, v17
	s_delay_alu instid0(VALU_DEP_2)
	v_mov_b64_e32 v[16:17], v[36:37]
	s_and_saveexec_b32 s29, vcc_lo
; %bb.7499:                             ;   in Loop: Header=BB4_6675 Depth=2
	v_clz_i32_u32_e32 v2, v36
	s_delay_alu instid0(VALU_DEP_1) | instskip(NEXT) | instid1(VALU_DEP_1)
	v_min_u32_e32 v2, 32, v2
	v_subrev_nc_u32_e32 v16, 28, v2
	s_delay_alu instid0(VALU_DEP_1) | instskip(NEXT) | instid1(VALU_DEP_1)
	v_lshlrev_b64_e32 v[16:17], v16, v[36:37]
	v_dual_sub_nc_u32 v2, 29, v2 :: v_dual_bitop2_b32 v16, 7, v16 bitop3:0x40
; %bb.7500:                             ;   in Loop: Header=BB4_6675 Depth=2
	s_or_b32 exec_lo, exec_lo, s29
	s_delay_alu instid0(VALU_DEP_1) | instskip(NEXT) | instid1(VALU_DEP_2)
	v_dual_lshlrev_b32 v17, 24, v46 :: v_dual_lshlrev_b32 v16, 20, v16
	v_lshl_add_u32 v2, v2, 23, 0x3c000000
	s_delay_alu instid0(VALU_DEP_2) | instskip(NEXT) | instid1(VALU_DEP_1)
	v_and_b32_e32 v17, 0x80000000, v17
	v_or3_b32 v2, v16, v17, v2
.LBB4_7501:                             ;   in Loop: Header=BB4_6675 Depth=2
	s_or_b32 exec_lo, exec_lo, s11
.LBB4_7502:                             ;   in Loop: Header=BB4_6675 Depth=2
	s_delay_alu instid0(SALU_CYCLE_1)
	s_or_b32 exec_lo, exec_lo, s10
.LBB4_7503:                             ;   in Loop: Header=BB4_6675 Depth=2
	s_delay_alu instid0(SALU_CYCLE_1) | instskip(NEXT) | instid1(VALU_DEP_1)
	s_or_b32 exec_lo, exec_lo, s7
	v_add_f32_e32 v3, v3, v2
                                        ; implicit-def: $vgpr97
	s_mov_b32 s7, exec_lo
	s_delay_alu instid0(VALU_DEP_1) | instskip(SKIP_1) | instid1(VALU_DEP_2)
	v_and_b32_e32 v36, 0x7f800000, v3
	v_lshrrev_b32_e32 v2, 24, v3
	v_cmpx_ne_u64_e32 0x7f800000, v[36:37]
	s_xor_b32 s10, exec_lo, s7
	s_cbranch_execz .LBB4_7521
; %bb.7504:                             ;   in Loop: Header=BB4_6675 Depth=2
	v_and_b32_e32 v36, 0x7fffffff, v3
	v_and_b32_e32 v2, 0x80, v2
                                        ; implicit-def: $vgpr97
	s_mov_b32 s7, exec_lo
	s_delay_alu instid0(VALU_DEP_2)
	v_cmpx_gt_u64_e32 0x43e00001, v[36:37]
	s_xor_b32 s11, exec_lo, s7
	s_cbranch_execz .LBB4_7518
; %bb.7505:                             ;   in Loop: Header=BB4_6675 Depth=2
	v_mov_b32_e32 v97, 0
	s_mov_b32 s29, exec_lo
	v_cmpx_ne_u32_e32 0, v3
	s_cbranch_execz .LBB4_7517
; %bb.7506:                             ;   in Loop: Header=BB4_6675 Depth=2
	v_bfe_u32 v97, v3, 23, 8
	v_and_b32_e32 v3, 0x7fffff, v3
	s_delay_alu instid0(VALU_DEP_2) | instskip(SKIP_1) | instid1(VALU_DEP_3)
	v_sub_nc_u32_e32 v16, 0x79, v97
	v_cmp_gt_u32_e32 vcc_lo, 0x7a, v97
	v_or_b32_e32 v20, 0x800000, v3
	s_delay_alu instid0(VALU_DEP_3) | instskip(SKIP_1) | instid1(VALU_DEP_2)
	v_cndmask_b32_e32 v16, 0, v16, vcc_lo
	v_cmp_eq_u32_e32 vcc_lo, 0, v97
	v_cndmask_b32_e64 v113, v16, 0x78, vcc_lo
	s_delay_alu instid0(VALU_DEP_1) | instskip(SKIP_1) | instid1(VALU_DEP_2)
	v_dual_cndmask_b32 v36, v20, v3, vcc_lo :: v_dual_add_nc_u32 v16, 20, v113
	v_add_nc_u32_e32 v21, 19, v113
	v_lshlrev_b64_e64 v[16:17], v16, -1
	s_delay_alu instid0(VALU_DEP_2) | instskip(NEXT) | instid1(VALU_DEP_2)
	v_lshlrev_b64_e64 v[20:21], v21, 1
	v_bfi_b32 v69, v17, 0, 0
	s_delay_alu instid0(VALU_DEP_3) | instskip(SKIP_1) | instid1(VALU_DEP_2)
	v_bfi_b32 v68, v16, 0, v36
	v_lshrrev_b64 v[16:17], v113, v[36:37]
	v_cmp_eq_u64_e64 s7, v[68:69], v[20:21]
	s_delay_alu instid0(VALU_DEP_2)
	v_mov_b64_e32 v[68:69], v[16:17]
	s_and_saveexec_b32 s40, s7
; %bb.7507:                             ;   in Loop: Header=BB4_6675 Depth=2
	v_bfe_u32 v36, v16, 20, 1
	s_delay_alu instid0(VALU_DEP_1) | instskip(NEXT) | instid1(VALU_DEP_1)
	v_add_nc_u64_e32 v[20:21], v[16:17], v[36:37]
	v_add_nc_u64_e32 v[68:69], -1, v[20:21]
; %bb.7508:                             ;   in Loop: Header=BB4_6675 Depth=2
	s_or_b32 exec_lo, exec_lo, s40
	v_add_nc_u32_e32 v3, 0xffffff81, v97
	v_lshrrev_b32_e32 v17, 23, v16
	s_mov_b32 s7, exec_lo
	s_delay_alu instid0(VALU_DEP_2) | instskip(NEXT) | instid1(VALU_DEP_1)
	v_cndmask_b32_e64 v3, v3, 0xffffff82, vcc_lo
	v_add3_u32 v69, v113, v3, v17
	v_and_b32_e32 v3, 0xfffff, v68
	s_delay_alu instid0(VALU_DEP_1) | instskip(NEXT) | instid1(VALU_DEP_1)
	v_dual_add_nc_u32 v68, 6, v69 :: v_dual_add_nc_u32 v36, v3, v16
                                        ; implicit-def: $vgpr16_vgpr17
                                        ; implicit-def: $vgpr3
	v_cmpx_ne_u32_e32 0, v68
	s_xor_b32 s7, exec_lo, s7
; %bb.7509:                             ;   in Loop: Header=BB4_6675 Depth=2
	s_delay_alu instid0(VALU_DEP_2) | instskip(SKIP_2) | instid1(VALU_DEP_2)
	v_cmp_lt_u64_e32 vcc_lo, 0xffffff, v[36:37]
	v_add_nc_u32_e32 v3, 7, v69
	v_cndmask_b32_e64 v16, 0, 1, vcc_lo
	v_cndmask_b32_e32 v3, v68, v3, vcc_lo
	s_delay_alu instid0(VALU_DEP_2)
	v_lshrrev_b64 v[16:17], v16, v[36:37]
; %bb.7510:                             ;   in Loop: Header=BB4_6675 Depth=2
	s_and_not1_saveexec_b32 s7, s7
; %bb.7511:                             ;   in Loop: Header=BB4_6675 Depth=2
	v_mov_b64_e32 v[16:17], v[36:37]
	v_bfe_u32 v3, v36, 23, 1
; %bb.7512:                             ;   in Loop: Header=BB4_6675 Depth=2
	s_or_b32 exec_lo, exec_lo, s7
	s_delay_alu instid0(VALU_DEP_2) | instskip(NEXT) | instid1(VALU_DEP_2)
	v_lshrrev_b64 v[16:17], 20, v[16:17]
	v_cmp_gt_i32_e32 vcc_lo, 16, v3
	v_cmp_ne_u32_e64 s7, 0, v3
                                        ; implicit-def: $vgpr97
	s_delay_alu instid0(VALU_DEP_3) | instskip(NEXT) | instid1(VALU_DEP_1)
	v_dual_cndmask_b32 v17, 0, v17 :: v_dual_cndmask_b32 v16, 7, v16
	v_cmp_ne_u64_e32 vcc_lo, 0, v[16:17]
	s_or_b32 s7, s7, vcc_lo
	s_delay_alu instid0(SALU_CYCLE_1) | instskip(NEXT) | instid1(SALU_CYCLE_1)
	s_and_saveexec_b32 s40, s7
	s_xor_b32 s7, exec_lo, s40
; %bb.7513:                             ;   in Loop: Header=BB4_6675 Depth=2
	v_min_i32_e32 v3, 15, v3
	s_delay_alu instid0(VALU_DEP_1) | instskip(NEXT) | instid1(VALU_DEP_1)
	v_lshl_or_b32 v2, v3, 3, v2
	v_and_or_b32 v97, v16, 7, v2
                                        ; implicit-def: $vgpr2
; %bb.7514:                             ;   in Loop: Header=BB4_6675 Depth=2
	s_and_not1_saveexec_b32 s7, s7
; %bb.7515:                             ;   in Loop: Header=BB4_6675 Depth=2
	v_mov_b32_e32 v97, v2
; %bb.7516:                             ;   in Loop: Header=BB4_6675 Depth=2
	s_or_b32 exec_lo, exec_lo, s7
.LBB4_7517:                             ;   in Loop: Header=BB4_6675 Depth=2
	s_delay_alu instid0(SALU_CYCLE_1)
	s_or_b32 exec_lo, exec_lo, s29
                                        ; implicit-def: $vgpr2
.LBB4_7518:                             ;   in Loop: Header=BB4_6675 Depth=2
	s_and_not1_saveexec_b32 s7, s11
; %bb.7519:                             ;   in Loop: Header=BB4_6675 Depth=2
	v_or_b32_e32 v97, 0x7e, v2
; %bb.7520:                             ;   in Loop: Header=BB4_6675 Depth=2
	s_or_b32 exec_lo, exec_lo, s7
                                        ; implicit-def: $vgpr2
.LBB4_7521:                             ;   in Loop: Header=BB4_6675 Depth=2
	s_and_not1_saveexec_b32 s7, s10
; %bb.7522:                             ;   in Loop: Header=BB4_6675 Depth=2
	v_or_b32_e32 v97, 0x7f, v2
; %bb.7523:                             ;   in Loop: Header=BB4_6675 Depth=2
	s_or_b32 exec_lo, exec_lo, s7
	v_and_b32_e32 v16, 0xff, v96
	v_dual_mov_b32 v2, 0 :: v_dual_mov_b32 v3, 0
	s_mov_b32 s7, exec_lo
	s_delay_alu instid0(VALU_DEP_2)
	v_cmpx_ne_u16_e32 0, v16
	s_cbranch_execz .LBB4_7531
; %bb.7524:                             ;   in Loop: Header=BB4_6675 Depth=2
	v_bfrev_b32_e32 v3, 1
	s_mov_b32 s10, exec_lo
	v_cmpx_ne_u16_e32 0x80, v16
	s_cbranch_execz .LBB4_7530
; %bb.7525:                             ;   in Loop: Header=BB4_6675 Depth=2
	v_and_b32_e32 v17, 0x7f, v96
	v_mov_b32_e32 v3, 0x7f800001
	s_mov_b32 s11, exec_lo
	s_delay_alu instid0(VALU_DEP_2)
	v_cmpx_ne_u32_e32 0x7f, v17
	s_cbranch_execz .LBB4_7529
; %bb.7526:                             ;   in Loop: Header=BB4_6675 Depth=2
	v_dual_lshrrev_b32 v3, 3, v17 :: v_dual_bitop2_b32 v36, 7, v16 bitop3:0x40
	v_cmp_gt_u32_e32 vcc_lo, 8, v17
	s_delay_alu instid0(VALU_DEP_2)
	v_mov_b64_e32 v[16:17], v[36:37]
	s_and_saveexec_b32 s29, vcc_lo
; %bb.7527:                             ;   in Loop: Header=BB4_6675 Depth=2
	v_clz_i32_u32_e32 v3, v36
	s_delay_alu instid0(VALU_DEP_1) | instskip(NEXT) | instid1(VALU_DEP_1)
	v_min_u32_e32 v3, 32, v3
	v_subrev_nc_u32_e32 v16, 28, v3
	s_delay_alu instid0(VALU_DEP_1) | instskip(NEXT) | instid1(VALU_DEP_1)
	v_lshlrev_b64_e32 v[16:17], v16, v[36:37]
	v_dual_sub_nc_u32 v3, 29, v3 :: v_dual_bitop2_b32 v16, 7, v16 bitop3:0x40
; %bb.7528:                             ;   in Loop: Header=BB4_6675 Depth=2
	s_or_b32 exec_lo, exec_lo, s29
	v_lshlrev_b32_e32 v17, 24, v96
	s_delay_alu instid0(VALU_DEP_2) | instskip(NEXT) | instid1(VALU_DEP_3)
	v_lshlrev_b32_e32 v16, 20, v16
	v_lshl_add_u32 v3, v3, 23, 0x3c000000
	s_delay_alu instid0(VALU_DEP_3) | instskip(NEXT) | instid1(VALU_DEP_1)
	v_and_b32_e32 v17, 0x80000000, v17
	v_or3_b32 v3, v16, v17, v3
.LBB4_7529:                             ;   in Loop: Header=BB4_6675 Depth=2
	s_or_b32 exec_lo, exec_lo, s11
.LBB4_7530:                             ;   in Loop: Header=BB4_6675 Depth=2
	s_delay_alu instid0(SALU_CYCLE_1)
	s_or_b32 exec_lo, exec_lo, s10
.LBB4_7531:                             ;   in Loop: Header=BB4_6675 Depth=2
	s_delay_alu instid0(SALU_CYCLE_1) | instskip(SKIP_3) | instid1(VALU_DEP_1)
	s_or_b32 exec_lo, exec_lo, s7
	s_wait_loadcnt_dscnt 0x404
	v_and_b32_e32 v16, 0xff, v45
	s_mov_b32 s7, exec_lo
	v_cmpx_ne_u16_e32 0, v16
	s_cbranch_execz .LBB4_7539
; %bb.7532:                             ;   in Loop: Header=BB4_6675 Depth=2
	v_bfrev_b32_e32 v2, 1
	s_mov_b32 s10, exec_lo
	v_cmpx_ne_u16_e32 0x80, v16
	s_cbranch_execz .LBB4_7538
; %bb.7533:                             ;   in Loop: Header=BB4_6675 Depth=2
	v_and_b32_e32 v17, 0x7f, v45
	v_mov_b32_e32 v2, 0x7f800001
	s_mov_b32 s11, exec_lo
	s_delay_alu instid0(VALU_DEP_2)
	v_cmpx_ne_u32_e32 0x7f, v17
	s_cbranch_execz .LBB4_7537
; %bb.7534:                             ;   in Loop: Header=BB4_6675 Depth=2
	v_dual_lshrrev_b32 v2, 3, v17 :: v_dual_bitop2_b32 v36, 7, v16 bitop3:0x40
	v_cmp_gt_u32_e32 vcc_lo, 8, v17
	s_delay_alu instid0(VALU_DEP_2)
	v_mov_b64_e32 v[16:17], v[36:37]
	s_and_saveexec_b32 s29, vcc_lo
; %bb.7535:                             ;   in Loop: Header=BB4_6675 Depth=2
	v_clz_i32_u32_e32 v2, v36
	s_delay_alu instid0(VALU_DEP_1) | instskip(NEXT) | instid1(VALU_DEP_1)
	v_min_u32_e32 v2, 32, v2
	v_subrev_nc_u32_e32 v16, 28, v2
	s_delay_alu instid0(VALU_DEP_1) | instskip(NEXT) | instid1(VALU_DEP_1)
	v_lshlrev_b64_e32 v[16:17], v16, v[36:37]
	v_dual_sub_nc_u32 v2, 29, v2 :: v_dual_bitop2_b32 v16, 7, v16 bitop3:0x40
; %bb.7536:                             ;   in Loop: Header=BB4_6675 Depth=2
	s_or_b32 exec_lo, exec_lo, s29
	s_delay_alu instid0(VALU_DEP_1) | instskip(NEXT) | instid1(VALU_DEP_2)
	v_dual_lshlrev_b32 v17, 24, v45 :: v_dual_lshlrev_b32 v16, 20, v16
	v_lshl_add_u32 v2, v2, 23, 0x3c000000
	s_delay_alu instid0(VALU_DEP_2) | instskip(NEXT) | instid1(VALU_DEP_1)
	v_and_b32_e32 v17, 0x80000000, v17
	v_or3_b32 v2, v16, v17, v2
.LBB4_7537:                             ;   in Loop: Header=BB4_6675 Depth=2
	s_or_b32 exec_lo, exec_lo, s11
.LBB4_7538:                             ;   in Loop: Header=BB4_6675 Depth=2
	s_delay_alu instid0(SALU_CYCLE_1)
	s_or_b32 exec_lo, exec_lo, s10
.LBB4_7539:                             ;   in Loop: Header=BB4_6675 Depth=2
	s_delay_alu instid0(SALU_CYCLE_1) | instskip(NEXT) | instid1(VALU_DEP_1)
	s_or_b32 exec_lo, exec_lo, s7
	v_add_f32_e32 v3, v3, v2
                                        ; implicit-def: $vgpr96
	s_mov_b32 s7, exec_lo
	s_delay_alu instid0(VALU_DEP_1) | instskip(SKIP_1) | instid1(VALU_DEP_2)
	v_and_b32_e32 v36, 0x7f800000, v3
	v_lshrrev_b32_e32 v2, 24, v3
	v_cmpx_ne_u64_e32 0x7f800000, v[36:37]
	s_xor_b32 s10, exec_lo, s7
	s_cbranch_execz .LBB4_7557
; %bb.7540:                             ;   in Loop: Header=BB4_6675 Depth=2
	v_and_b32_e32 v36, 0x7fffffff, v3
	v_and_b32_e32 v2, 0x80, v2
                                        ; implicit-def: $vgpr96
	s_mov_b32 s7, exec_lo
	s_delay_alu instid0(VALU_DEP_2)
	v_cmpx_gt_u64_e32 0x43e00001, v[36:37]
	s_xor_b32 s11, exec_lo, s7
	s_cbranch_execz .LBB4_7554
; %bb.7541:                             ;   in Loop: Header=BB4_6675 Depth=2
	v_mov_b32_e32 v96, 0
	s_mov_b32 s29, exec_lo
	v_cmpx_ne_u32_e32 0, v3
	s_cbranch_execz .LBB4_7553
; %bb.7542:                             ;   in Loop: Header=BB4_6675 Depth=2
	v_bfe_u32 v96, v3, 23, 8
	v_and_b32_e32 v3, 0x7fffff, v3
	s_delay_alu instid0(VALU_DEP_2) | instskip(SKIP_1) | instid1(VALU_DEP_3)
	v_sub_nc_u32_e32 v16, 0x79, v96
	v_cmp_gt_u32_e32 vcc_lo, 0x7a, v96
	v_or_b32_e32 v20, 0x800000, v3
	s_delay_alu instid0(VALU_DEP_3) | instskip(SKIP_1) | instid1(VALU_DEP_2)
	v_cndmask_b32_e32 v16, 0, v16, vcc_lo
	v_cmp_eq_u32_e32 vcc_lo, 0, v96
	v_cndmask_b32_e64 v113, v16, 0x78, vcc_lo
	s_delay_alu instid0(VALU_DEP_1) | instskip(SKIP_1) | instid1(VALU_DEP_2)
	v_dual_cndmask_b32 v36, v20, v3, vcc_lo :: v_dual_add_nc_u32 v16, 20, v113
	v_add_nc_u32_e32 v21, 19, v113
	v_lshlrev_b64_e64 v[16:17], v16, -1
	s_delay_alu instid0(VALU_DEP_2) | instskip(NEXT) | instid1(VALU_DEP_2)
	v_lshlrev_b64_e64 v[20:21], v21, 1
	v_bfi_b32 v69, v17, 0, 0
	s_delay_alu instid0(VALU_DEP_3) | instskip(SKIP_1) | instid1(VALU_DEP_2)
	v_bfi_b32 v68, v16, 0, v36
	v_lshrrev_b64 v[16:17], v113, v[36:37]
	v_cmp_eq_u64_e64 s7, v[68:69], v[20:21]
	s_delay_alu instid0(VALU_DEP_2)
	v_mov_b64_e32 v[68:69], v[16:17]
	s_and_saveexec_b32 s40, s7
; %bb.7543:                             ;   in Loop: Header=BB4_6675 Depth=2
	v_bfe_u32 v36, v16, 20, 1
	s_delay_alu instid0(VALU_DEP_1) | instskip(NEXT) | instid1(VALU_DEP_1)
	v_add_nc_u64_e32 v[20:21], v[16:17], v[36:37]
	v_add_nc_u64_e32 v[68:69], -1, v[20:21]
; %bb.7544:                             ;   in Loop: Header=BB4_6675 Depth=2
	s_or_b32 exec_lo, exec_lo, s40
	v_add_nc_u32_e32 v3, 0xffffff81, v96
	v_lshrrev_b32_e32 v17, 23, v16
	s_mov_b32 s7, exec_lo
	s_delay_alu instid0(VALU_DEP_2) | instskip(NEXT) | instid1(VALU_DEP_1)
	v_cndmask_b32_e64 v3, v3, 0xffffff82, vcc_lo
	v_add3_u32 v69, v113, v3, v17
	v_and_b32_e32 v3, 0xfffff, v68
	s_delay_alu instid0(VALU_DEP_1) | instskip(NEXT) | instid1(VALU_DEP_1)
	v_dual_add_nc_u32 v68, 6, v69 :: v_dual_add_nc_u32 v36, v3, v16
                                        ; implicit-def: $vgpr16_vgpr17
                                        ; implicit-def: $vgpr3
	v_cmpx_ne_u32_e32 0, v68
	s_xor_b32 s7, exec_lo, s7
; %bb.7545:                             ;   in Loop: Header=BB4_6675 Depth=2
	s_delay_alu instid0(VALU_DEP_2) | instskip(SKIP_2) | instid1(VALU_DEP_2)
	v_cmp_lt_u64_e32 vcc_lo, 0xffffff, v[36:37]
	v_add_nc_u32_e32 v3, 7, v69
	v_cndmask_b32_e64 v16, 0, 1, vcc_lo
	v_cndmask_b32_e32 v3, v68, v3, vcc_lo
	s_delay_alu instid0(VALU_DEP_2)
	v_lshrrev_b64 v[16:17], v16, v[36:37]
; %bb.7546:                             ;   in Loop: Header=BB4_6675 Depth=2
	s_and_not1_saveexec_b32 s7, s7
; %bb.7547:                             ;   in Loop: Header=BB4_6675 Depth=2
	v_mov_b64_e32 v[16:17], v[36:37]
	v_bfe_u32 v3, v36, 23, 1
; %bb.7548:                             ;   in Loop: Header=BB4_6675 Depth=2
	s_or_b32 exec_lo, exec_lo, s7
	s_delay_alu instid0(VALU_DEP_2) | instskip(NEXT) | instid1(VALU_DEP_2)
	v_lshrrev_b64 v[16:17], 20, v[16:17]
	v_cmp_gt_i32_e32 vcc_lo, 16, v3
	v_cmp_ne_u32_e64 s7, 0, v3
                                        ; implicit-def: $vgpr96
	s_delay_alu instid0(VALU_DEP_3) | instskip(NEXT) | instid1(VALU_DEP_1)
	v_dual_cndmask_b32 v17, 0, v17 :: v_dual_cndmask_b32 v16, 7, v16
	v_cmp_ne_u64_e32 vcc_lo, 0, v[16:17]
	s_or_b32 s7, s7, vcc_lo
	s_delay_alu instid0(SALU_CYCLE_1) | instskip(NEXT) | instid1(SALU_CYCLE_1)
	s_and_saveexec_b32 s40, s7
	s_xor_b32 s7, exec_lo, s40
; %bb.7549:                             ;   in Loop: Header=BB4_6675 Depth=2
	v_min_i32_e32 v3, 15, v3
	s_delay_alu instid0(VALU_DEP_1) | instskip(NEXT) | instid1(VALU_DEP_1)
	v_lshl_or_b32 v2, v3, 3, v2
	v_and_or_b32 v96, v16, 7, v2
                                        ; implicit-def: $vgpr2
; %bb.7550:                             ;   in Loop: Header=BB4_6675 Depth=2
	s_and_not1_saveexec_b32 s7, s7
; %bb.7551:                             ;   in Loop: Header=BB4_6675 Depth=2
	v_mov_b32_e32 v96, v2
; %bb.7552:                             ;   in Loop: Header=BB4_6675 Depth=2
	s_or_b32 exec_lo, exec_lo, s7
.LBB4_7553:                             ;   in Loop: Header=BB4_6675 Depth=2
	s_delay_alu instid0(SALU_CYCLE_1)
	s_or_b32 exec_lo, exec_lo, s29
                                        ; implicit-def: $vgpr2
.LBB4_7554:                             ;   in Loop: Header=BB4_6675 Depth=2
	s_and_not1_saveexec_b32 s7, s11
; %bb.7555:                             ;   in Loop: Header=BB4_6675 Depth=2
	v_or_b32_e32 v96, 0x7e, v2
; %bb.7556:                             ;   in Loop: Header=BB4_6675 Depth=2
	s_or_b32 exec_lo, exec_lo, s7
                                        ; implicit-def: $vgpr2
.LBB4_7557:                             ;   in Loop: Header=BB4_6675 Depth=2
	s_and_not1_saveexec_b32 s7, s10
; %bb.7558:                             ;   in Loop: Header=BB4_6675 Depth=2
	v_or_b32_e32 v96, 0x7f, v2
; %bb.7559:                             ;   in Loop: Header=BB4_6675 Depth=2
	s_or_b32 exec_lo, exec_lo, s7
	v_and_b32_e32 v16, 0xff, v87
	v_dual_mov_b32 v2, 0 :: v_dual_mov_b32 v3, 0
	s_mov_b32 s7, exec_lo
	s_delay_alu instid0(VALU_DEP_2)
	v_cmpx_ne_u16_e32 0, v16
	s_cbranch_execz .LBB4_7567
; %bb.7560:                             ;   in Loop: Header=BB4_6675 Depth=2
	v_bfrev_b32_e32 v3, 1
	s_mov_b32 s10, exec_lo
	v_cmpx_ne_u16_e32 0x80, v16
	s_cbranch_execz .LBB4_7566
; %bb.7561:                             ;   in Loop: Header=BB4_6675 Depth=2
	v_and_b32_e32 v17, 0x7f, v87
	v_mov_b32_e32 v3, 0x7f800001
	s_mov_b32 s11, exec_lo
	s_delay_alu instid0(VALU_DEP_2)
	v_cmpx_ne_u32_e32 0x7f, v17
	s_cbranch_execz .LBB4_7565
; %bb.7562:                             ;   in Loop: Header=BB4_6675 Depth=2
	v_dual_lshrrev_b32 v3, 3, v17 :: v_dual_bitop2_b32 v36, 7, v16 bitop3:0x40
	v_cmp_gt_u32_e32 vcc_lo, 8, v17
	s_delay_alu instid0(VALU_DEP_2)
	v_mov_b64_e32 v[16:17], v[36:37]
	s_and_saveexec_b32 s29, vcc_lo
; %bb.7563:                             ;   in Loop: Header=BB4_6675 Depth=2
	v_clz_i32_u32_e32 v3, v36
	s_delay_alu instid0(VALU_DEP_1) | instskip(NEXT) | instid1(VALU_DEP_1)
	v_min_u32_e32 v3, 32, v3
	v_subrev_nc_u32_e32 v16, 28, v3
	s_delay_alu instid0(VALU_DEP_1) | instskip(NEXT) | instid1(VALU_DEP_1)
	v_lshlrev_b64_e32 v[16:17], v16, v[36:37]
	v_dual_sub_nc_u32 v3, 29, v3 :: v_dual_bitop2_b32 v16, 7, v16 bitop3:0x40
; %bb.7564:                             ;   in Loop: Header=BB4_6675 Depth=2
	s_or_b32 exec_lo, exec_lo, s29
	s_delay_alu instid0(VALU_DEP_1) | instskip(NEXT) | instid1(VALU_DEP_2)
	v_dual_lshlrev_b32 v17, 24, v87 :: v_dual_lshlrev_b32 v16, 20, v16
	v_lshl_add_u32 v3, v3, 23, 0x3c000000
	s_delay_alu instid0(VALU_DEP_2) | instskip(NEXT) | instid1(VALU_DEP_1)
	v_and_b32_e32 v17, 0x80000000, v17
	v_or3_b32 v3, v16, v17, v3
.LBB4_7565:                             ;   in Loop: Header=BB4_6675 Depth=2
	s_or_b32 exec_lo, exec_lo, s11
.LBB4_7566:                             ;   in Loop: Header=BB4_6675 Depth=2
	s_delay_alu instid0(SALU_CYCLE_1)
	s_or_b32 exec_lo, exec_lo, s10
.LBB4_7567:                             ;   in Loop: Header=BB4_6675 Depth=2
	s_delay_alu instid0(SALU_CYCLE_1) | instskip(SKIP_3) | instid1(VALU_DEP_1)
	s_or_b32 exec_lo, exec_lo, s7
	s_wait_loadcnt_dscnt 0x303
	v_and_b32_e32 v16, 0xff, v44
	s_mov_b32 s7, exec_lo
	v_cmpx_ne_u16_e32 0, v16
	s_cbranch_execz .LBB4_7575
; %bb.7568:                             ;   in Loop: Header=BB4_6675 Depth=2
	v_bfrev_b32_e32 v2, 1
	s_mov_b32 s10, exec_lo
	v_cmpx_ne_u16_e32 0x80, v16
	s_cbranch_execz .LBB4_7574
; %bb.7569:                             ;   in Loop: Header=BB4_6675 Depth=2
	v_and_b32_e32 v17, 0x7f, v44
	v_mov_b32_e32 v2, 0x7f800001
	s_mov_b32 s11, exec_lo
	s_delay_alu instid0(VALU_DEP_2)
	v_cmpx_ne_u32_e32 0x7f, v17
	s_cbranch_execz .LBB4_7573
; %bb.7570:                             ;   in Loop: Header=BB4_6675 Depth=2
	v_dual_lshrrev_b32 v2, 3, v17 :: v_dual_bitop2_b32 v36, 7, v16 bitop3:0x40
	v_cmp_gt_u32_e32 vcc_lo, 8, v17
	s_delay_alu instid0(VALU_DEP_2)
	v_mov_b64_e32 v[16:17], v[36:37]
	s_and_saveexec_b32 s29, vcc_lo
; %bb.7571:                             ;   in Loop: Header=BB4_6675 Depth=2
	v_clz_i32_u32_e32 v2, v36
	s_delay_alu instid0(VALU_DEP_1) | instskip(NEXT) | instid1(VALU_DEP_1)
	v_min_u32_e32 v2, 32, v2
	v_subrev_nc_u32_e32 v16, 28, v2
	s_delay_alu instid0(VALU_DEP_1) | instskip(NEXT) | instid1(VALU_DEP_1)
	v_lshlrev_b64_e32 v[16:17], v16, v[36:37]
	v_dual_sub_nc_u32 v2, 29, v2 :: v_dual_bitop2_b32 v16, 7, v16 bitop3:0x40
; %bb.7572:                             ;   in Loop: Header=BB4_6675 Depth=2
	s_or_b32 exec_lo, exec_lo, s29
	v_lshlrev_b32_e32 v17, 24, v44
	s_delay_alu instid0(VALU_DEP_2) | instskip(NEXT) | instid1(VALU_DEP_3)
	v_lshlrev_b32_e32 v16, 20, v16
	v_lshl_add_u32 v2, v2, 23, 0x3c000000
	s_delay_alu instid0(VALU_DEP_3) | instskip(NEXT) | instid1(VALU_DEP_1)
	v_and_b32_e32 v17, 0x80000000, v17
	v_or3_b32 v2, v16, v17, v2
.LBB4_7573:                             ;   in Loop: Header=BB4_6675 Depth=2
	s_or_b32 exec_lo, exec_lo, s11
.LBB4_7574:                             ;   in Loop: Header=BB4_6675 Depth=2
	s_delay_alu instid0(SALU_CYCLE_1)
	s_or_b32 exec_lo, exec_lo, s10
.LBB4_7575:                             ;   in Loop: Header=BB4_6675 Depth=2
	s_delay_alu instid0(SALU_CYCLE_1) | instskip(NEXT) | instid1(VALU_DEP_1)
	s_or_b32 exec_lo, exec_lo, s7
	v_add_f32_e32 v3, v3, v2
                                        ; implicit-def: $vgpr87
	s_mov_b32 s7, exec_lo
	s_delay_alu instid0(VALU_DEP_1) | instskip(SKIP_1) | instid1(VALU_DEP_2)
	v_and_b32_e32 v36, 0x7f800000, v3
	v_lshrrev_b32_e32 v2, 24, v3
	v_cmpx_ne_u64_e32 0x7f800000, v[36:37]
	s_xor_b32 s10, exec_lo, s7
	s_cbranch_execz .LBB4_7593
; %bb.7576:                             ;   in Loop: Header=BB4_6675 Depth=2
	v_and_b32_e32 v36, 0x7fffffff, v3
	v_and_b32_e32 v2, 0x80, v2
                                        ; implicit-def: $vgpr87
	s_mov_b32 s7, exec_lo
	s_delay_alu instid0(VALU_DEP_2)
	v_cmpx_gt_u64_e32 0x43e00001, v[36:37]
	s_xor_b32 s11, exec_lo, s7
	s_cbranch_execz .LBB4_7590
; %bb.7577:                             ;   in Loop: Header=BB4_6675 Depth=2
	v_mov_b32_e32 v87, 0
	s_mov_b32 s29, exec_lo
	v_cmpx_ne_u32_e32 0, v3
	s_cbranch_execz .LBB4_7589
; %bb.7578:                             ;   in Loop: Header=BB4_6675 Depth=2
	v_bfe_u32 v87, v3, 23, 8
	v_and_b32_e32 v3, 0x7fffff, v3
	s_delay_alu instid0(VALU_DEP_2) | instskip(SKIP_1) | instid1(VALU_DEP_3)
	v_sub_nc_u32_e32 v16, 0x79, v87
	v_cmp_gt_u32_e32 vcc_lo, 0x7a, v87
	v_or_b32_e32 v20, 0x800000, v3
	s_delay_alu instid0(VALU_DEP_3) | instskip(SKIP_1) | instid1(VALU_DEP_2)
	v_cndmask_b32_e32 v16, 0, v16, vcc_lo
	v_cmp_eq_u32_e32 vcc_lo, 0, v87
	v_cndmask_b32_e64 v113, v16, 0x78, vcc_lo
	s_delay_alu instid0(VALU_DEP_1) | instskip(SKIP_1) | instid1(VALU_DEP_2)
	v_dual_cndmask_b32 v36, v20, v3, vcc_lo :: v_dual_add_nc_u32 v16, 20, v113
	v_add_nc_u32_e32 v21, 19, v113
	v_lshlrev_b64_e64 v[16:17], v16, -1
	s_delay_alu instid0(VALU_DEP_2) | instskip(NEXT) | instid1(VALU_DEP_2)
	v_lshlrev_b64_e64 v[20:21], v21, 1
	v_bfi_b32 v69, v17, 0, 0
	s_delay_alu instid0(VALU_DEP_3) | instskip(SKIP_1) | instid1(VALU_DEP_2)
	v_bfi_b32 v68, v16, 0, v36
	v_lshrrev_b64 v[16:17], v113, v[36:37]
	v_cmp_eq_u64_e64 s7, v[68:69], v[20:21]
	s_delay_alu instid0(VALU_DEP_2)
	v_mov_b64_e32 v[68:69], v[16:17]
	s_and_saveexec_b32 s40, s7
; %bb.7579:                             ;   in Loop: Header=BB4_6675 Depth=2
	v_bfe_u32 v36, v16, 20, 1
	s_delay_alu instid0(VALU_DEP_1) | instskip(NEXT) | instid1(VALU_DEP_1)
	v_add_nc_u64_e32 v[20:21], v[16:17], v[36:37]
	v_add_nc_u64_e32 v[68:69], -1, v[20:21]
; %bb.7580:                             ;   in Loop: Header=BB4_6675 Depth=2
	s_or_b32 exec_lo, exec_lo, s40
	v_add_nc_u32_e32 v3, 0xffffff81, v87
	v_lshrrev_b32_e32 v17, 23, v16
	s_mov_b32 s7, exec_lo
	s_delay_alu instid0(VALU_DEP_2) | instskip(NEXT) | instid1(VALU_DEP_1)
	v_cndmask_b32_e64 v3, v3, 0xffffff82, vcc_lo
	v_add3_u32 v69, v113, v3, v17
	v_and_b32_e32 v3, 0xfffff, v68
	s_delay_alu instid0(VALU_DEP_1) | instskip(NEXT) | instid1(VALU_DEP_1)
	v_dual_add_nc_u32 v68, 6, v69 :: v_dual_add_nc_u32 v36, v3, v16
                                        ; implicit-def: $vgpr16_vgpr17
                                        ; implicit-def: $vgpr3
	v_cmpx_ne_u32_e32 0, v68
	s_xor_b32 s7, exec_lo, s7
; %bb.7581:                             ;   in Loop: Header=BB4_6675 Depth=2
	s_delay_alu instid0(VALU_DEP_2) | instskip(SKIP_2) | instid1(VALU_DEP_2)
	v_cmp_lt_u64_e32 vcc_lo, 0xffffff, v[36:37]
	v_add_nc_u32_e32 v3, 7, v69
	v_cndmask_b32_e64 v16, 0, 1, vcc_lo
	v_cndmask_b32_e32 v3, v68, v3, vcc_lo
	s_delay_alu instid0(VALU_DEP_2)
	v_lshrrev_b64 v[16:17], v16, v[36:37]
; %bb.7582:                             ;   in Loop: Header=BB4_6675 Depth=2
	s_and_not1_saveexec_b32 s7, s7
; %bb.7583:                             ;   in Loop: Header=BB4_6675 Depth=2
	v_mov_b64_e32 v[16:17], v[36:37]
	v_bfe_u32 v3, v36, 23, 1
; %bb.7584:                             ;   in Loop: Header=BB4_6675 Depth=2
	s_or_b32 exec_lo, exec_lo, s7
	s_delay_alu instid0(VALU_DEP_2) | instskip(NEXT) | instid1(VALU_DEP_2)
	v_lshrrev_b64 v[16:17], 20, v[16:17]
	v_cmp_gt_i32_e32 vcc_lo, 16, v3
	v_cmp_ne_u32_e64 s7, 0, v3
                                        ; implicit-def: $vgpr87
	s_delay_alu instid0(VALU_DEP_3) | instskip(NEXT) | instid1(VALU_DEP_1)
	v_dual_cndmask_b32 v17, 0, v17 :: v_dual_cndmask_b32 v16, 7, v16
	v_cmp_ne_u64_e32 vcc_lo, 0, v[16:17]
	s_or_b32 s7, s7, vcc_lo
	s_delay_alu instid0(SALU_CYCLE_1) | instskip(NEXT) | instid1(SALU_CYCLE_1)
	s_and_saveexec_b32 s40, s7
	s_xor_b32 s7, exec_lo, s40
; %bb.7585:                             ;   in Loop: Header=BB4_6675 Depth=2
	v_min_i32_e32 v3, 15, v3
	s_delay_alu instid0(VALU_DEP_1) | instskip(NEXT) | instid1(VALU_DEP_1)
	v_lshl_or_b32 v2, v3, 3, v2
	v_and_or_b32 v87, v16, 7, v2
                                        ; implicit-def: $vgpr2
; %bb.7586:                             ;   in Loop: Header=BB4_6675 Depth=2
	s_and_not1_saveexec_b32 s7, s7
; %bb.7587:                             ;   in Loop: Header=BB4_6675 Depth=2
	v_mov_b32_e32 v87, v2
; %bb.7588:                             ;   in Loop: Header=BB4_6675 Depth=2
	s_or_b32 exec_lo, exec_lo, s7
.LBB4_7589:                             ;   in Loop: Header=BB4_6675 Depth=2
	s_delay_alu instid0(SALU_CYCLE_1)
	s_or_b32 exec_lo, exec_lo, s29
                                        ; implicit-def: $vgpr2
.LBB4_7590:                             ;   in Loop: Header=BB4_6675 Depth=2
	s_and_not1_saveexec_b32 s7, s11
; %bb.7591:                             ;   in Loop: Header=BB4_6675 Depth=2
	v_or_b32_e32 v87, 0x7e, v2
; %bb.7592:                             ;   in Loop: Header=BB4_6675 Depth=2
	s_or_b32 exec_lo, exec_lo, s7
                                        ; implicit-def: $vgpr2
.LBB4_7593:                             ;   in Loop: Header=BB4_6675 Depth=2
	s_and_not1_saveexec_b32 s7, s10
; %bb.7594:                             ;   in Loop: Header=BB4_6675 Depth=2
	v_or_b32_e32 v87, 0x7f, v2
; %bb.7595:                             ;   in Loop: Header=BB4_6675 Depth=2
	s_or_b32 exec_lo, exec_lo, s7
	v_and_b32_e32 v16, 0xff, v86
	v_dual_mov_b32 v2, 0 :: v_dual_mov_b32 v3, 0
	s_mov_b32 s7, exec_lo
	s_delay_alu instid0(VALU_DEP_2)
	v_cmpx_ne_u16_e32 0, v16
	s_cbranch_execz .LBB4_7603
; %bb.7596:                             ;   in Loop: Header=BB4_6675 Depth=2
	v_bfrev_b32_e32 v3, 1
	s_mov_b32 s10, exec_lo
	v_cmpx_ne_u16_e32 0x80, v16
	s_cbranch_execz .LBB4_7602
; %bb.7597:                             ;   in Loop: Header=BB4_6675 Depth=2
	v_and_b32_e32 v17, 0x7f, v86
	v_mov_b32_e32 v3, 0x7f800001
	s_mov_b32 s11, exec_lo
	s_delay_alu instid0(VALU_DEP_2)
	v_cmpx_ne_u32_e32 0x7f, v17
	s_cbranch_execz .LBB4_7601
; %bb.7598:                             ;   in Loop: Header=BB4_6675 Depth=2
	v_dual_lshrrev_b32 v3, 3, v17 :: v_dual_bitop2_b32 v36, 7, v16 bitop3:0x40
	v_cmp_gt_u32_e32 vcc_lo, 8, v17
	s_delay_alu instid0(VALU_DEP_2)
	v_mov_b64_e32 v[16:17], v[36:37]
	s_and_saveexec_b32 s29, vcc_lo
; %bb.7599:                             ;   in Loop: Header=BB4_6675 Depth=2
	v_clz_i32_u32_e32 v3, v36
	s_delay_alu instid0(VALU_DEP_1) | instskip(NEXT) | instid1(VALU_DEP_1)
	v_min_u32_e32 v3, 32, v3
	v_subrev_nc_u32_e32 v16, 28, v3
	s_delay_alu instid0(VALU_DEP_1) | instskip(NEXT) | instid1(VALU_DEP_1)
	v_lshlrev_b64_e32 v[16:17], v16, v[36:37]
	v_dual_sub_nc_u32 v3, 29, v3 :: v_dual_bitop2_b32 v16, 7, v16 bitop3:0x40
; %bb.7600:                             ;   in Loop: Header=BB4_6675 Depth=2
	s_or_b32 exec_lo, exec_lo, s29
	s_delay_alu instid0(VALU_DEP_1) | instskip(NEXT) | instid1(VALU_DEP_2)
	v_dual_lshlrev_b32 v17, 24, v86 :: v_dual_lshlrev_b32 v16, 20, v16
	v_lshl_add_u32 v3, v3, 23, 0x3c000000
	s_delay_alu instid0(VALU_DEP_2) | instskip(NEXT) | instid1(VALU_DEP_1)
	v_and_b32_e32 v17, 0x80000000, v17
	v_or3_b32 v3, v16, v17, v3
.LBB4_7601:                             ;   in Loop: Header=BB4_6675 Depth=2
	s_or_b32 exec_lo, exec_lo, s11
.LBB4_7602:                             ;   in Loop: Header=BB4_6675 Depth=2
	s_delay_alu instid0(SALU_CYCLE_1)
	s_or_b32 exec_lo, exec_lo, s10
.LBB4_7603:                             ;   in Loop: Header=BB4_6675 Depth=2
	s_delay_alu instid0(SALU_CYCLE_1) | instskip(SKIP_3) | instid1(VALU_DEP_1)
	s_or_b32 exec_lo, exec_lo, s7
	s_wait_loadcnt_dscnt 0x202
	v_and_b32_e32 v16, 0xff, v40
	s_mov_b32 s7, exec_lo
	v_cmpx_ne_u16_e32 0, v16
	s_cbranch_execz .LBB4_7611
; %bb.7604:                             ;   in Loop: Header=BB4_6675 Depth=2
	v_bfrev_b32_e32 v2, 1
	s_mov_b32 s10, exec_lo
	v_cmpx_ne_u16_e32 0x80, v16
	s_cbranch_execz .LBB4_7610
; %bb.7605:                             ;   in Loop: Header=BB4_6675 Depth=2
	v_and_b32_e32 v17, 0x7f, v40
	v_mov_b32_e32 v2, 0x7f800001
	s_mov_b32 s11, exec_lo
	s_delay_alu instid0(VALU_DEP_2)
	v_cmpx_ne_u32_e32 0x7f, v17
	s_cbranch_execz .LBB4_7609
; %bb.7606:                             ;   in Loop: Header=BB4_6675 Depth=2
	v_dual_lshrrev_b32 v2, 3, v17 :: v_dual_bitop2_b32 v36, 7, v16 bitop3:0x40
	v_cmp_gt_u32_e32 vcc_lo, 8, v17
	s_delay_alu instid0(VALU_DEP_2)
	v_mov_b64_e32 v[16:17], v[36:37]
	s_and_saveexec_b32 s29, vcc_lo
; %bb.7607:                             ;   in Loop: Header=BB4_6675 Depth=2
	v_clz_i32_u32_e32 v2, v36
	s_delay_alu instid0(VALU_DEP_1) | instskip(NEXT) | instid1(VALU_DEP_1)
	v_min_u32_e32 v2, 32, v2
	v_subrev_nc_u32_e32 v16, 28, v2
	s_delay_alu instid0(VALU_DEP_1) | instskip(NEXT) | instid1(VALU_DEP_1)
	v_lshlrev_b64_e32 v[16:17], v16, v[36:37]
	v_dual_sub_nc_u32 v2, 29, v2 :: v_dual_bitop2_b32 v16, 7, v16 bitop3:0x40
; %bb.7608:                             ;   in Loop: Header=BB4_6675 Depth=2
	s_or_b32 exec_lo, exec_lo, s29
	v_lshlrev_b32_e32 v17, 24, v40
	s_delay_alu instid0(VALU_DEP_2) | instskip(NEXT) | instid1(VALU_DEP_3)
	v_lshlrev_b32_e32 v16, 20, v16
	v_lshl_add_u32 v2, v2, 23, 0x3c000000
	s_delay_alu instid0(VALU_DEP_3) | instskip(NEXT) | instid1(VALU_DEP_1)
	v_and_b32_e32 v17, 0x80000000, v17
	v_or3_b32 v2, v16, v17, v2
.LBB4_7609:                             ;   in Loop: Header=BB4_6675 Depth=2
	s_or_b32 exec_lo, exec_lo, s11
.LBB4_7610:                             ;   in Loop: Header=BB4_6675 Depth=2
	s_delay_alu instid0(SALU_CYCLE_1)
	s_or_b32 exec_lo, exec_lo, s10
.LBB4_7611:                             ;   in Loop: Header=BB4_6675 Depth=2
	s_delay_alu instid0(SALU_CYCLE_1) | instskip(NEXT) | instid1(VALU_DEP_1)
	s_or_b32 exec_lo, exec_lo, s7
	v_add_f32_e32 v3, v3, v2
                                        ; implicit-def: $vgpr86
	s_mov_b32 s7, exec_lo
	s_delay_alu instid0(VALU_DEP_1) | instskip(SKIP_1) | instid1(VALU_DEP_2)
	v_and_b32_e32 v36, 0x7f800000, v3
	v_lshrrev_b32_e32 v2, 24, v3
	v_cmpx_ne_u64_e32 0x7f800000, v[36:37]
	s_xor_b32 s10, exec_lo, s7
	s_cbranch_execz .LBB4_7629
; %bb.7612:                             ;   in Loop: Header=BB4_6675 Depth=2
	v_and_b32_e32 v36, 0x7fffffff, v3
	v_and_b32_e32 v2, 0x80, v2
                                        ; implicit-def: $vgpr86
	s_mov_b32 s7, exec_lo
	s_delay_alu instid0(VALU_DEP_2)
	v_cmpx_gt_u64_e32 0x43e00001, v[36:37]
	s_xor_b32 s11, exec_lo, s7
	s_cbranch_execz .LBB4_7626
; %bb.7613:                             ;   in Loop: Header=BB4_6675 Depth=2
	v_mov_b32_e32 v86, 0
	s_mov_b32 s29, exec_lo
	v_cmpx_ne_u32_e32 0, v3
	s_cbranch_execz .LBB4_7625
; %bb.7614:                             ;   in Loop: Header=BB4_6675 Depth=2
	v_bfe_u32 v86, v3, 23, 8
	v_and_b32_e32 v3, 0x7fffff, v3
	s_delay_alu instid0(VALU_DEP_2) | instskip(SKIP_1) | instid1(VALU_DEP_3)
	v_sub_nc_u32_e32 v16, 0x79, v86
	v_cmp_gt_u32_e32 vcc_lo, 0x7a, v86
	v_or_b32_e32 v20, 0x800000, v3
	s_delay_alu instid0(VALU_DEP_3) | instskip(SKIP_1) | instid1(VALU_DEP_2)
	v_cndmask_b32_e32 v16, 0, v16, vcc_lo
	v_cmp_eq_u32_e32 vcc_lo, 0, v86
	v_cndmask_b32_e64 v113, v16, 0x78, vcc_lo
	s_delay_alu instid0(VALU_DEP_1) | instskip(SKIP_1) | instid1(VALU_DEP_2)
	v_dual_cndmask_b32 v36, v20, v3, vcc_lo :: v_dual_add_nc_u32 v16, 20, v113
	v_add_nc_u32_e32 v21, 19, v113
	v_lshlrev_b64_e64 v[16:17], v16, -1
	s_delay_alu instid0(VALU_DEP_2) | instskip(NEXT) | instid1(VALU_DEP_2)
	v_lshlrev_b64_e64 v[20:21], v21, 1
	v_bfi_b32 v69, v17, 0, 0
	s_delay_alu instid0(VALU_DEP_3) | instskip(SKIP_1) | instid1(VALU_DEP_2)
	v_bfi_b32 v68, v16, 0, v36
	v_lshrrev_b64 v[16:17], v113, v[36:37]
	v_cmp_eq_u64_e64 s7, v[68:69], v[20:21]
	s_delay_alu instid0(VALU_DEP_2)
	v_mov_b64_e32 v[68:69], v[16:17]
	s_and_saveexec_b32 s40, s7
; %bb.7615:                             ;   in Loop: Header=BB4_6675 Depth=2
	v_bfe_u32 v36, v16, 20, 1
	s_delay_alu instid0(VALU_DEP_1) | instskip(NEXT) | instid1(VALU_DEP_1)
	v_add_nc_u64_e32 v[20:21], v[16:17], v[36:37]
	v_add_nc_u64_e32 v[68:69], -1, v[20:21]
; %bb.7616:                             ;   in Loop: Header=BB4_6675 Depth=2
	s_or_b32 exec_lo, exec_lo, s40
	v_add_nc_u32_e32 v3, 0xffffff81, v86
	v_lshrrev_b32_e32 v17, 23, v16
	s_mov_b32 s7, exec_lo
	s_delay_alu instid0(VALU_DEP_2) | instskip(NEXT) | instid1(VALU_DEP_1)
	v_cndmask_b32_e64 v3, v3, 0xffffff82, vcc_lo
	v_add3_u32 v69, v113, v3, v17
	v_and_b32_e32 v3, 0xfffff, v68
	s_delay_alu instid0(VALU_DEP_1) | instskip(NEXT) | instid1(VALU_DEP_1)
	v_dual_add_nc_u32 v68, 6, v69 :: v_dual_add_nc_u32 v36, v3, v16
                                        ; implicit-def: $vgpr16_vgpr17
                                        ; implicit-def: $vgpr3
	v_cmpx_ne_u32_e32 0, v68
	s_xor_b32 s7, exec_lo, s7
; %bb.7617:                             ;   in Loop: Header=BB4_6675 Depth=2
	s_delay_alu instid0(VALU_DEP_2) | instskip(SKIP_2) | instid1(VALU_DEP_2)
	v_cmp_lt_u64_e32 vcc_lo, 0xffffff, v[36:37]
	v_add_nc_u32_e32 v3, 7, v69
	v_cndmask_b32_e64 v16, 0, 1, vcc_lo
	v_cndmask_b32_e32 v3, v68, v3, vcc_lo
	s_delay_alu instid0(VALU_DEP_2)
	v_lshrrev_b64 v[16:17], v16, v[36:37]
; %bb.7618:                             ;   in Loop: Header=BB4_6675 Depth=2
	s_and_not1_saveexec_b32 s7, s7
; %bb.7619:                             ;   in Loop: Header=BB4_6675 Depth=2
	v_mov_b64_e32 v[16:17], v[36:37]
	v_bfe_u32 v3, v36, 23, 1
; %bb.7620:                             ;   in Loop: Header=BB4_6675 Depth=2
	s_or_b32 exec_lo, exec_lo, s7
	s_delay_alu instid0(VALU_DEP_2) | instskip(NEXT) | instid1(VALU_DEP_2)
	v_lshrrev_b64 v[16:17], 20, v[16:17]
	v_cmp_gt_i32_e32 vcc_lo, 16, v3
	v_cmp_ne_u32_e64 s7, 0, v3
                                        ; implicit-def: $vgpr86
	s_delay_alu instid0(VALU_DEP_3) | instskip(NEXT) | instid1(VALU_DEP_1)
	v_dual_cndmask_b32 v17, 0, v17 :: v_dual_cndmask_b32 v16, 7, v16
	v_cmp_ne_u64_e32 vcc_lo, 0, v[16:17]
	s_or_b32 s7, s7, vcc_lo
	s_delay_alu instid0(SALU_CYCLE_1) | instskip(NEXT) | instid1(SALU_CYCLE_1)
	s_and_saveexec_b32 s40, s7
	s_xor_b32 s7, exec_lo, s40
; %bb.7621:                             ;   in Loop: Header=BB4_6675 Depth=2
	v_min_i32_e32 v3, 15, v3
	s_delay_alu instid0(VALU_DEP_1) | instskip(NEXT) | instid1(VALU_DEP_1)
	v_lshl_or_b32 v2, v3, 3, v2
	v_and_or_b32 v86, v16, 7, v2
                                        ; implicit-def: $vgpr2
; %bb.7622:                             ;   in Loop: Header=BB4_6675 Depth=2
	s_and_not1_saveexec_b32 s7, s7
; %bb.7623:                             ;   in Loop: Header=BB4_6675 Depth=2
	v_mov_b32_e32 v86, v2
; %bb.7624:                             ;   in Loop: Header=BB4_6675 Depth=2
	s_or_b32 exec_lo, exec_lo, s7
.LBB4_7625:                             ;   in Loop: Header=BB4_6675 Depth=2
	s_delay_alu instid0(SALU_CYCLE_1)
	s_or_b32 exec_lo, exec_lo, s29
                                        ; implicit-def: $vgpr2
.LBB4_7626:                             ;   in Loop: Header=BB4_6675 Depth=2
	s_and_not1_saveexec_b32 s7, s11
; %bb.7627:                             ;   in Loop: Header=BB4_6675 Depth=2
	v_or_b32_e32 v86, 0x7e, v2
; %bb.7628:                             ;   in Loop: Header=BB4_6675 Depth=2
	s_or_b32 exec_lo, exec_lo, s7
                                        ; implicit-def: $vgpr2
.LBB4_7629:                             ;   in Loop: Header=BB4_6675 Depth=2
	s_and_not1_saveexec_b32 s7, s10
; %bb.7630:                             ;   in Loop: Header=BB4_6675 Depth=2
	v_or_b32_e32 v86, 0x7f, v2
; %bb.7631:                             ;   in Loop: Header=BB4_6675 Depth=2
	s_or_b32 exec_lo, exec_lo, s7
	v_and_b32_e32 v16, 0xff, v84
	v_dual_mov_b32 v2, 0 :: v_dual_mov_b32 v3, 0
	s_mov_b32 s7, exec_lo
	s_delay_alu instid0(VALU_DEP_2)
	v_cmpx_ne_u16_e32 0, v16
	s_cbranch_execz .LBB4_7639
; %bb.7632:                             ;   in Loop: Header=BB4_6675 Depth=2
	v_bfrev_b32_e32 v3, 1
	s_mov_b32 s10, exec_lo
	v_cmpx_ne_u16_e32 0x80, v16
	s_cbranch_execz .LBB4_7638
; %bb.7633:                             ;   in Loop: Header=BB4_6675 Depth=2
	v_and_b32_e32 v17, 0x7f, v84
	v_mov_b32_e32 v3, 0x7f800001
	s_mov_b32 s11, exec_lo
	s_delay_alu instid0(VALU_DEP_2)
	v_cmpx_ne_u32_e32 0x7f, v17
	s_cbranch_execz .LBB4_7637
; %bb.7634:                             ;   in Loop: Header=BB4_6675 Depth=2
	v_dual_lshrrev_b32 v3, 3, v17 :: v_dual_bitop2_b32 v36, 7, v16 bitop3:0x40
	v_cmp_gt_u32_e32 vcc_lo, 8, v17
	s_delay_alu instid0(VALU_DEP_2)
	v_mov_b64_e32 v[16:17], v[36:37]
	s_and_saveexec_b32 s29, vcc_lo
; %bb.7635:                             ;   in Loop: Header=BB4_6675 Depth=2
	v_clz_i32_u32_e32 v3, v36
	s_delay_alu instid0(VALU_DEP_1) | instskip(NEXT) | instid1(VALU_DEP_1)
	v_min_u32_e32 v3, 32, v3
	v_subrev_nc_u32_e32 v16, 28, v3
	s_delay_alu instid0(VALU_DEP_1) | instskip(NEXT) | instid1(VALU_DEP_1)
	v_lshlrev_b64_e32 v[16:17], v16, v[36:37]
	v_dual_sub_nc_u32 v3, 29, v3 :: v_dual_bitop2_b32 v16, 7, v16 bitop3:0x40
; %bb.7636:                             ;   in Loop: Header=BB4_6675 Depth=2
	s_or_b32 exec_lo, exec_lo, s29
	v_lshlrev_b32_e32 v17, 24, v84
	s_delay_alu instid0(VALU_DEP_2) | instskip(NEXT) | instid1(VALU_DEP_3)
	v_lshlrev_b32_e32 v16, 20, v16
	v_lshl_add_u32 v3, v3, 23, 0x3c000000
	s_delay_alu instid0(VALU_DEP_3) | instskip(NEXT) | instid1(VALU_DEP_1)
	v_and_b32_e32 v17, 0x80000000, v17
	v_or3_b32 v3, v16, v17, v3
.LBB4_7637:                             ;   in Loop: Header=BB4_6675 Depth=2
	s_or_b32 exec_lo, exec_lo, s11
.LBB4_7638:                             ;   in Loop: Header=BB4_6675 Depth=2
	s_delay_alu instid0(SALU_CYCLE_1)
	s_or_b32 exec_lo, exec_lo, s10
.LBB4_7639:                             ;   in Loop: Header=BB4_6675 Depth=2
	s_delay_alu instid0(SALU_CYCLE_1) | instskip(SKIP_3) | instid1(VALU_DEP_1)
	s_or_b32 exec_lo, exec_lo, s7
	s_wait_loadcnt_dscnt 0x101
	v_and_b32_e32 v16, 0xff, v103
	s_mov_b32 s7, exec_lo
	v_cmpx_ne_u16_e32 0, v16
	s_cbranch_execz .LBB4_7647
; %bb.7640:                             ;   in Loop: Header=BB4_6675 Depth=2
	v_bfrev_b32_e32 v2, 1
	s_mov_b32 s10, exec_lo
	v_cmpx_ne_u16_e32 0x80, v16
	s_cbranch_execz .LBB4_7646
; %bb.7641:                             ;   in Loop: Header=BB4_6675 Depth=2
	v_and_b32_e32 v17, 0x7f, v103
	v_mov_b32_e32 v2, 0x7f800001
	s_mov_b32 s11, exec_lo
	s_delay_alu instid0(VALU_DEP_2)
	v_cmpx_ne_u32_e32 0x7f, v17
	s_cbranch_execz .LBB4_7645
; %bb.7642:                             ;   in Loop: Header=BB4_6675 Depth=2
	v_dual_lshrrev_b32 v2, 3, v17 :: v_dual_bitop2_b32 v36, 7, v16 bitop3:0x40
	v_cmp_gt_u32_e32 vcc_lo, 8, v17
	s_delay_alu instid0(VALU_DEP_2)
	v_mov_b64_e32 v[16:17], v[36:37]
	s_and_saveexec_b32 s29, vcc_lo
; %bb.7643:                             ;   in Loop: Header=BB4_6675 Depth=2
	v_clz_i32_u32_e32 v2, v36
	s_delay_alu instid0(VALU_DEP_1) | instskip(NEXT) | instid1(VALU_DEP_1)
	v_min_u32_e32 v2, 32, v2
	v_subrev_nc_u32_e32 v16, 28, v2
	s_delay_alu instid0(VALU_DEP_1) | instskip(NEXT) | instid1(VALU_DEP_1)
	v_lshlrev_b64_e32 v[16:17], v16, v[36:37]
	v_dual_sub_nc_u32 v2, 29, v2 :: v_dual_bitop2_b32 v16, 7, v16 bitop3:0x40
; %bb.7644:                             ;   in Loop: Header=BB4_6675 Depth=2
	s_or_b32 exec_lo, exec_lo, s29
	s_delay_alu instid0(VALU_DEP_1) | instskip(NEXT) | instid1(VALU_DEP_2)
	v_dual_lshlrev_b32 v17, 24, v103 :: v_dual_lshlrev_b32 v16, 20, v16
	v_lshl_add_u32 v2, v2, 23, 0x3c000000
	s_delay_alu instid0(VALU_DEP_2) | instskip(NEXT) | instid1(VALU_DEP_1)
	v_and_b32_e32 v17, 0x80000000, v17
	v_or3_b32 v2, v16, v17, v2
.LBB4_7645:                             ;   in Loop: Header=BB4_6675 Depth=2
	s_or_b32 exec_lo, exec_lo, s11
.LBB4_7646:                             ;   in Loop: Header=BB4_6675 Depth=2
	s_delay_alu instid0(SALU_CYCLE_1)
	s_or_b32 exec_lo, exec_lo, s10
.LBB4_7647:                             ;   in Loop: Header=BB4_6675 Depth=2
	s_delay_alu instid0(SALU_CYCLE_1) | instskip(NEXT) | instid1(VALU_DEP_1)
	s_or_b32 exec_lo, exec_lo, s7
	v_add_f32_e32 v16, v3, v2
                                        ; implicit-def: $vgpr2
	s_mov_b32 s7, exec_lo
	s_delay_alu instid0(VALU_DEP_1) | instskip(SKIP_1) | instid1(VALU_DEP_2)
	v_and_b32_e32 v36, 0x7f800000, v16
	v_lshrrev_b32_e32 v3, 24, v16
	v_cmpx_ne_u64_e32 0x7f800000, v[36:37]
	s_xor_b32 s10, exec_lo, s7
	s_cbranch_execz .LBB4_7665
; %bb.7648:                             ;   in Loop: Header=BB4_6675 Depth=2
	v_and_b32_e32 v36, 0x7fffffff, v16
	v_and_b32_e32 v3, 0x80, v3
                                        ; implicit-def: $vgpr2
	s_mov_b32 s7, exec_lo
	s_delay_alu instid0(VALU_DEP_2)
	v_cmpx_gt_u64_e32 0x43e00001, v[36:37]
	s_xor_b32 s11, exec_lo, s7
	s_cbranch_execz .LBB4_7662
; %bb.7649:                             ;   in Loop: Header=BB4_6675 Depth=2
	v_mov_b32_e32 v2, 0
	s_mov_b32 s29, exec_lo
	v_cmpx_ne_u32_e32 0, v16
	s_cbranch_execz .LBB4_7661
; %bb.7650:                             ;   in Loop: Header=BB4_6675 Depth=2
	v_bfe_u32 v2, v16, 23, 8
	v_and_b32_e32 v20, 0x7fffff, v16
	s_delay_alu instid0(VALU_DEP_2) | instskip(NEXT) | instid1(VALU_DEP_2)
	v_cmp_gt_u32_e32 vcc_lo, 0x7a, v2
	v_or_b32_e32 v21, 0x800000, v20
	v_sub_nc_u32_e32 v17, 0x79, v2
	s_delay_alu instid0(VALU_DEP_1) | instskip(SKIP_1) | instid1(VALU_DEP_2)
	v_cndmask_b32_e32 v17, 0, v17, vcc_lo
	v_cmp_eq_u32_e32 vcc_lo, 0, v2
	v_cndmask_b32_e64 v84, v17, 0x78, vcc_lo
	v_cndmask_b32_e32 v36, v21, v20, vcc_lo
	s_delay_alu instid0(VALU_DEP_2) | instskip(NEXT) | instid1(VALU_DEP_1)
	v_dual_add_nc_u32 v16, 20, v84 :: v_dual_add_nc_u32 v68, 19, v84
	v_lshlrev_b64_e64 v[16:17], v16, -1
	s_delay_alu instid0(VALU_DEP_2) | instskip(NEXT) | instid1(VALU_DEP_2)
	v_lshlrev_b64_e64 v[20:21], v68, 1
	v_bfi_b32 v69, v17, 0, 0
	s_delay_alu instid0(VALU_DEP_3) | instskip(SKIP_1) | instid1(VALU_DEP_2)
	v_bfi_b32 v68, v16, 0, v36
	v_lshrrev_b64 v[16:17], v84, v[36:37]
	v_cmp_eq_u64_e64 s7, v[68:69], v[20:21]
	s_delay_alu instid0(VALU_DEP_2)
	v_mov_b64_e32 v[68:69], v[16:17]
	s_and_saveexec_b32 s40, s7
; %bb.7651:                             ;   in Loop: Header=BB4_6675 Depth=2
	v_bfe_u32 v36, v16, 20, 1
	s_delay_alu instid0(VALU_DEP_1) | instskip(NEXT) | instid1(VALU_DEP_1)
	v_add_nc_u64_e32 v[20:21], v[16:17], v[36:37]
	v_add_nc_u64_e32 v[68:69], -1, v[20:21]
; %bb.7652:                             ;   in Loop: Header=BB4_6675 Depth=2
	s_or_b32 exec_lo, exec_lo, s40
	v_add_nc_u32_e32 v2, 0xffffff81, v2
	v_lshrrev_b32_e32 v17, 23, v16
	s_mov_b32 s7, exec_lo
	s_delay_alu instid0(VALU_DEP_2) | instskip(NEXT) | instid1(VALU_DEP_1)
	v_cndmask_b32_e64 v2, v2, 0xffffff82, vcc_lo
	v_add3_u32 v2, v84, v2, v17
	v_and_b32_e32 v17, 0xfffff, v68
                                        ; implicit-def: $vgpr68
	s_delay_alu instid0(VALU_DEP_1) | instskip(NEXT) | instid1(VALU_DEP_1)
	v_dual_add_nc_u32 v69, 6, v2 :: v_dual_add_nc_u32 v36, v17, v16
                                        ; implicit-def: $vgpr16_vgpr17
	v_cmpx_ne_u32_e32 0, v69
	s_xor_b32 s7, exec_lo, s7
; %bb.7653:                             ;   in Loop: Header=BB4_6675 Depth=2
	s_delay_alu instid0(VALU_DEP_2) | instskip(SKIP_1) | instid1(VALU_DEP_1)
	v_cmp_lt_u64_e32 vcc_lo, 0xffffff, v[36:37]
	v_add_nc_u32_e32 v2, 7, v2
	v_cndmask_b32_e32 v68, v69, v2, vcc_lo
	v_cndmask_b32_e64 v2, 0, 1, vcc_lo
	s_delay_alu instid0(VALU_DEP_1)
	v_lshrrev_b64 v[16:17], v2, v[36:37]
; %bb.7654:                             ;   in Loop: Header=BB4_6675 Depth=2
	s_and_not1_saveexec_b32 s7, s7
; %bb.7655:                             ;   in Loop: Header=BB4_6675 Depth=2
	v_mov_b64_e32 v[16:17], v[36:37]
	v_bfe_u32 v68, v36, 23, 1
; %bb.7656:                             ;   in Loop: Header=BB4_6675 Depth=2
	s_or_b32 exec_lo, exec_lo, s7
	s_delay_alu instid0(VALU_DEP_2) | instskip(NEXT) | instid1(VALU_DEP_2)
	v_lshrrev_b64 v[16:17], 20, v[16:17]
	v_cmp_gt_i32_e32 vcc_lo, 16, v68
	v_cmp_ne_u32_e64 s7, 0, v68
                                        ; implicit-def: $vgpr2
	s_delay_alu instid0(VALU_DEP_3) | instskip(NEXT) | instid1(VALU_DEP_1)
	v_dual_cndmask_b32 v17, 0, v17 :: v_dual_cndmask_b32 v16, 7, v16
	v_cmp_ne_u64_e32 vcc_lo, 0, v[16:17]
	s_or_b32 s7, s7, vcc_lo
	s_delay_alu instid0(SALU_CYCLE_1) | instskip(NEXT) | instid1(SALU_CYCLE_1)
	s_and_saveexec_b32 s40, s7
	s_xor_b32 s7, exec_lo, s40
; %bb.7657:                             ;   in Loop: Header=BB4_6675 Depth=2
	v_min_i32_e32 v2, 15, v68
	s_delay_alu instid0(VALU_DEP_1) | instskip(NEXT) | instid1(VALU_DEP_1)
	v_lshl_or_b32 v2, v2, 3, v3
                                        ; implicit-def: $vgpr3
	v_and_or_b32 v2, v16, 7, v2
; %bb.7658:                             ;   in Loop: Header=BB4_6675 Depth=2
	s_and_not1_saveexec_b32 s7, s7
; %bb.7659:                             ;   in Loop: Header=BB4_6675 Depth=2
	v_mov_b32_e32 v2, v3
; %bb.7660:                             ;   in Loop: Header=BB4_6675 Depth=2
	s_or_b32 exec_lo, exec_lo, s7
.LBB4_7661:                             ;   in Loop: Header=BB4_6675 Depth=2
	s_delay_alu instid0(SALU_CYCLE_1)
	s_or_b32 exec_lo, exec_lo, s29
                                        ; implicit-def: $vgpr3
.LBB4_7662:                             ;   in Loop: Header=BB4_6675 Depth=2
	s_and_not1_saveexec_b32 s7, s11
; %bb.7663:                             ;   in Loop: Header=BB4_6675 Depth=2
	v_or_b32_e32 v2, 0x7e, v3
; %bb.7664:                             ;   in Loop: Header=BB4_6675 Depth=2
	s_or_b32 exec_lo, exec_lo, s7
                                        ; implicit-def: $vgpr3
.LBB4_7665:                             ;   in Loop: Header=BB4_6675 Depth=2
	s_and_not1_saveexec_b32 s7, s10
; %bb.7666:                             ;   in Loop: Header=BB4_6675 Depth=2
	v_or_b32_e32 v2, 0x7f, v3
; %bb.7667:                             ;   in Loop: Header=BB4_6675 Depth=2
	s_or_b32 exec_lo, exec_lo, s7
	v_and_b32_e32 v16, 0xff, v70
	v_dual_mov_b32 v3, 0 :: v_dual_mov_b32 v68, 0
	s_mov_b32 s7, exec_lo
	s_delay_alu instid0(VALU_DEP_2)
	v_cmpx_ne_u16_e32 0, v16
	s_cbranch_execz .LBB4_7675
; %bb.7668:                             ;   in Loop: Header=BB4_6675 Depth=2
	v_bfrev_b32_e32 v68, 1
	s_mov_b32 s10, exec_lo
	v_cmpx_ne_u16_e32 0x80, v16
	s_cbranch_execz .LBB4_7674
; %bb.7669:                             ;   in Loop: Header=BB4_6675 Depth=2
	v_and_b32_e32 v17, 0x7f, v70
	v_mov_b32_e32 v68, 0x7f800001
	s_mov_b32 s11, exec_lo
	s_delay_alu instid0(VALU_DEP_2)
	v_cmpx_ne_u32_e32 0x7f, v17
	s_cbranch_execz .LBB4_7673
; %bb.7670:                             ;   in Loop: Header=BB4_6675 Depth=2
	v_dual_lshrrev_b32 v68, 3, v17 :: v_dual_bitop2_b32 v36, 7, v16 bitop3:0x40
	v_cmp_gt_u32_e32 vcc_lo, 8, v17
	s_delay_alu instid0(VALU_DEP_2)
	v_mov_b64_e32 v[16:17], v[36:37]
	s_and_saveexec_b32 s29, vcc_lo
; %bb.7671:                             ;   in Loop: Header=BB4_6675 Depth=2
	v_clz_i32_u32_e32 v16, v36
	s_delay_alu instid0(VALU_DEP_1) | instskip(NEXT) | instid1(VALU_DEP_1)
	v_min_u32_e32 v20, 32, v16
	v_subrev_nc_u32_e32 v16, 28, v20
	v_sub_nc_u32_e32 v68, 29, v20
	s_delay_alu instid0(VALU_DEP_2) | instskip(NEXT) | instid1(VALU_DEP_1)
	v_lshlrev_b64_e32 v[16:17], v16, v[36:37]
	v_and_b32_e32 v16, 7, v16
; %bb.7672:                             ;   in Loop: Header=BB4_6675 Depth=2
	s_or_b32 exec_lo, exec_lo, s29
	s_delay_alu instid0(VALU_DEP_1) | instskip(SKIP_1) | instid1(VALU_DEP_2)
	v_dual_lshlrev_b32 v17, 24, v70 :: v_dual_lshlrev_b32 v16, 20, v16
	v_lshl_add_u32 v20, v68, 23, 0x3c000000
	v_and_b32_e32 v17, 0x80000000, v17
	s_delay_alu instid0(VALU_DEP_1)
	v_or3_b32 v68, v16, v17, v20
.LBB4_7673:                             ;   in Loop: Header=BB4_6675 Depth=2
	s_or_b32 exec_lo, exec_lo, s11
.LBB4_7674:                             ;   in Loop: Header=BB4_6675 Depth=2
	s_delay_alu instid0(SALU_CYCLE_1)
	s_or_b32 exec_lo, exec_lo, s10
.LBB4_7675:                             ;   in Loop: Header=BB4_6675 Depth=2
	s_delay_alu instid0(SALU_CYCLE_1) | instskip(SKIP_3) | instid1(VALU_DEP_1)
	s_or_b32 exec_lo, exec_lo, s7
	s_wait_loadcnt_dscnt 0x0
	v_and_b32_e32 v16, 0xff, v71
	s_mov_b32 s7, exec_lo
	v_cmpx_ne_u16_e32 0, v16
	s_cbranch_execz .LBB4_7683
; %bb.7676:                             ;   in Loop: Header=BB4_6675 Depth=2
	v_bfrev_b32_e32 v3, 1
	s_mov_b32 s10, exec_lo
	v_cmpx_ne_u16_e32 0x80, v16
	s_cbranch_execz .LBB4_7682
; %bb.7677:                             ;   in Loop: Header=BB4_6675 Depth=2
	v_and_b32_e32 v17, 0x7f, v71
	v_mov_b32_e32 v3, 0x7f800001
	s_mov_b32 s11, exec_lo
	s_delay_alu instid0(VALU_DEP_2)
	v_cmpx_ne_u32_e32 0x7f, v17
	s_cbranch_execz .LBB4_7681
; %bb.7678:                             ;   in Loop: Header=BB4_6675 Depth=2
	v_dual_lshrrev_b32 v3, 3, v17 :: v_dual_bitop2_b32 v36, 7, v16 bitop3:0x40
	v_cmp_gt_u32_e32 vcc_lo, 8, v17
	s_delay_alu instid0(VALU_DEP_2)
	v_mov_b64_e32 v[16:17], v[36:37]
	s_and_saveexec_b32 s29, vcc_lo
; %bb.7679:                             ;   in Loop: Header=BB4_6675 Depth=2
	v_clz_i32_u32_e32 v3, v36
	s_delay_alu instid0(VALU_DEP_1) | instskip(NEXT) | instid1(VALU_DEP_1)
	v_min_u32_e32 v3, 32, v3
	v_subrev_nc_u32_e32 v16, 28, v3
	s_delay_alu instid0(VALU_DEP_1) | instskip(NEXT) | instid1(VALU_DEP_1)
	v_lshlrev_b64_e32 v[16:17], v16, v[36:37]
	v_dual_sub_nc_u32 v3, 29, v3 :: v_dual_bitop2_b32 v16, 7, v16 bitop3:0x40
; %bb.7680:                             ;   in Loop: Header=BB4_6675 Depth=2
	s_or_b32 exec_lo, exec_lo, s29
	s_delay_alu instid0(VALU_DEP_1) | instskip(NEXT) | instid1(VALU_DEP_2)
	v_dual_lshlrev_b32 v17, 24, v71 :: v_dual_lshlrev_b32 v16, 20, v16
	v_lshl_add_u32 v3, v3, 23, 0x3c000000
	s_delay_alu instid0(VALU_DEP_2) | instskip(NEXT) | instid1(VALU_DEP_1)
	v_and_b32_e32 v17, 0x80000000, v17
	v_or3_b32 v3, v16, v17, v3
.LBB4_7681:                             ;   in Loop: Header=BB4_6675 Depth=2
	s_or_b32 exec_lo, exec_lo, s11
.LBB4_7682:                             ;   in Loop: Header=BB4_6675 Depth=2
	s_delay_alu instid0(SALU_CYCLE_1)
	s_or_b32 exec_lo, exec_lo, s10
.LBB4_7683:                             ;   in Loop: Header=BB4_6675 Depth=2
	s_delay_alu instid0(SALU_CYCLE_1) | instskip(NEXT) | instid1(VALU_DEP_1)
	s_or_b32 exec_lo, exec_lo, s7
	v_add_f32_e32 v16, v68, v3
                                        ; implicit-def: $vgpr17
	s_mov_b32 s7, exec_lo
	s_delay_alu instid0(VALU_DEP_1) | instskip(SKIP_1) | instid1(VALU_DEP_2)
	v_and_b32_e32 v36, 0x7f800000, v16
	v_lshrrev_b32_e32 v3, 24, v16
	v_cmpx_ne_u64_e32 0x7f800000, v[36:37]
	s_xor_b32 s10, exec_lo, s7
	s_cbranch_execz .LBB4_7701
; %bb.7684:                             ;   in Loop: Header=BB4_6675 Depth=2
	v_and_b32_e32 v36, 0x7fffffff, v16
	v_and_b32_e32 v3, 0x80, v3
                                        ; implicit-def: $vgpr17
	s_mov_b32 s7, exec_lo
	s_delay_alu instid0(VALU_DEP_2)
	v_cmpx_gt_u64_e32 0x43e00001, v[36:37]
	s_xor_b32 s11, exec_lo, s7
	s_cbranch_execz .LBB4_7698
; %bb.7685:                             ;   in Loop: Header=BB4_6675 Depth=2
	v_mov_b32_e32 v17, 0
	s_mov_b32 s29, exec_lo
	v_cmpx_ne_u32_e32 0, v16
	s_cbranch_execz .LBB4_7697
; %bb.7686:                             ;   in Loop: Header=BB4_6675 Depth=2
	v_bfe_u32 v70, v16, 23, 8
	v_and_b32_e32 v20, 0x7fffff, v16
	s_delay_alu instid0(VALU_DEP_2) | instskip(NEXT) | instid1(VALU_DEP_2)
	v_cmp_gt_u32_e32 vcc_lo, 0x7a, v70
	v_or_b32_e32 v21, 0x800000, v20
	v_sub_nc_u32_e32 v17, 0x79, v70
	s_delay_alu instid0(VALU_DEP_1) | instskip(SKIP_1) | instid1(VALU_DEP_2)
	v_cndmask_b32_e32 v17, 0, v17, vcc_lo
	v_cmp_eq_u32_e32 vcc_lo, 0, v70
	v_cndmask_b32_e64 v71, v17, 0x78, vcc_lo
	s_delay_alu instid0(VALU_DEP_1) | instskip(SKIP_1) | instid1(VALU_DEP_2)
	v_dual_cndmask_b32 v36, v21, v20, vcc_lo :: v_dual_add_nc_u32 v16, 20, v71
	v_add_nc_u32_e32 v68, 19, v71
	v_lshlrev_b64_e64 v[16:17], v16, -1
	s_delay_alu instid0(VALU_DEP_2) | instskip(NEXT) | instid1(VALU_DEP_2)
	v_lshlrev_b64_e64 v[20:21], v68, 1
	v_bfi_b32 v69, v17, 0, 0
	s_delay_alu instid0(VALU_DEP_3) | instskip(SKIP_1) | instid1(VALU_DEP_2)
	v_bfi_b32 v68, v16, 0, v36
	v_lshrrev_b64 v[16:17], v71, v[36:37]
	v_cmp_eq_u64_e64 s7, v[68:69], v[20:21]
	s_delay_alu instid0(VALU_DEP_2)
	v_mov_b64_e32 v[68:69], v[16:17]
	s_and_saveexec_b32 s40, s7
; %bb.7687:                             ;   in Loop: Header=BB4_6675 Depth=2
	v_bfe_u32 v36, v16, 20, 1
	s_delay_alu instid0(VALU_DEP_1) | instskip(NEXT) | instid1(VALU_DEP_1)
	v_add_nc_u64_e32 v[20:21], v[16:17], v[36:37]
	v_add_nc_u64_e32 v[68:69], -1, v[20:21]
; %bb.7688:                             ;   in Loop: Header=BB4_6675 Depth=2
	s_or_b32 exec_lo, exec_lo, s40
	v_add_nc_u32_e32 v17, 0xffffff81, v70
	v_lshrrev_b32_e32 v20, 23, v16
	s_mov_b32 s7, exec_lo
	s_delay_alu instid0(VALU_DEP_2) | instskip(NEXT) | instid1(VALU_DEP_1)
	v_cndmask_b32_e64 v17, v17, 0xffffff82, vcc_lo
	v_add3_u32 v69, v71, v17, v20
	v_and_b32_e32 v17, 0xfffff, v68
                                        ; implicit-def: $vgpr68
	s_delay_alu instid0(VALU_DEP_1) | instskip(NEXT) | instid1(VALU_DEP_1)
	v_dual_add_nc_u32 v70, 6, v69 :: v_dual_add_nc_u32 v36, v17, v16
                                        ; implicit-def: $vgpr16_vgpr17
	v_cmpx_ne_u32_e32 0, v70
	s_xor_b32 s7, exec_lo, s7
; %bb.7689:                             ;   in Loop: Header=BB4_6675 Depth=2
	s_delay_alu instid0(VALU_DEP_2) | instskip(SKIP_1) | instid1(VALU_DEP_1)
	v_cmp_lt_u64_e32 vcc_lo, 0xffffff, v[36:37]
	v_add_nc_u32_e32 v16, 7, v69
	v_cndmask_b32_e32 v68, v70, v16, vcc_lo
	v_cndmask_b32_e64 v16, 0, 1, vcc_lo
	s_delay_alu instid0(VALU_DEP_1)
	v_lshrrev_b64 v[16:17], v16, v[36:37]
; %bb.7690:                             ;   in Loop: Header=BB4_6675 Depth=2
	s_and_not1_saveexec_b32 s7, s7
; %bb.7691:                             ;   in Loop: Header=BB4_6675 Depth=2
	v_mov_b64_e32 v[16:17], v[36:37]
	v_bfe_u32 v68, v36, 23, 1
; %bb.7692:                             ;   in Loop: Header=BB4_6675 Depth=2
	s_or_b32 exec_lo, exec_lo, s7
	s_delay_alu instid0(VALU_DEP_2) | instskip(NEXT) | instid1(VALU_DEP_2)
	v_lshrrev_b64 v[16:17], 20, v[16:17]
	v_cmp_gt_i32_e32 vcc_lo, 16, v68
	v_cmp_ne_u32_e64 s7, 0, v68
	s_delay_alu instid0(VALU_DEP_3) | instskip(NEXT) | instid1(VALU_DEP_1)
	v_dual_cndmask_b32 v17, 0, v17 :: v_dual_cndmask_b32 v16, 7, v16
	v_cmp_ne_u64_e32 vcc_lo, 0, v[16:17]
                                        ; implicit-def: $vgpr17
	s_or_b32 s7, s7, vcc_lo
	s_delay_alu instid0(SALU_CYCLE_1) | instskip(NEXT) | instid1(SALU_CYCLE_1)
	s_and_saveexec_b32 s40, s7
	s_xor_b32 s7, exec_lo, s40
; %bb.7693:                             ;   in Loop: Header=BB4_6675 Depth=2
	v_min_i32_e32 v17, 15, v68
	s_delay_alu instid0(VALU_DEP_1) | instskip(NEXT) | instid1(VALU_DEP_1)
	v_lshl_or_b32 v3, v17, 3, v3
	v_and_or_b32 v17, v16, 7, v3
                                        ; implicit-def: $vgpr3
; %bb.7694:                             ;   in Loop: Header=BB4_6675 Depth=2
	s_and_not1_saveexec_b32 s7, s7
; %bb.7695:                             ;   in Loop: Header=BB4_6675 Depth=2
	v_mov_b32_e32 v17, v3
; %bb.7696:                             ;   in Loop: Header=BB4_6675 Depth=2
	s_or_b32 exec_lo, exec_lo, s7
.LBB4_7697:                             ;   in Loop: Header=BB4_6675 Depth=2
	s_delay_alu instid0(SALU_CYCLE_1)
	s_or_b32 exec_lo, exec_lo, s29
                                        ; implicit-def: $vgpr3
.LBB4_7698:                             ;   in Loop: Header=BB4_6675 Depth=2
	s_and_not1_saveexec_b32 s7, s11
; %bb.7699:                             ;   in Loop: Header=BB4_6675 Depth=2
	v_or_b32_e32 v17, 0x7e, v3
; %bb.7700:                             ;   in Loop: Header=BB4_6675 Depth=2
	s_or_b32 exec_lo, exec_lo, s7
                                        ; implicit-def: $vgpr3
.LBB4_7701:                             ;   in Loop: Header=BB4_6675 Depth=2
	s_and_not1_saveexec_b32 s7, s10
	s_cbranch_execz .LBB4_6674
; %bb.7702:                             ;   in Loop: Header=BB4_6675 Depth=2
	v_or_b32_e32 v17, 0x7f, v3
	s_branch .LBB4_6674
.LBB4_7703:                             ;   in Loop: Header=BB4_3957 Depth=1
	s_or_b32 exec_lo, exec_lo, s28
.LBB4_7704:                             ;   in Loop: Header=BB4_3957 Depth=1
	s_delay_alu instid0(SALU_CYCLE_1) | instskip(SKIP_1) | instid1(VALU_DEP_1)
	s_or_b32 exec_lo, exec_lo, s27
	v_and_b32_e32 v3, 0xfffffe00, v81
	v_cmp_ne_u32_e32 vcc_lo, v81, v3
	s_and_b32 exec_lo, exec_lo, vcc_lo
	s_cbranch_execz .LBB4_7776
; %bb.7705:                             ;   in Loop: Header=BB4_3957 Depth=1
	v_dual_lshlrev_b32 v2, 5, v30 :: v_dual_lshlrev_b32 v10, 5, v83
	s_delay_alu instid0(VALU_DEP_1) | instskip(NEXT) | instid1(VALU_DEP_1)
	v_sub_nc_u32_e32 v2, v82, v2
	v_sub_nc_u32_e32 v10, v2, v10
	v_and_b32_e32 v2, 0x1ff, v81
	s_delay_alu instid0(VALU_DEP_1) | instskip(NEXT) | instid1(VALU_DEP_1)
	v_sub_nc_u32_e32 v2, v2, v10
	v_cmp_lt_i32_e32 vcc_lo, 0, v2
	s_and_b32 exec_lo, exec_lo, vcc_lo
	s_cbranch_execz .LBB4_7776
; %bb.7706:                             ;   in Loop: Header=BB4_3957 Depth=1
	s_trap 2
	ds_load_b128 v[12:15], v0
	ds_load_b64 v[16:17], v0
	v_add3_u32 v20, v3, v80, v10
	s_mov_b32 s27, 0
	s_delay_alu instid0(VALU_DEP_1) | instskip(SKIP_1) | instid1(VALU_DEP_1)
	v_ashrrev_i32_e32 v21, 31, v20
	s_wait_dscnt 0x1
	v_add_nc_u64_e32 v[10:11], v[12:13], v[20:21]
	v_add_nc_u64_e32 v[12:13], v[14:15], v[20:21]
	s_wait_dscnt 0x0
	v_add_nc_u64_e32 v[14:15], v[16:17], v[20:21]
	s_branch .LBB4_7708
.LBB4_7707:                             ;   in Loop: Header=BB4_7708 Depth=2
	s_or_b32 exec_lo, exec_lo, s7
	v_sub_nc_u32_e32 v2, v2, v54
	flat_store_b8 v[14:15], v17 th:TH_STORE_NT
	v_add_nc_u64_e32 v[10:11], v[10:11], v[54:55]
	v_add_nc_u64_e32 v[12:13], v[12:13], v[54:55]
	s_wait_xcnt 0x0
	v_add_nc_u64_e32 v[14:15], v[14:15], v[54:55]
	v_cmp_gt_i32_e32 vcc_lo, 1, v2
	s_or_b32 s27, vcc_lo, s27
	s_delay_alu instid0(SALU_CYCLE_1)
	s_and_not1_b32 exec_lo, exec_lo, s27
	s_cbranch_execz .LBB4_7776
.LBB4_7708:                             ;   Parent Loop BB4_3957 Depth=1
                                        ; =>  This Inner Loop Header: Depth=2
	s_trap 2
	ds_load_b64 v[16:17], v0
	s_mov_b32 s7, 0
	s_wait_dscnt 0x0
	v_and_b32_e32 v3, 0xff, v16
	v_readfirstlane_b32 s10, v16
	v_readfirstlane_b32 s11, v17
	s_delay_alu instid0(VALU_DEP_3)
	v_cmp_eq_u32_e32 vcc_lo, 0, v3
	s_cbranch_vccnz .LBB4_7712
; %bb.7709:                             ;   in Loop: Header=BB4_7708 Depth=2
	v_cmp_eq_u32_e32 vcc_lo, 0x80, v3
	s_brev_b32 s7, 1
	s_cbranch_vccnz .LBB4_7712
; %bb.7710:                             ;   in Loop: Header=BB4_7708 Depth=2
	s_and_b32 s28, s10, 0x7f
	s_mov_b32 s7, 0x7f800001
	s_cmp_eq_u32 s28, 0x7f
	s_cbranch_scc1 .LBB4_7712
; %bb.7711:                             ;   in Loop: Header=BB4_7708 Depth=2
	s_and_b32 s7, s10, 7
	s_lshr_b32 s29, s28, 3
	s_clz_i32_u32 s7, s7
	s_delay_alu instid0(SALU_CYCLE_1) | instskip(NEXT) | instid1(SALU_CYCLE_1)
	s_min_u32 s7, s7, 32
	s_sub_co_i32 s40, s7, 28
	s_sub_co_i32 s7, 29, s7
	s_cmp_lt_u32 s28, 8
	s_cselect_b32 s28, s40, 0
	s_cselect_b32 s7, s7, s29
	s_lshl_b64 s[28:29], s[10:11], s28
	s_lshl_b32 s10, s10, 24
	s_lshl_b32 s11, s28, 20
	s_lshl_b32 s7, s7, 23
	s_and_b32 s11, s11, 0x700000
	s_and_b32 s10, s10, 0x80000000
	s_add_co_i32 s7, s7, 0x3c000000
	s_or_b32 s10, s11, s10
	s_delay_alu instid0(SALU_CYCLE_1)
	s_or_b32 s7, s7, s10
.LBB4_7712:                             ;   in Loop: Header=BB4_7708 Depth=2
	flat_load_u8 v3, v[10:11] th:TH_LOAD_NT
	v_mov_b32_e32 v16, 0
	s_mov_b32 s10, exec_lo
	s_wait_loadcnt_dscnt 0x0
	v_cmpx_ne_u16_e32 0, v3
	s_cbranch_execz .LBB4_7720
; %bb.7713:                             ;   in Loop: Header=BB4_7708 Depth=2
	v_bfrev_b32_e32 v16, 1
	s_mov_b32 s11, exec_lo
	v_cmpx_ne_u16_e32 0x80, v3
	s_cbranch_execz .LBB4_7719
; %bb.7714:                             ;   in Loop: Header=BB4_7708 Depth=2
	v_and_b32_e32 v30, 0xffff, v3
	v_mov_b32_e32 v16, 0x7f800001
	s_mov_b32 s28, exec_lo
	s_delay_alu instid0(VALU_DEP_2) | instskip(NEXT) | instid1(VALU_DEP_1)
	v_and_b32_e32 v17, 0x7f, v30
	v_cmpx_ne_u32_e32 0x7f, v17
	s_cbranch_execz .LBB4_7718
; %bb.7715:                             ;   in Loop: Header=BB4_7708 Depth=2
	v_dual_lshrrev_b32 v30, 3, v17 :: v_dual_bitop2_b32 v36, 7, v30 bitop3:0x40
	v_cmp_gt_u32_e32 vcc_lo, 8, v17
	s_delay_alu instid0(VALU_DEP_2)
	v_mov_b64_e32 v[16:17], v[36:37]
	s_and_saveexec_b32 s29, vcc_lo
; %bb.7716:                             ;   in Loop: Header=BB4_7708 Depth=2
	v_clz_i32_u32_e32 v16, v36
	s_delay_alu instid0(VALU_DEP_1) | instskip(NEXT) | instid1(VALU_DEP_1)
	v_min_u32_e32 v20, 32, v16
	v_subrev_nc_u32_e32 v16, 28, v20
	v_sub_nc_u32_e32 v30, 29, v20
	s_delay_alu instid0(VALU_DEP_2) | instskip(NEXT) | instid1(VALU_DEP_1)
	v_lshlrev_b64_e32 v[16:17], v16, v[36:37]
	v_and_b32_e32 v16, 7, v16
; %bb.7717:                             ;   in Loop: Header=BB4_7708 Depth=2
	s_or_b32 exec_lo, exec_lo, s29
	s_delay_alu instid0(VALU_DEP_1) | instskip(SKIP_1) | instid1(VALU_DEP_2)
	v_dual_lshlrev_b32 v3, 24, v3 :: v_dual_lshlrev_b32 v16, 20, v16
	v_lshl_add_u32 v17, v30, 23, 0x3c000000
	v_and_b32_e32 v3, 0x80000000, v3
	s_delay_alu instid0(VALU_DEP_1)
	v_or3_b32 v16, v16, v3, v17
.LBB4_7718:                             ;   in Loop: Header=BB4_7708 Depth=2
	s_or_b32 exec_lo, exec_lo, s28
.LBB4_7719:                             ;   in Loop: Header=BB4_7708 Depth=2
	s_delay_alu instid0(SALU_CYCLE_1)
	s_or_b32 exec_lo, exec_lo, s11
.LBB4_7720:                             ;   in Loop: Header=BB4_7708 Depth=2
	s_delay_alu instid0(SALU_CYCLE_1) | instskip(NEXT) | instid1(VALU_DEP_1)
	s_or_b32 exec_lo, exec_lo, s10
	v_mul_f32_e32 v16, s7, v16
                                        ; implicit-def: $vgpr30
	s_mov_b32 s7, exec_lo
	s_delay_alu instid0(VALU_DEP_1) | instskip(SKIP_1) | instid1(VALU_DEP_2)
	v_and_b32_e32 v36, 0x7f800000, v16
	v_lshrrev_b32_e32 v3, 24, v16
	v_cmpx_ne_u64_e32 0x7f800000, v[36:37]
	s_xor_b32 s10, exec_lo, s7
	s_cbranch_execz .LBB4_7738
; %bb.7721:                             ;   in Loop: Header=BB4_7708 Depth=2
	v_and_b32_e32 v36, 0x7fffffff, v16
	v_and_b32_e32 v3, 0x80, v3
                                        ; implicit-def: $vgpr30
	s_mov_b32 s7, exec_lo
	s_delay_alu instid0(VALU_DEP_2)
	v_cmpx_gt_u64_e32 0x43e00001, v[36:37]
	s_xor_b32 s11, exec_lo, s7
	s_cbranch_execz .LBB4_7735
; %bb.7722:                             ;   in Loop: Header=BB4_7708 Depth=2
	v_mov_b32_e32 v30, 0
	s_mov_b32 s28, exec_lo
	v_cmpx_ne_u32_e32 0, v16
	s_cbranch_execz .LBB4_7734
; %bb.7723:                             ;   in Loop: Header=BB4_7708 Depth=2
	v_bfe_u32 v30, v16, 23, 8
	v_and_b32_e32 v20, 0x7fffff, v16
	s_delay_alu instid0(VALU_DEP_2) | instskip(NEXT) | instid1(VALU_DEP_2)
	v_cmp_gt_u32_e32 vcc_lo, 0x7a, v30
	v_or_b32_e32 v21, 0x800000, v20
	v_sub_nc_u32_e32 v17, 0x79, v30
	s_delay_alu instid0(VALU_DEP_1) | instskip(SKIP_1) | instid1(VALU_DEP_2)
	v_cndmask_b32_e32 v17, 0, v17, vcc_lo
	v_cmp_eq_u32_e32 vcc_lo, 0, v30
	v_cndmask_b32_e64 v70, v17, 0x78, vcc_lo
	s_delay_alu instid0(VALU_DEP_1) | instskip(SKIP_1) | instid1(VALU_DEP_2)
	v_dual_cndmask_b32 v36, v21, v20, vcc_lo :: v_dual_add_nc_u32 v16, 20, v70
	v_add_nc_u32_e32 v68, 19, v70
	v_lshlrev_b64_e64 v[16:17], v16, -1
	s_delay_alu instid0(VALU_DEP_2) | instskip(NEXT) | instid1(VALU_DEP_2)
	v_lshlrev_b64_e64 v[20:21], v68, 1
	v_bfi_b32 v69, v17, 0, 0
	s_delay_alu instid0(VALU_DEP_3) | instskip(SKIP_1) | instid1(VALU_DEP_2)
	v_bfi_b32 v68, v16, 0, v36
	v_lshrrev_b64 v[16:17], v70, v[36:37]
	v_cmp_eq_u64_e64 s7, v[68:69], v[20:21]
	s_delay_alu instid0(VALU_DEP_2)
	v_mov_b64_e32 v[68:69], v[16:17]
	s_and_saveexec_b32 s29, s7
; %bb.7724:                             ;   in Loop: Header=BB4_7708 Depth=2
	v_bfe_u32 v36, v16, 20, 1
	s_delay_alu instid0(VALU_DEP_1) | instskip(NEXT) | instid1(VALU_DEP_1)
	v_add_nc_u64_e32 v[20:21], v[16:17], v[36:37]
	v_add_nc_u64_e32 v[68:69], -1, v[20:21]
; %bb.7725:                             ;   in Loop: Header=BB4_7708 Depth=2
	s_or_b32 exec_lo, exec_lo, s29
	v_add_nc_u32_e32 v17, 0xffffff81, v30
	v_lshrrev_b32_e32 v20, 23, v16
	s_mov_b32 s7, exec_lo
	s_delay_alu instid0(VALU_DEP_2) | instskip(NEXT) | instid1(VALU_DEP_1)
	v_cndmask_b32_e64 v17, v17, 0xffffff82, vcc_lo
	v_add3_u32 v30, v70, v17, v20
	v_and_b32_e32 v17, 0xfffff, v68
                                        ; implicit-def: $vgpr68
	s_delay_alu instid0(VALU_DEP_1) | instskip(NEXT) | instid1(VALU_DEP_1)
	v_dual_add_nc_u32 v69, 6, v30 :: v_dual_add_nc_u32 v36, v17, v16
                                        ; implicit-def: $vgpr16_vgpr17
	v_cmpx_ne_u32_e32 0, v69
	s_xor_b32 s7, exec_lo, s7
; %bb.7726:                             ;   in Loop: Header=BB4_7708 Depth=2
	s_delay_alu instid0(VALU_DEP_2) | instskip(SKIP_1) | instid1(VALU_DEP_1)
	v_cmp_lt_u64_e32 vcc_lo, 0xffffff, v[36:37]
	v_add_nc_u32_e32 v16, 7, v30
	v_cndmask_b32_e32 v68, v69, v16, vcc_lo
	v_cndmask_b32_e64 v16, 0, 1, vcc_lo
	s_delay_alu instid0(VALU_DEP_1)
	v_lshrrev_b64 v[16:17], v16, v[36:37]
; %bb.7727:                             ;   in Loop: Header=BB4_7708 Depth=2
	s_and_not1_saveexec_b32 s7, s7
; %bb.7728:                             ;   in Loop: Header=BB4_7708 Depth=2
	v_mov_b64_e32 v[16:17], v[36:37]
	v_bfe_u32 v68, v36, 23, 1
; %bb.7729:                             ;   in Loop: Header=BB4_7708 Depth=2
	s_or_b32 exec_lo, exec_lo, s7
	s_delay_alu instid0(VALU_DEP_2) | instskip(NEXT) | instid1(VALU_DEP_2)
	v_lshrrev_b64 v[16:17], 20, v[16:17]
	v_cmp_gt_i32_e32 vcc_lo, 16, v68
	v_cmp_ne_u32_e64 s7, 0, v68
                                        ; implicit-def: $vgpr30
	s_delay_alu instid0(VALU_DEP_3) | instskip(NEXT) | instid1(VALU_DEP_1)
	v_dual_cndmask_b32 v17, 0, v17 :: v_dual_cndmask_b32 v16, 7, v16
	v_cmp_ne_u64_e32 vcc_lo, 0, v[16:17]
	s_or_b32 s7, s7, vcc_lo
	s_delay_alu instid0(SALU_CYCLE_1) | instskip(NEXT) | instid1(SALU_CYCLE_1)
	s_and_saveexec_b32 s29, s7
	s_xor_b32 s7, exec_lo, s29
; %bb.7730:                             ;   in Loop: Header=BB4_7708 Depth=2
	v_min_i32_e32 v17, 15, v68
	s_delay_alu instid0(VALU_DEP_1) | instskip(NEXT) | instid1(VALU_DEP_1)
	v_lshl_or_b32 v3, v17, 3, v3
	v_and_or_b32 v30, v16, 7, v3
                                        ; implicit-def: $vgpr3
; %bb.7731:                             ;   in Loop: Header=BB4_7708 Depth=2
	s_and_not1_saveexec_b32 s7, s7
; %bb.7732:                             ;   in Loop: Header=BB4_7708 Depth=2
	v_mov_b32_e32 v30, v3
; %bb.7733:                             ;   in Loop: Header=BB4_7708 Depth=2
	s_or_b32 exec_lo, exec_lo, s7
.LBB4_7734:                             ;   in Loop: Header=BB4_7708 Depth=2
	s_delay_alu instid0(SALU_CYCLE_1)
	s_or_b32 exec_lo, exec_lo, s28
                                        ; implicit-def: $vgpr3
.LBB4_7735:                             ;   in Loop: Header=BB4_7708 Depth=2
	s_and_not1_saveexec_b32 s7, s11
; %bb.7736:                             ;   in Loop: Header=BB4_7708 Depth=2
	v_or_b32_e32 v30, 0x7e, v3
; %bb.7737:                             ;   in Loop: Header=BB4_7708 Depth=2
	s_or_b32 exec_lo, exec_lo, s7
                                        ; implicit-def: $vgpr3
.LBB4_7738:                             ;   in Loop: Header=BB4_7708 Depth=2
	s_and_not1_saveexec_b32 s7, s10
; %bb.7739:                             ;   in Loop: Header=BB4_7708 Depth=2
	v_or_b32_e32 v30, 0x7f, v3
; %bb.7740:                             ;   in Loop: Header=BB4_7708 Depth=2
	s_or_b32 exec_lo, exec_lo, s7
	flat_load_u8 v3, v[12:13] th:TH_LOAD_NT
	v_and_b32_e32 v16, 0xff, v30
	v_dual_mov_b32 v68, 0 :: v_dual_mov_b32 v69, 0
	s_mov_b32 s7, exec_lo
	s_wait_xcnt 0x0
	s_delay_alu instid0(VALU_DEP_2)
	v_cmpx_ne_u16_e32 0, v16
	s_cbranch_execz .LBB4_7748
; %bb.7741:                             ;   in Loop: Header=BB4_7708 Depth=2
	v_bfrev_b32_e32 v69, 1
	s_mov_b32 s10, exec_lo
	v_cmpx_ne_u16_e32 0x80, v16
	s_cbranch_execz .LBB4_7747
; %bb.7742:                             ;   in Loop: Header=BB4_7708 Depth=2
	v_and_b32_e32 v17, 0x7f, v30
	v_mov_b32_e32 v69, 0x7f800001
	s_mov_b32 s11, exec_lo
	s_delay_alu instid0(VALU_DEP_2)
	v_cmpx_ne_u32_e32 0x7f, v17
	s_cbranch_execz .LBB4_7746
; %bb.7743:                             ;   in Loop: Header=BB4_7708 Depth=2
	v_dual_lshrrev_b32 v69, 3, v17 :: v_dual_bitop2_b32 v36, 7, v16 bitop3:0x40
	v_cmp_gt_u32_e32 vcc_lo, 8, v17
	s_delay_alu instid0(VALU_DEP_2)
	v_mov_b64_e32 v[16:17], v[36:37]
	s_and_saveexec_b32 s28, vcc_lo
; %bb.7744:                             ;   in Loop: Header=BB4_7708 Depth=2
	v_clz_i32_u32_e32 v16, v36
	s_delay_alu instid0(VALU_DEP_1) | instskip(NEXT) | instid1(VALU_DEP_1)
	v_min_u32_e32 v20, 32, v16
	v_subrev_nc_u32_e32 v16, 28, v20
	v_sub_nc_u32_e32 v69, 29, v20
	s_delay_alu instid0(VALU_DEP_2) | instskip(NEXT) | instid1(VALU_DEP_1)
	v_lshlrev_b64_e32 v[16:17], v16, v[36:37]
	v_and_b32_e32 v16, 7, v16
; %bb.7745:                             ;   in Loop: Header=BB4_7708 Depth=2
	s_or_b32 exec_lo, exec_lo, s28
	s_delay_alu instid0(VALU_DEP_1) | instskip(SKIP_1) | instid1(VALU_DEP_2)
	v_dual_lshlrev_b32 v17, 24, v30 :: v_dual_lshlrev_b32 v16, 20, v16
	v_lshl_add_u32 v20, v69, 23, 0x3c000000
	v_and_b32_e32 v17, 0x80000000, v17
	s_delay_alu instid0(VALU_DEP_1)
	v_or3_b32 v69, v16, v17, v20
.LBB4_7746:                             ;   in Loop: Header=BB4_7708 Depth=2
	s_or_b32 exec_lo, exec_lo, s11
.LBB4_7747:                             ;   in Loop: Header=BB4_7708 Depth=2
	s_delay_alu instid0(SALU_CYCLE_1)
	s_or_b32 exec_lo, exec_lo, s10
.LBB4_7748:                             ;   in Loop: Header=BB4_7708 Depth=2
	s_delay_alu instid0(SALU_CYCLE_1) | instskip(SKIP_3) | instid1(VALU_DEP_1)
	s_or_b32 exec_lo, exec_lo, s7
	s_wait_loadcnt_dscnt 0x0
	v_and_b32_e32 v16, 0xff, v3
	s_mov_b32 s7, exec_lo
	v_cmpx_ne_u16_e32 0, v16
	s_cbranch_execz .LBB4_7756
; %bb.7749:                             ;   in Loop: Header=BB4_7708 Depth=2
	v_bfrev_b32_e32 v68, 1
	s_mov_b32 s10, exec_lo
	v_cmpx_ne_u16_e32 0x80, v16
	s_cbranch_execz .LBB4_7755
; %bb.7750:                             ;   in Loop: Header=BB4_7708 Depth=2
	v_and_b32_e32 v17, 0x7f, v3
	v_mov_b32_e32 v68, 0x7f800001
	s_mov_b32 s11, exec_lo
	s_delay_alu instid0(VALU_DEP_2)
	v_cmpx_ne_u32_e32 0x7f, v17
	s_cbranch_execz .LBB4_7754
; %bb.7751:                             ;   in Loop: Header=BB4_7708 Depth=2
	v_dual_lshrrev_b32 v30, 3, v17 :: v_dual_bitop2_b32 v36, 7, v16 bitop3:0x40
	v_cmp_gt_u32_e32 vcc_lo, 8, v17
	s_delay_alu instid0(VALU_DEP_2)
	v_mov_b64_e32 v[16:17], v[36:37]
	s_and_saveexec_b32 s28, vcc_lo
; %bb.7752:                             ;   in Loop: Header=BB4_7708 Depth=2
	v_clz_i32_u32_e32 v16, v36
	s_delay_alu instid0(VALU_DEP_1) | instskip(NEXT) | instid1(VALU_DEP_1)
	v_min_u32_e32 v20, 32, v16
	v_subrev_nc_u32_e32 v16, 28, v20
	v_sub_nc_u32_e32 v30, 29, v20
	s_delay_alu instid0(VALU_DEP_2) | instskip(NEXT) | instid1(VALU_DEP_1)
	v_lshlrev_b64_e32 v[16:17], v16, v[36:37]
	v_and_b32_e32 v16, 7, v16
; %bb.7753:                             ;   in Loop: Header=BB4_7708 Depth=2
	s_or_b32 exec_lo, exec_lo, s28
	s_delay_alu instid0(VALU_DEP_1) | instskip(SKIP_1) | instid1(VALU_DEP_2)
	v_dual_lshlrev_b32 v3, 24, v3 :: v_dual_lshlrev_b32 v16, 20, v16
	v_lshl_add_u32 v17, v30, 23, 0x3c000000
	v_and_b32_e32 v3, 0x80000000, v3
	s_delay_alu instid0(VALU_DEP_1)
	v_or3_b32 v68, v16, v3, v17
.LBB4_7754:                             ;   in Loop: Header=BB4_7708 Depth=2
	s_or_b32 exec_lo, exec_lo, s11
.LBB4_7755:                             ;   in Loop: Header=BB4_7708 Depth=2
	s_delay_alu instid0(SALU_CYCLE_1)
	s_or_b32 exec_lo, exec_lo, s10
.LBB4_7756:                             ;   in Loop: Header=BB4_7708 Depth=2
	s_delay_alu instid0(SALU_CYCLE_1) | instskip(NEXT) | instid1(VALU_DEP_1)
	s_or_b32 exec_lo, exec_lo, s7
	v_add_f32_e32 v16, v69, v68
                                        ; implicit-def: $vgpr17
	s_mov_b32 s7, exec_lo
	s_delay_alu instid0(VALU_DEP_1) | instskip(SKIP_1) | instid1(VALU_DEP_2)
	v_and_b32_e32 v36, 0x7f800000, v16
	v_lshrrev_b32_e32 v3, 24, v16
	v_cmpx_ne_u64_e32 0x7f800000, v[36:37]
	s_xor_b32 s10, exec_lo, s7
	s_cbranch_execz .LBB4_7774
; %bb.7757:                             ;   in Loop: Header=BB4_7708 Depth=2
	v_and_b32_e32 v36, 0x7fffffff, v16
	v_and_b32_e32 v3, 0x80, v3
                                        ; implicit-def: $vgpr17
	s_mov_b32 s7, exec_lo
	s_delay_alu instid0(VALU_DEP_2)
	v_cmpx_gt_u64_e32 0x43e00001, v[36:37]
	s_xor_b32 s11, exec_lo, s7
	s_cbranch_execz .LBB4_7771
; %bb.7758:                             ;   in Loop: Header=BB4_7708 Depth=2
	v_mov_b32_e32 v17, 0
	s_mov_b32 s28, exec_lo
	v_cmpx_ne_u32_e32 0, v16
	s_cbranch_execz .LBB4_7770
; %bb.7759:                             ;   in Loop: Header=BB4_7708 Depth=2
	v_bfe_u32 v30, v16, 23, 8
	v_and_b32_e32 v20, 0x7fffff, v16
	s_delay_alu instid0(VALU_DEP_2) | instskip(NEXT) | instid1(VALU_DEP_2)
	v_cmp_gt_u32_e32 vcc_lo, 0x7a, v30
	v_or_b32_e32 v21, 0x800000, v20
	v_sub_nc_u32_e32 v17, 0x79, v30
	s_delay_alu instid0(VALU_DEP_1) | instskip(SKIP_1) | instid1(VALU_DEP_2)
	v_cndmask_b32_e32 v17, 0, v17, vcc_lo
	v_cmp_eq_u32_e32 vcc_lo, 0, v30
	v_cndmask_b32_e64 v70, v17, 0x78, vcc_lo
	s_delay_alu instid0(VALU_DEP_1) | instskip(SKIP_1) | instid1(VALU_DEP_2)
	v_dual_cndmask_b32 v36, v21, v20, vcc_lo :: v_dual_add_nc_u32 v16, 20, v70
	v_add_nc_u32_e32 v68, 19, v70
	v_lshlrev_b64_e64 v[16:17], v16, -1
	s_delay_alu instid0(VALU_DEP_2) | instskip(NEXT) | instid1(VALU_DEP_2)
	v_lshlrev_b64_e64 v[20:21], v68, 1
	v_bfi_b32 v69, v17, 0, 0
	s_delay_alu instid0(VALU_DEP_3) | instskip(SKIP_1) | instid1(VALU_DEP_2)
	v_bfi_b32 v68, v16, 0, v36
	v_lshrrev_b64 v[16:17], v70, v[36:37]
	v_cmp_eq_u64_e64 s7, v[68:69], v[20:21]
	s_delay_alu instid0(VALU_DEP_2)
	v_mov_b64_e32 v[68:69], v[16:17]
	s_and_saveexec_b32 s29, s7
; %bb.7760:                             ;   in Loop: Header=BB4_7708 Depth=2
	v_bfe_u32 v36, v16, 20, 1
	s_delay_alu instid0(VALU_DEP_1) | instskip(NEXT) | instid1(VALU_DEP_1)
	v_add_nc_u64_e32 v[20:21], v[16:17], v[36:37]
	v_add_nc_u64_e32 v[68:69], -1, v[20:21]
; %bb.7761:                             ;   in Loop: Header=BB4_7708 Depth=2
	s_or_b32 exec_lo, exec_lo, s29
	v_add_nc_u32_e32 v17, 0xffffff81, v30
	v_lshrrev_b32_e32 v20, 23, v16
	s_mov_b32 s7, exec_lo
                                        ; implicit-def: $vgpr30
	s_delay_alu instid0(VALU_DEP_2) | instskip(NEXT) | instid1(VALU_DEP_1)
	v_cndmask_b32_e64 v17, v17, 0xffffff82, vcc_lo
	v_add3_u32 v69, v70, v17, v20
	v_and_b32_e32 v17, 0xfffff, v68
	s_delay_alu instid0(VALU_DEP_1) | instskip(NEXT) | instid1(VALU_DEP_1)
	v_dual_add_nc_u32 v68, 6, v69 :: v_dual_add_nc_u32 v36, v17, v16
                                        ; implicit-def: $vgpr16_vgpr17
	v_cmpx_ne_u32_e32 0, v68
	s_xor_b32 s7, exec_lo, s7
; %bb.7762:                             ;   in Loop: Header=BB4_7708 Depth=2
	s_delay_alu instid0(VALU_DEP_2) | instskip(SKIP_1) | instid1(VALU_DEP_1)
	v_cmp_lt_u64_e32 vcc_lo, 0xffffff, v[36:37]
	v_add_nc_u32_e32 v16, 7, v69
	v_cndmask_b32_e32 v30, v68, v16, vcc_lo
	v_cndmask_b32_e64 v16, 0, 1, vcc_lo
	s_delay_alu instid0(VALU_DEP_1)
	v_lshrrev_b64 v[16:17], v16, v[36:37]
; %bb.7763:                             ;   in Loop: Header=BB4_7708 Depth=2
	s_and_not1_saveexec_b32 s7, s7
; %bb.7764:                             ;   in Loop: Header=BB4_7708 Depth=2
	v_mov_b64_e32 v[16:17], v[36:37]
	v_bfe_u32 v30, v36, 23, 1
; %bb.7765:                             ;   in Loop: Header=BB4_7708 Depth=2
	s_or_b32 exec_lo, exec_lo, s7
	s_delay_alu instid0(VALU_DEP_2) | instskip(NEXT) | instid1(VALU_DEP_2)
	v_lshrrev_b64 v[16:17], 20, v[16:17]
	v_cmp_gt_i32_e32 vcc_lo, 16, v30
	v_cmp_ne_u32_e64 s7, 0, v30
	s_delay_alu instid0(VALU_DEP_3) | instskip(NEXT) | instid1(VALU_DEP_1)
	v_dual_cndmask_b32 v17, 0, v17 :: v_dual_cndmask_b32 v16, 7, v16
	v_cmp_ne_u64_e32 vcc_lo, 0, v[16:17]
                                        ; implicit-def: $vgpr17
	s_or_b32 s7, s7, vcc_lo
	s_delay_alu instid0(SALU_CYCLE_1) | instskip(NEXT) | instid1(SALU_CYCLE_1)
	s_and_saveexec_b32 s29, s7
	s_xor_b32 s7, exec_lo, s29
; %bb.7766:                             ;   in Loop: Header=BB4_7708 Depth=2
	v_min_i32_e32 v17, 15, v30
	s_delay_alu instid0(VALU_DEP_1) | instskip(NEXT) | instid1(VALU_DEP_1)
	v_lshl_or_b32 v3, v17, 3, v3
	v_and_or_b32 v17, v16, 7, v3
                                        ; implicit-def: $vgpr3
; %bb.7767:                             ;   in Loop: Header=BB4_7708 Depth=2
	s_and_not1_saveexec_b32 s7, s7
; %bb.7768:                             ;   in Loop: Header=BB4_7708 Depth=2
	v_mov_b32_e32 v17, v3
; %bb.7769:                             ;   in Loop: Header=BB4_7708 Depth=2
	s_or_b32 exec_lo, exec_lo, s7
.LBB4_7770:                             ;   in Loop: Header=BB4_7708 Depth=2
	s_delay_alu instid0(SALU_CYCLE_1)
	s_or_b32 exec_lo, exec_lo, s28
                                        ; implicit-def: $vgpr3
.LBB4_7771:                             ;   in Loop: Header=BB4_7708 Depth=2
	s_and_not1_saveexec_b32 s7, s11
; %bb.7772:                             ;   in Loop: Header=BB4_7708 Depth=2
	v_or_b32_e32 v17, 0x7e, v3
; %bb.7773:                             ;   in Loop: Header=BB4_7708 Depth=2
	s_or_b32 exec_lo, exec_lo, s7
                                        ; implicit-def: $vgpr3
.LBB4_7774:                             ;   in Loop: Header=BB4_7708 Depth=2
	s_and_not1_saveexec_b32 s7, s10
	s_cbranch_execz .LBB4_7707
; %bb.7775:                             ;   in Loop: Header=BB4_7708 Depth=2
	v_or_b32_e32 v17, 0x7f, v3
	s_branch .LBB4_7707
.LBB4_7776:                             ;   in Loop: Header=BB4_3957 Depth=1
	s_or_b32 exec_lo, exec_lo, s26
	v_cmp_ne_u32_e64 s7, 0, v102
	s_and_saveexec_b32 s10, s2
	s_cbranch_execz .LBB4_7795
.LBB4_7777:                             ;   in Loop: Header=BB4_3957 Depth=1
	s_and_saveexec_b32 s11, s3
	s_delay_alu instid0(SALU_CYCLE_1)
	s_xor_b32 s11, exec_lo, s11
	s_cbranch_execz .LBB4_7792
; %bb.7778:                             ;   in Loop: Header=BB4_3957 Depth=1
	s_and_saveexec_b32 s26, s4
	s_cbranch_execz .LBB4_7791
; %bb.7779:                             ;   in Loop: Header=BB4_3957 Depth=1
	s_mov_b32 s28, exec_lo
	s_mov_b32 s27, exec_lo
	v_mbcnt_lo_u32_b32 v2, s28, 0
	global_wb scope:SCOPE_DEV
	s_wait_storecnt 0x0
	s_wait_loadcnt_dscnt 0x0
	global_inv scope:SCOPE_DEV
	v_cmpx_eq_u32_e32 0, v2
	s_cbranch_execz .LBB4_7781
; %bb.7780:                             ;   in Loop: Header=BB4_3957 Depth=1
	s_bcnt1_i32_b32 s28, s28
	s_delay_alu instid0(SALU_CYCLE_1)
	v_mov_b32_e32 v36, s28
	s_wait_loadcnt 0x0
	ds_add_u64 v0, v[36:37]
	s_trap 2
.LBB4_7781:                             ;   in Loop: Header=BB4_3957 Depth=1
	s_or_b32 exec_lo, exec_lo, s27
	s_trap 2
	ds_load_b64 v[2:3], v0
	s_wait_dscnt 0x0
	v_add_nc_u64_e32 v[28:29], v[28:29], v[38:39]
	s_mov_b32 s27, exec_lo
	s_delay_alu instid0(VALU_DEP_1)
	v_cmpx_lt_u64_e64 v[2:3], v[28:29]
	s_cbranch_execz .LBB4_7790
; %bb.7782:                             ;   in Loop: Header=BB4_3957 Depth=1
	s_mov_b32 s28, 0
	s_mov_b32 s41, 0
                                        ; implicit-def: $sgpr29
                                        ; implicit-def: $sgpr40
	s_branch .LBB4_7784
.LBB4_7783:                             ;   in Loop: Header=BB4_7784 Depth=2
	s_or_b32 exec_lo, exec_lo, s43
	s_delay_alu instid0(SALU_CYCLE_1) | instskip(NEXT) | instid1(SALU_CYCLE_1)
	s_and_b32 s42, exec_lo, s44
	s_or_b32 s28, s42, s28
	s_and_not1_b32 s29, s29, exec_lo
	s_and_b32 s42, s40, exec_lo
	s_delay_alu instid0(SALU_CYCLE_1)
	s_or_b32 s29, s29, s42
	s_and_not1_b32 exec_lo, exec_lo, s28
	s_cbranch_execz .LBB4_7788
.LBB4_7784:                             ;   Parent Loop BB4_3957 Depth=1
                                        ; =>  This Inner Loop Header: Depth=2
	s_add_co_i32 s41, s41, 1
	s_delay_alu instid0(SALU_CYCLE_1) | instskip(SKIP_1) | instid1(SALU_CYCLE_1)
	s_cmp_lg_u32 s41, 0x2710
	s_cselect_b32 s42, -1, 0
	s_and_b32 vcc_lo, exec_lo, s42
	s_cbranch_vccz .LBB4_7786
; %bb.7785:                             ;   in Loop: Header=BB4_7784 Depth=2
	s_mov_b32 s44, -1
	s_or_b32 s40, s40, exec_lo
	s_and_saveexec_b32 s43, s42
	s_cbranch_execz .LBB4_7783
	s_branch .LBB4_7787
.LBB4_7786:                             ;   in Loop: Header=BB4_7784 Depth=2
	s_trap 2
	ds_load_b64 v[2:3], v0
	s_and_not1_b32 s42, s42, exec_lo
	s_mov_b32 s41, 0
	s_wait_loadcnt_dscnt 0x0
	flat_load_b32 v2, v[2:3] scope:SCOPE_SYS
	s_wait_loadcnt_dscnt 0x0
	global_inv scope:SCOPE_SYS
	v_cmp_eq_u32_e32 vcc_lo, 0, v2
	s_and_b32 s43, vcc_lo, exec_lo
	s_delay_alu instid0(SALU_CYCLE_1)
	s_or_b32 s42, s42, s43
	s_mov_b32 s44, -1
	s_or_b32 s40, s40, exec_lo
	s_and_saveexec_b32 s43, s42
	s_cbranch_execz .LBB4_7783
.LBB4_7787:                             ;   in Loop: Header=BB4_7784 Depth=2
	s_sleep 1
	s_trap 2
	ds_load_b64 v[2:3], v0
	s_wait_dscnt 0x0
	s_and_not1_b32 s40, s40, exec_lo
	v_cmp_ge_u64_e32 vcc_lo, v[2:3], v[28:29]
	s_or_not1_b32 s44, vcc_lo, exec_lo
	s_branch .LBB4_7783
.LBB4_7788:                             ;   in Loop: Header=BB4_3957 Depth=1
	s_or_b32 exec_lo, exec_lo, s28
	s_and_saveexec_b32 s28, s29
	s_delay_alu instid0(SALU_CYCLE_1)
	s_xor_b32 s28, exec_lo, s28
	s_cbranch_execz .LBB4_7790
; %bb.7789:                             ;   in Loop: Header=BB4_3957 Depth=1
	ds_store_b32 v0, v100
	s_trap 2
.LBB4_7790:                             ;   in Loop: Header=BB4_3957 Depth=1
	s_or_b32 exec_lo, exec_lo, s27
	;;#ASMSTART
	s_wakeup
	;;#ASMEND
.LBB4_7791:                             ;   in Loop: Header=BB4_3957 Depth=1
	s_or_b32 exec_lo, exec_lo, s26
.LBB4_7792:                             ;   in Loop: Header=BB4_3957 Depth=1
	s_and_not1_saveexec_b32 s11, s11
	s_cbranch_execz .LBB4_7794
; %bb.7793:                             ;   in Loop: Header=BB4_3957 Depth=1
	global_wb scope:SCOPE_DEV
	s_wait_storecnt 0x0
	s_wait_loadcnt_dscnt 0x0
	global_inv scope:SCOPE_DEV
	s_barrier_signal -1
	s_barrier_wait -1
.LBB4_7794:                             ;   in Loop: Header=BB4_3957 Depth=1
	s_or_b32 exec_lo, exec_lo, s11
.LBB4_7795:                             ;   in Loop: Header=BB4_3957 Depth=1
	s_delay_alu instid0(SALU_CYCLE_1) | instskip(SKIP_1) | instid1(VALU_DEP_1)
	s_or_b32 exec_lo, exec_lo, s10
	v_and_b32_e32 v2, 16, v112
	v_cmp_ne_u32_e32 vcc_lo, 0, v2
	s_and_b32 s10, vcc_lo, s7
	s_delay_alu instid0(SALU_CYCLE_1)
	s_and_saveexec_b32 s7, s10
	s_cbranch_execz .LBB4_7797
; %bb.7796:                             ;   in Loop: Header=BB4_3957 Depth=1
	global_wb scope:SCOPE_SYS
	s_wait_storecnt 0x0
	s_wait_loadcnt_dscnt 0x0
	global_inv scope:SCOPE_SYS
.LBB4_7797:                             ;   in Loop: Header=BB4_3957 Depth=1
	s_or_b32 exec_lo, exec_lo, s7
	v_and_b32_e32 v2, 32, v112
	s_mov_b32 s7, exec_lo
	s_delay_alu instid0(VALU_DEP_1)
	v_cmpx_ne_u32_e32 0, v2
	s_cbranch_execz .LBB4_7799
; %bb.7798:                             ;   in Loop: Header=BB4_3957 Depth=1
	v_add_nc_u64_e32 v[8:9], 1, v[8:9]
	global_wb scope:SCOPE_SYS
	s_wait_storecnt 0x0
	s_wait_loadcnt_dscnt 0x0
	flat_store_b64 v[22:23], v[8:9] scope:SCOPE_SYS
.LBB4_7799:                             ;   in Loop: Header=BB4_3957 Depth=1
	s_wait_xcnt 0x0
	s_or_b32 exec_lo, exec_lo, s7
	v_mov_b32_e32 v2, v67
.LBB4_7800:                             ;   in Loop: Header=BB4_3957 Depth=1
	s_or_b32 exec_lo, exec_lo, s25
	s_and_saveexec_b32 s10, s24
	s_cbranch_execz .LBB4_3956
; %bb.7801:                             ;   in Loop: Header=BB4_3957 Depth=1
	v_and_b32_e32 v3, 4, v112
	s_mov_b32 s11, exec_lo
	s_delay_alu instid0(VALU_DEP_1)
	v_cmpx_ne_u32_e32 0, v3
	s_cbranch_execz .LBB4_7823
; %bb.7802:                             ;   in Loop: Header=BB4_3957 Depth=1
	v_add_nc_u64_e32 v[10:11], 1, v[8:9]
	s_mov_b32 s24, exec_lo
	s_wait_loadcnt 0x0
	s_delay_alu instid0(VALU_DEP_1)
	v_cmpx_lt_u64_e64 v[32:33], v[10:11]
	s_cbranch_execz .LBB4_7814
; %bb.7803:                             ;   in Loop: Header=BB4_3957 Depth=1
	v_and_b32_e32 v3, 64, v112
	s_mov_b32 s25, 0
	s_mov_b32 s29, 0
                                        ; implicit-def: $sgpr26
                                        ; implicit-def: $sgpr27
                                        ; implicit-def: $sgpr28
	s_delay_alu instid0(VALU_DEP_1)
	v_cmp_eq_u32_e32 vcc_lo, 0, v3
	s_branch .LBB4_7806
.LBB4_7804:                             ;   in Loop: Header=BB4_7806 Depth=2
	s_or_b32 exec_lo, exec_lo, s44
	s_delay_alu instid0(SALU_CYCLE_1)
	s_and_not1_b32 s7, s28, exec_lo
	s_and_b32 s28, s42, exec_lo
	s_and_not1_b32 s27, s27, exec_lo
	s_and_b32 s41, s41, exec_lo
	s_or_b32 s28, s7, s28
	s_or_b32 s27, s27, s41
.LBB4_7805:                             ;   in Loop: Header=BB4_7806 Depth=2
	s_or_b32 exec_lo, exec_lo, s40
	s_delay_alu instid0(SALU_CYCLE_1) | instskip(NEXT) | instid1(SALU_CYCLE_1)
	s_and_b32 s7, exec_lo, s27
	s_or_b32 s25, s7, s25
	s_and_not1_b32 s7, s26, exec_lo
	s_and_b32 s26, s28, exec_lo
	s_delay_alu instid0(SALU_CYCLE_1)
	s_or_b32 s26, s7, s26
	s_and_not1_b32 exec_lo, exec_lo, s25
	s_cbranch_execz .LBB4_7811
.LBB4_7806:                             ;   Parent Loop BB4_3957 Depth=1
                                        ; =>  This Inner Loop Header: Depth=2
	s_sleep 1
	s_wait_loadcnt_dscnt 0x0
	flat_load_b64 v[32:33], v[22:23] scope:SCOPE_SYS
	s_or_b32 s28, s28, exec_lo
	s_or_b32 s27, s27, exec_lo
                                        ; implicit-def: $vgpr3
	s_wait_xcnt 0x0
	s_and_saveexec_b32 s40, vcc_lo
	s_cbranch_execz .LBB4_7805
; %bb.7807:                             ;   in Loop: Header=BB4_7806 Depth=2
	s_cmp_lt_i32 s29, 0x270f
	s_mov_b32 s41, -1
	s_cselect_b32 s43, -1, 0
	s_cmp_gt_i32 s29, 0x270e
	s_cbranch_scc0 .LBB4_7809
; %bb.7808:                             ;   in Loop: Header=BB4_7806 Depth=2
	s_trap 2
	ds_load_b64 v[12:13], v0
	s_and_not1_b32 s29, s43, exec_lo
	s_mov_b32 s42, 0
	s_wait_storecnt 0x0
	s_wait_loadcnt_dscnt 0x0
	flat_load_b32 v3, v[12:13] scope:SCOPE_SYS
	s_wait_loadcnt_dscnt 0x0
	global_inv scope:SCOPE_SYS
	v_cmp_eq_u32_e64 s7, 0, v3
	s_and_b32 s7, s7, exec_lo
	s_delay_alu instid0(SALU_CYCLE_1)
	s_or_b32 s43, s29, s7
	s_mov_b32 s29, 0
	s_and_saveexec_b32 s44, s43
	s_cbranch_execz .LBB4_7804
	s_branch .LBB4_7810
.LBB4_7809:                             ;   in Loop: Header=BB4_7806 Depth=2
	s_add_co_i32 s29, s29, 1
	s_mov_b32 s42, -1
                                        ; implicit-def: $vgpr3
	s_and_saveexec_b32 s44, s43
	s_cbranch_execz .LBB4_7804
.LBB4_7810:                             ;   in Loop: Header=BB4_7806 Depth=2
	s_wait_loadcnt_dscnt 0x0
	v_cmp_ge_u64_e64 s7, v[32:33], v[10:11]
	s_or_b32 s42, s42, exec_lo
	s_or_not1_b32 s41, s7, exec_lo
	s_branch .LBB4_7804
.LBB4_7811:                             ;   in Loop: Header=BB4_3957 Depth=1
	s_or_b32 exec_lo, exec_lo, s25
	s_xor_b32 s7, s26, -1
	s_delay_alu instid0(SALU_CYCLE_1) | instskip(NEXT) | instid1(SALU_CYCLE_1)
	s_and_saveexec_b32 s25, s7
	s_xor_b32 s7, exec_lo, s25
	s_cbranch_execz .LBB4_7813
; %bb.7812:                             ;   in Loop: Header=BB4_3957 Depth=1
	v_or_b32_e32 v112, 64, v112
	s_wait_storecnt 0x0
	s_wait_loadcnt_dscnt 0x0
	ds_store_b32 v0, v3
	s_trap 2
.LBB4_7813:                             ;   in Loop: Header=BB4_3957 Depth=1
	s_or_b32 exec_lo, exec_lo, s7
.LBB4_7814:                             ;   in Loop: Header=BB4_3957 Depth=1
	s_delay_alu instid0(SALU_CYCLE_1)
	s_or_b32 exec_lo, exec_lo, s24
	v_and_b32_e32 v3, 0x100, v112
	v_and_b32_e32 v36, 7, v8
	s_mov_b32 s7, -1
	s_mov_b32 s24, exec_lo
	;;#ASMSTART
	s_wakeup
	;;#ASMEND
                                        ; implicit-def: $vgpr8_vgpr9
	v_cmpx_ne_u32_e32 0, v3
	s_cbranch_execz .LBB4_7818
; %bb.7815:                             ;   in Loop: Header=BB4_3957 Depth=1
	v_mad_nc_u64_u32 v[12:13], v36, 24, v[6:7]
	s_mov_b32 s25, exec_lo
                                        ; implicit-def: $vgpr8_vgpr9
	flat_load_b32 v3, v[12:13]
	s_wait_loadcnt_dscnt 0x0
	v_cmp_ne_u32_e32 vcc_lo, 1, v3
	s_wait_xcnt 0x0
	v_cmpx_eq_u32_e32 1, v3
	s_cbranch_execz .LBB4_7817
; %bb.7816:                             ;   in Loop: Header=BB4_3957 Depth=1
	flat_load_b32 v8, v[12:13] offset:4 scope:SCOPE_SYS
	s_wait_loadcnt_dscnt 0x0
	v_ashrrev_i32_e32 v9, 31, v8
.LBB4_7817:                             ;   in Loop: Header=BB4_3957 Depth=1
	s_wait_xcnt 0x0
	s_or_b32 exec_lo, exec_lo, s25
	s_delay_alu instid0(SALU_CYCLE_1)
	s_or_not1_b32 s7, vcc_lo, exec_lo
.LBB4_7818:                             ;   in Loop: Header=BB4_3957 Depth=1
	s_or_b32 exec_lo, exec_lo, s24
	s_and_saveexec_b32 s24, s7
; %bb.7819:                             ;   in Loop: Header=BB4_3957 Depth=1
	v_mul_u64_e32 v[8:9], v[36:37], v[24:25]
; %bb.7820:                             ;   in Loop: Header=BB4_3957 Depth=1
	s_or_b32 exec_lo, exec_lo, s24
	s_delay_alu instid0(VALU_DEP_1)
	v_add_nc_u64_e32 v[8:9], v[26:27], v[8:9]
	v_and_b32_e32 v3, 0x2000, v112
	s_mov_b32 s7, exec_lo
	ds_store_b64 v0, v[8:9] offset:728
	v_cmpx_ne_u32_e32 0, v3
	s_cbranch_execz .LBB4_7822
; %bb.7821:                             ;   in Loop: Header=BB4_3957 Depth=1
	ds_load_b64 v[8:9], v0 offset:872
	s_wait_dscnt 0x0
	v_add_nc_u64_e32 v[8:9], 1, v[8:9]
	ds_store_b64 v0, v[8:9] offset:872
.LBB4_7822:                             ;   in Loop: Header=BB4_3957 Depth=1
	s_or_b32 exec_lo, exec_lo, s7
	v_mov_b64_e32 v[8:9], v[10:11]
.LBB4_7823:                             ;   in Loop: Header=BB4_3957 Depth=1
	s_or_b32 exec_lo, exec_lo, s11
	s_and_saveexec_b32 s7, s2
	s_cbranch_execz .LBB4_7842
; %bb.7824:                             ;   in Loop: Header=BB4_3957 Depth=1
	s_and_saveexec_b32 s11, s3
	s_delay_alu instid0(SALU_CYCLE_1)
	s_xor_b32 s11, exec_lo, s11
	s_cbranch_execz .LBB4_7839
; %bb.7825:                             ;   in Loop: Header=BB4_3957 Depth=1
	s_and_saveexec_b32 s24, s4
	s_cbranch_execz .LBB4_7838
; %bb.7826:                             ;   in Loop: Header=BB4_3957 Depth=1
	s_mov_b32 s26, exec_lo
	s_mov_b32 s25, exec_lo
	v_mbcnt_lo_u32_b32 v3, s26, 0
	global_wb scope:SCOPE_DEV
	s_wait_storecnt 0x0
	s_wait_loadcnt_dscnt 0x0
	global_inv scope:SCOPE_DEV
	v_cmpx_eq_u32_e32 0, v3
	s_cbranch_execz .LBB4_7828
; %bb.7827:                             ;   in Loop: Header=BB4_3957 Depth=1
	s_bcnt1_i32_b32 s26, s26
	s_delay_alu instid0(SALU_CYCLE_1)
	v_mov_b32_e32 v36, s26
	s_wait_loadcnt 0x0
	ds_add_u64 v0, v[36:37]
	s_trap 2
.LBB4_7828:                             ;   in Loop: Header=BB4_3957 Depth=1
	s_or_b32 exec_lo, exec_lo, s25
	s_trap 2
	ds_load_b64 v[10:11], v0
	s_wait_dscnt 0x0
	v_add_nc_u64_e32 v[28:29], v[28:29], v[38:39]
	s_mov_b32 s25, exec_lo
	s_delay_alu instid0(VALU_DEP_1)
	v_cmpx_lt_u64_e64 v[10:11], v[28:29]
	s_cbranch_execz .LBB4_7837
; %bb.7829:                             ;   in Loop: Header=BB4_3957 Depth=1
	s_mov_b32 s26, 0
	s_mov_b32 s29, 0
                                        ; implicit-def: $sgpr27
                                        ; implicit-def: $sgpr28
	s_branch .LBB4_7831
.LBB4_7830:                             ;   in Loop: Header=BB4_7831 Depth=2
	s_or_b32 exec_lo, exec_lo, s41
	s_delay_alu instid0(SALU_CYCLE_1) | instskip(NEXT) | instid1(SALU_CYCLE_1)
	s_and_b32 s40, exec_lo, s42
	s_or_b32 s26, s40, s26
	s_and_not1_b32 s27, s27, exec_lo
	s_and_b32 s40, s28, exec_lo
	s_delay_alu instid0(SALU_CYCLE_1)
	s_or_b32 s27, s27, s40
	s_and_not1_b32 exec_lo, exec_lo, s26
	s_cbranch_execz .LBB4_7835
.LBB4_7831:                             ;   Parent Loop BB4_3957 Depth=1
                                        ; =>  This Inner Loop Header: Depth=2
	s_add_co_i32 s29, s29, 1
	s_delay_alu instid0(SALU_CYCLE_1) | instskip(SKIP_1) | instid1(SALU_CYCLE_1)
	s_cmp_lg_u32 s29, 0x2710
	s_cselect_b32 s40, -1, 0
	s_and_b32 vcc_lo, exec_lo, s40
	s_cbranch_vccz .LBB4_7833
; %bb.7832:                             ;   in Loop: Header=BB4_7831 Depth=2
	s_mov_b32 s42, -1
	s_or_b32 s28, s28, exec_lo
	s_and_saveexec_b32 s41, s40
	s_cbranch_execz .LBB4_7830
	s_branch .LBB4_7834
.LBB4_7833:                             ;   in Loop: Header=BB4_7831 Depth=2
	s_trap 2
	ds_load_b64 v[10:11], v0
	s_and_not1_b32 s40, s40, exec_lo
	s_mov_b32 s29, 0
	s_wait_loadcnt_dscnt 0x0
	flat_load_b32 v3, v[10:11] scope:SCOPE_SYS
	s_wait_loadcnt_dscnt 0x0
	global_inv scope:SCOPE_SYS
	v_cmp_eq_u32_e32 vcc_lo, 0, v3
	s_and_b32 s41, vcc_lo, exec_lo
	s_delay_alu instid0(SALU_CYCLE_1)
	s_or_b32 s40, s40, s41
	s_mov_b32 s42, -1
	s_or_b32 s28, s28, exec_lo
	s_and_saveexec_b32 s41, s40
	s_cbranch_execz .LBB4_7830
.LBB4_7834:                             ;   in Loop: Header=BB4_7831 Depth=2
	s_sleep 1
	s_trap 2
	ds_load_b64 v[10:11], v0
	s_wait_dscnt 0x0
	s_and_not1_b32 s28, s28, exec_lo
	v_cmp_ge_u64_e32 vcc_lo, v[10:11], v[28:29]
	s_or_not1_b32 s42, vcc_lo, exec_lo
	s_branch .LBB4_7830
.LBB4_7835:                             ;   in Loop: Header=BB4_3957 Depth=1
	s_or_b32 exec_lo, exec_lo, s26
	s_and_saveexec_b32 s26, s27
	s_delay_alu instid0(SALU_CYCLE_1)
	s_xor_b32 s26, exec_lo, s26
	s_cbranch_execz .LBB4_7837
; %bb.7836:                             ;   in Loop: Header=BB4_3957 Depth=1
	ds_store_b32 v0, v100
	s_trap 2
.LBB4_7837:                             ;   in Loop: Header=BB4_3957 Depth=1
	s_or_b32 exec_lo, exec_lo, s25
	;;#ASMSTART
	s_wakeup
	;;#ASMEND
.LBB4_7838:                             ;   in Loop: Header=BB4_3957 Depth=1
	s_or_b32 exec_lo, exec_lo, s24
.LBB4_7839:                             ;   in Loop: Header=BB4_3957 Depth=1
	s_and_not1_saveexec_b32 s11, s11
	s_cbranch_execz .LBB4_7841
; %bb.7840:                             ;   in Loop: Header=BB4_3957 Depth=1
	global_wb scope:SCOPE_DEV
	s_wait_storecnt 0x0
	s_wait_loadcnt_dscnt 0x0
	global_inv scope:SCOPE_DEV
	s_barrier_signal -1
	s_barrier_wait -1
.LBB4_7841:                             ;   in Loop: Header=BB4_3957 Depth=1
	s_or_b32 exec_lo, exec_lo, s11
.LBB4_7842:                             ;   in Loop: Header=BB4_3957 Depth=1
	s_delay_alu instid0(SALU_CYCLE_1)
	s_or_b32 exec_lo, exec_lo, s7
	s_trap 2
	ds_load_b32 v3, v0
	v_sub_nc_u32_e32 v2, v66, v2
	s_wait_dscnt 0x0
	v_readfirstlane_b32 s7, v3
	v_and_b32_e32 v3, 16, v112
	s_delay_alu instid0(VALU_DEP_3) | instskip(SKIP_1) | instid1(VALU_DEP_2)
	v_min_i32_e32 v2, v67, v2
	s_cmp_eq_u32 s7, 0
	v_cmp_ne_u32_e64 s7, 0, v3
	s_delay_alu instid0(VALU_DEP_2) | instskip(SKIP_1) | instid1(SALU_CYCLE_1)
	v_cmp_lt_i32_e32 vcc_lo, 0, v2
	s_cselect_b32 s11, -1, 0
	s_and_b32 s11, vcc_lo, s11
	s_delay_alu instid0(SALU_CYCLE_1) | instskip(NEXT) | instid1(SALU_CYCLE_1)
	s_and_b32 s11, s7, s11
	s_and_saveexec_b32 s7, s11
	s_cbranch_execz .LBB4_7844
; %bb.7843:                             ;   in Loop: Header=BB4_3957 Depth=1
	global_wb scope:SCOPE_SYS
	s_wait_loadcnt 0x0
	s_wait_storecnt 0x0
	global_inv scope:SCOPE_SYS
.LBB4_7844:                             ;   in Loop: Header=BB4_3957 Depth=1
	s_or_b32 exec_lo, exec_lo, s7
	v_and_b32_e32 v2, 32, v112
	s_mov_b32 s7, exec_lo
	s_delay_alu instid0(VALU_DEP_1)
	v_cmpx_ne_u32_e32 0, v2
	s_cbranch_execz .LBB4_3955
; %bb.7845:                             ;   in Loop: Header=BB4_3957 Depth=1
	v_add_nc_u64_e32 v[8:9], 1, v[8:9]
	global_wb scope:SCOPE_SYS
	s_wait_loadcnt 0x0
	s_wait_storecnt 0x0
	flat_store_b64 v[22:23], v[8:9] scope:SCOPE_SYS
	s_branch .LBB4_3955
.LBB4_7846:
	s_or_b32 exec_lo, exec_lo, s21
	v_mov_b64_e32 v[94:95], v[90:91]
	v_mov_b32_e32 v10, v92
.LBB4_7847:
	s_or_b32 exec_lo, exec_lo, s17
.LBB4_7848:
	s_delay_alu instid0(SALU_CYCLE_1)
	s_or_b32 exec_lo, exec_lo, s16
                                        ; implicit-def: $vgpr18_vgpr19
                                        ; implicit-def: $vgpr4_vgpr5
                                        ; implicit-def: $vgpr36_vgpr37
                                        ; implicit-def: $vgpr24
                                        ; implicit-def: $vgpr32_vgpr33
                                        ; implicit-def: $vgpr26_vgpr27
                                        ; implicit-def: $vgpr22_vgpr23
                                        ; implicit-def: $vgpr0
                                        ; implicit-def: $vgpr50
                                        ; implicit-def: $vgpr34_vgpr35
.LBB4_7849:
	s_and_not1_saveexec_b32 s14, s20
	s_cbranch_execz .LBB4_10401
; %bb.7850:
	v_mov_b64_e32 v[28:29], 0
	s_mov_b32 s15, exec_lo
	v_cmpx_ne_u64_e32 0, v[4:5]
	s_cbranch_execz .LBB4_10400
; %bb.7851:
	v_dual_ashrrev_i32 v25, 31, v24 :: v_dual_bitop2_b32 v2, 31, v31 bitop3:0x40
	v_dual_mov_b32 v15, 0 :: v_dual_bitop2_b32 v30, 31, v0 bitop3:0x40
	v_dual_lshrrev_b32 v16, 5, v1 :: v_dual_lshrrev_b32 v3, 5, v0
	s_delay_alu instid0(VALU_DEP_3)
	v_cmp_eq_u32_e64 s4, 0, v2
	s_ashr_i32 s2, s19, 31
	v_lshlrev_b32_e32 v2, 4, v30
	s_lshr_b32 s2, s2, 24
	v_cmp_eq_u32_e32 vcc_lo, 32, v1
	v_cmp_ne_u64_e64 s7, 0, v[36:37]
	v_mov_b64_e32 v[54:55], 0
	v_mov_b64_e32 v[28:29], 0
	v_cmp_ge_u32_e64 s1, v0, v1
	s_add_co_i32 s19, s19, s2
	v_cmp_ne_u32_e64 s2, 32, v1
	v_cmp_ne_u32_e64 s3, v1, v10
	v_mov_b32_e32 v17, v15
	v_cmp_eq_u32_e64 s5, 0, v30
	v_cmp_lt_u32_e64 s6, v30, v50
	v_dual_mov_b32 v39, v15 :: v_dual_lshlrev_b32 v38, 11, v16
	v_dual_mov_b32 v49, v15 :: v_dual_lshlrev_b32 v48, 9, v16
	v_and_b32_e32 v50, 0x1fe0, v1
	v_dual_mov_b32 v51, v15 :: v_dual_mov_b32 v53, v15
	v_lshl_or_b32 v52, v3, 11, v2
	v_mov_b32_e32 v99, 1
	s_mov_b64 s[12:13], 0xffffffffffffff
	s_ashr_i32 s17, s19, 8
	s_mov_b32 s16, 0
	s_xor_b32 s19, vcc_lo, -1
	s_clause 0x1
	scratch_store_b64 off, v[94:95], s33 offset:196
	scratch_store_b32 off, v10, s33 offset:204
	s_trap 2
	s_branch .LBB4_7855
.LBB4_7852:                             ;   in Loop: Header=BB4_7855 Depth=1
	s_wait_xcnt 0x0
	s_or_b32 exec_lo, exec_lo, s20
	v_add_nc_u64_e32 v[8:9], 1, v[8:9]
	global_wb scope:SCOPE_SYS
	s_wait_storecnt 0x0
	s_wait_loadcnt_dscnt 0x0
	flat_store_b64 v[22:23], v[8:9] scope:SCOPE_SYS
.LBB4_7853:                             ;   in Loop: Header=BB4_7855 Depth=1
	s_wait_xcnt 0x0
	s_or_b32 exec_lo, exec_lo, s10
.LBB4_7854:                             ;   in Loop: Header=BB4_7855 Depth=1
	s_delay_alu instid0(SALU_CYCLE_1) | instskip(SKIP_1) | instid1(VALU_DEP_1)
	s_or_b32 exec_lo, exec_lo, s11
	v_add_nc_u64_e32 v[54:55], v[54:55], v[34:35]
	v_cmp_ge_u64_e32 vcc_lo, v[54:55], v[4:5]
	s_or_b32 s16, vcc_lo, s16
	s_delay_alu instid0(SALU_CYCLE_1)
	s_and_not1_b32 exec_lo, exec_lo, s16
	s_cbranch_execz .LBB4_10399
.LBB4_7855:                             ; =>This Loop Header: Depth=1
                                        ;     Child Loop BB4_7863 Depth 2
                                        ;     Child Loop BB4_7888 Depth 2
	;; [unrolled: 1-line block ×10, first 2 shown]
	v_sub_nc_u64_e32 v[2:3], v[4:5], v[54:55]
	s_delay_alu instid0(VALU_DEP_1) | instskip(NEXT) | instid1(VALU_DEP_1)
	v_min_u64 v[64:65], v[34:35], v[2:3]
	v_add_nc_u32_e32 v2, 15, v64
	s_delay_alu instid0(VALU_DEP_2) | instskip(NEXT) | instid1(VALU_DEP_2)
	v_cmp_eq_u64_e32 vcc_lo, 0, v[64:65]
	v_and_b32_e32 v2, 0x7ffffff0, v2
	s_or_b32 s20, s1, vcc_lo
	s_delay_alu instid0(SALU_CYCLE_1) | instskip(NEXT) | instid1(VALU_DEP_1)
	s_xor_b32 s10, s20, -1
	v_dual_mov_b32 v2, v15 :: v_dual_max_i32 v66, s17, v2
	s_wait_xcnt 0x0
	s_and_saveexec_b32 s21, s10
	s_cbranch_execz .LBB4_10352
; %bb.7856:                             ;   in Loop: Header=BB4_7855 Depth=1
	s_and_saveexec_b32 s10, s0
	s_cbranch_execz .LBB4_7858
; %bb.7857:                             ;   in Loop: Header=BB4_7855 Depth=1
	s_trap 2
	ds_load_b64 v[2:3], v0
	v_mov_b64_e32 v[10:11], 0
	s_wait_dscnt 0x0
	v_add_nc_u64_e32 v[2:3], v[2:3], v[18:19]
	s_delay_alu instid0(VALU_DEP_1)
	v_add_nc_u64_e32 v[2:3], v[2:3], v[54:55]
	ds_store_b64 v0, v[2:3]
	ds_store_b64 v0, v[10:11]
.LBB4_7858:                             ;   in Loop: Header=BB4_7855 Depth=1
	s_or_b32 exec_lo, exec_lo, s10
	v_and_b32_e32 v2, 8, v112
	v_min_u32_e32 v66, v66, v64
	s_mov_b32 s11, exec_lo
	s_delay_alu instid0(VALU_DEP_2)
	v_cmpx_ne_u32_e32 0, v2
	s_cbranch_execz .LBB4_7880
; %bb.7859:                             ;   in Loop: Header=BB4_7855 Depth=1
	s_wait_loadcnt 0x0
	v_add_nc_u64_e32 v[2:3], 8, v[32:33]
	v_add_nc_u64_e32 v[10:11], 1, v[8:9]
	s_mov_b32 s22, exec_lo
	s_delay_alu instid0(VALU_DEP_1)
	v_cmpx_lt_u64_e64 v[2:3], v[10:11]
	s_cbranch_execz .LBB4_7871
; %bb.7860:                             ;   in Loop: Header=BB4_7855 Depth=1
	v_and_b32_e32 v2, 64, v112
	s_mov_b32 s23, 0
	s_mov_b32 s27, 0
                                        ; implicit-def: $sgpr24
                                        ; implicit-def: $sgpr25
                                        ; implicit-def: $sgpr26
	s_delay_alu instid0(VALU_DEP_1)
	v_cmp_eq_u32_e32 vcc_lo, 0, v2
	s_branch .LBB4_7863
.LBB4_7861:                             ;   in Loop: Header=BB4_7863 Depth=2
	s_or_b32 exec_lo, exec_lo, s42
	s_delay_alu instid0(SALU_CYCLE_1)
	s_and_not1_b32 s10, s26, exec_lo
	s_and_b32 s26, s40, exec_lo
	s_and_not1_b32 s25, s25, exec_lo
	s_and_b32 s29, s29, exec_lo
	s_or_b32 s26, s10, s26
	s_or_b32 s25, s25, s29
.LBB4_7862:                             ;   in Loop: Header=BB4_7863 Depth=2
	s_or_b32 exec_lo, exec_lo, s28
	s_delay_alu instid0(SALU_CYCLE_1) | instskip(NEXT) | instid1(SALU_CYCLE_1)
	s_and_b32 s10, exec_lo, s25
	s_or_b32 s23, s10, s23
	s_and_not1_b32 s10, s24, exec_lo
	s_and_b32 s24, s26, exec_lo
	s_delay_alu instid0(SALU_CYCLE_1)
	s_or_b32 s24, s10, s24
	s_and_not1_b32 exec_lo, exec_lo, s23
	s_cbranch_execz .LBB4_7868
.LBB4_7863:                             ;   Parent Loop BB4_7855 Depth=1
                                        ; =>  This Inner Loop Header: Depth=2
	s_sleep 1
	s_wait_loadcnt_dscnt 0x0
	flat_load_b64 v[32:33], v[22:23] scope:SCOPE_SYS
	s_or_b32 s26, s26, exec_lo
	s_or_b32 s25, s25, exec_lo
                                        ; implicit-def: $vgpr2
	s_wait_xcnt 0x0
	s_and_saveexec_b32 s28, vcc_lo
	s_cbranch_execz .LBB4_7862
; %bb.7864:                             ;   in Loop: Header=BB4_7863 Depth=2
	s_cmp_lt_i32 s27, 0x270f
	s_mov_b32 s29, -1
	s_cselect_b32 s41, -1, 0
	s_cmp_gt_i32 s27, 0x270e
	s_cbranch_scc0 .LBB4_7866
; %bb.7865:                             ;   in Loop: Header=BB4_7863 Depth=2
	s_trap 2
	ds_load_b64 v[2:3], v0
	s_and_not1_b32 s27, s41, exec_lo
	s_mov_b32 s40, 0
	s_wait_storecnt 0x0
	s_wait_loadcnt_dscnt 0x0
	flat_load_b32 v2, v[2:3] scope:SCOPE_SYS
	s_wait_loadcnt_dscnt 0x0
	global_inv scope:SCOPE_SYS
	v_cmp_eq_u32_e64 s10, 0, v2
	s_and_b32 s10, s10, exec_lo
	s_delay_alu instid0(SALU_CYCLE_1)
	s_or_b32 s41, s27, s10
	s_mov_b32 s27, 0
	s_and_saveexec_b32 s42, s41
	s_cbranch_execz .LBB4_7861
	s_branch .LBB4_7867
.LBB4_7866:                             ;   in Loop: Header=BB4_7863 Depth=2
	s_add_co_i32 s27, s27, 1
	s_mov_b32 s40, -1
                                        ; implicit-def: $vgpr2
	s_and_saveexec_b32 s42, s41
	s_cbranch_execz .LBB4_7861
.LBB4_7867:                             ;   in Loop: Header=BB4_7863 Depth=2
	s_wait_loadcnt_dscnt 0x0
	v_add_nc_u64_e32 v[12:13], 8, v[32:33]
	s_or_b32 s40, s40, exec_lo
	s_delay_alu instid0(VALU_DEP_1)
	v_cmp_ge_u64_e64 s10, v[12:13], v[10:11]
	s_or_not1_b32 s29, s10, exec_lo
	s_branch .LBB4_7861
.LBB4_7868:                             ;   in Loop: Header=BB4_7855 Depth=1
	s_or_b32 exec_lo, exec_lo, s23
	s_xor_b32 s10, s24, -1
	s_delay_alu instid0(SALU_CYCLE_1) | instskip(NEXT) | instid1(SALU_CYCLE_1)
	s_and_saveexec_b32 s23, s10
	s_xor_b32 s10, exec_lo, s23
	s_cbranch_execz .LBB4_7870
; %bb.7869:                             ;   in Loop: Header=BB4_7855 Depth=1
	v_or_b32_e32 v112, 64, v112
	s_wait_storecnt 0x0
	s_wait_loadcnt_dscnt 0x0
	ds_store_b32 v0, v2
	s_trap 2
.LBB4_7870:                             ;   in Loop: Header=BB4_7855 Depth=1
	s_or_b32 exec_lo, exec_lo, s10
.LBB4_7871:                             ;   in Loop: Header=BB4_7855 Depth=1
	s_delay_alu instid0(SALU_CYCLE_1)
	s_or_b32 exec_lo, exec_lo, s22
	v_and_b32_e32 v2, 0x100, v112
	v_and_b32_e32 v14, 7, v8
	s_mov_b32 s10, -1
	s_mov_b32 s22, exec_lo
	;;#ASMSTART
	s_wakeup
	;;#ASMEND
                                        ; implicit-def: $vgpr8_vgpr9
	v_cmpx_ne_u32_e32 0, v2
	s_cbranch_execz .LBB4_7875
; %bb.7872:                             ;   in Loop: Header=BB4_7855 Depth=1
	v_mad_nc_u64_u32 v[12:13], v14, 24, v[6:7]
	v_mov_b32_e32 v67, v15
	s_mov_b32 s23, exec_lo
                                        ; implicit-def: $vgpr8_vgpr9
	s_clause 0x1
	flat_load_b32 v2, v[12:13]
	flat_store_b64 v[12:13], v[66:67] offset:8
	s_wait_loadcnt_dscnt 0x1
	v_cmp_ne_u32_e32 vcc_lo, 1, v2
	s_wait_xcnt 0x0
	v_cmpx_eq_u32_e32 1, v2
	s_cbranch_execz .LBB4_7874
; %bb.7873:                             ;   in Loop: Header=BB4_7855 Depth=1
	flat_load_b32 v8, v[12:13] offset:4 scope:SCOPE_SYS
	s_wait_loadcnt_dscnt 0x0
	v_ashrrev_i32_e32 v9, 31, v8
.LBB4_7874:                             ;   in Loop: Header=BB4_7855 Depth=1
	s_wait_xcnt 0x0
	s_or_b32 exec_lo, exec_lo, s23
	s_delay_alu instid0(SALU_CYCLE_1)
	s_or_not1_b32 s10, vcc_lo, exec_lo
.LBB4_7875:                             ;   in Loop: Header=BB4_7855 Depth=1
	s_or_b32 exec_lo, exec_lo, s22
	s_and_saveexec_b32 s22, s10
; %bb.7876:                             ;   in Loop: Header=BB4_7855 Depth=1
	v_mul_u64_e32 v[8:9], v[14:15], v[24:25]
; %bb.7877:                             ;   in Loop: Header=BB4_7855 Depth=1
	s_or_b32 exec_lo, exec_lo, s22
	s_delay_alu instid0(VALU_DEP_1)
	v_add_nc_u64_e32 v[2:3], v[26:27], v[8:9]
	v_and_b32_e32 v12, 0x2000, v112
	s_mov_b32 s10, exec_lo
	ds_store_b64 v0, v[2:3] offset:784
	v_cmpx_ne_u32_e32 0, v12
	s_cbranch_execz .LBB4_7879
; %bb.7878:                             ;   in Loop: Header=BB4_7855 Depth=1
	ds_load_b64 v[2:3], v0 offset:872
	s_wait_dscnt 0x0
	v_add_nc_u64_e32 v[2:3], 1, v[2:3]
	ds_store_b64 v0, v[2:3] offset:872
.LBB4_7879:                             ;   in Loop: Header=BB4_7855 Depth=1
	s_or_b32 exec_lo, exec_lo, s10
	v_mov_b64_e32 v[8:9], v[10:11]
.LBB4_7880:                             ;   in Loop: Header=BB4_7855 Depth=1
	s_or_b32 exec_lo, exec_lo, s11
	s_and_saveexec_b32 s10, s2
	s_cbranch_execz .LBB4_7899
; %bb.7881:                             ;   in Loop: Header=BB4_7855 Depth=1
	s_and_saveexec_b32 s11, s3
	s_delay_alu instid0(SALU_CYCLE_1)
	s_xor_b32 s11, exec_lo, s11
	s_cbranch_execz .LBB4_7896
; %bb.7882:                             ;   in Loop: Header=BB4_7855 Depth=1
	s_and_saveexec_b32 s22, s4
	s_cbranch_execz .LBB4_7895
; %bb.7883:                             ;   in Loop: Header=BB4_7855 Depth=1
	s_mov_b32 s24, exec_lo
	s_mov_b32 s23, exec_lo
	v_mbcnt_lo_u32_b32 v2, s24, 0
	global_wb scope:SCOPE_DEV
	s_wait_storecnt 0x0
	s_wait_loadcnt_dscnt 0x0
	global_inv scope:SCOPE_DEV
	v_cmpx_eq_u32_e32 0, v2
	s_cbranch_execz .LBB4_7885
; %bb.7884:                             ;   in Loop: Header=BB4_7855 Depth=1
	s_bcnt1_i32_b32 s24, s24
	s_delay_alu instid0(SALU_CYCLE_1)
	v_mov_b32_e32 v14, s24
	s_wait_loadcnt 0x0
	ds_add_u64 v0, v[14:15]
	s_trap 2
.LBB4_7885:                             ;   in Loop: Header=BB4_7855 Depth=1
	s_or_b32 exec_lo, exec_lo, s23
	s_trap 2
	ds_load_b64 v[2:3], v0
	s_wait_dscnt 0x0
	v_add_nc_u64_e32 v[28:29], v[28:29], v[16:17]
	s_mov_b32 s23, exec_lo
	s_delay_alu instid0(VALU_DEP_1)
	v_cmpx_lt_u64_e64 v[2:3], v[28:29]
	s_cbranch_execz .LBB4_7894
; %bb.7886:                             ;   in Loop: Header=BB4_7855 Depth=1
	s_mov_b32 s24, 0
	s_mov_b32 s27, 0
                                        ; implicit-def: $sgpr25
                                        ; implicit-def: $sgpr26
	s_branch .LBB4_7888
.LBB4_7887:                             ;   in Loop: Header=BB4_7888 Depth=2
	s_or_b32 exec_lo, exec_lo, s29
	s_delay_alu instid0(SALU_CYCLE_1) | instskip(NEXT) | instid1(SALU_CYCLE_1)
	s_and_b32 s28, exec_lo, s40
	s_or_b32 s24, s28, s24
	s_and_not1_b32 s25, s25, exec_lo
	s_and_b32 s28, s26, exec_lo
	s_delay_alu instid0(SALU_CYCLE_1)
	s_or_b32 s25, s25, s28
	s_and_not1_b32 exec_lo, exec_lo, s24
	s_cbranch_execz .LBB4_7892
.LBB4_7888:                             ;   Parent Loop BB4_7855 Depth=1
                                        ; =>  This Inner Loop Header: Depth=2
	s_add_co_i32 s27, s27, 1
	s_delay_alu instid0(SALU_CYCLE_1) | instskip(SKIP_1) | instid1(SALU_CYCLE_1)
	s_cmp_lg_u32 s27, 0x2710
	s_cselect_b32 s28, -1, 0
	s_and_b32 vcc_lo, exec_lo, s28
	s_cbranch_vccz .LBB4_7890
; %bb.7889:                             ;   in Loop: Header=BB4_7888 Depth=2
	s_mov_b32 s40, -1
	s_or_b32 s26, s26, exec_lo
	s_and_saveexec_b32 s29, s28
	s_cbranch_execz .LBB4_7887
	s_branch .LBB4_7891
.LBB4_7890:                             ;   in Loop: Header=BB4_7888 Depth=2
	s_trap 2
	ds_load_b64 v[2:3], v0
	s_and_not1_b32 s28, s28, exec_lo
	s_mov_b32 s27, 0
	s_wait_loadcnt_dscnt 0x0
	flat_load_b32 v2, v[2:3] scope:SCOPE_SYS
	s_wait_loadcnt_dscnt 0x0
	global_inv scope:SCOPE_SYS
	v_cmp_eq_u32_e32 vcc_lo, 0, v2
	s_and_b32 s29, vcc_lo, exec_lo
	s_delay_alu instid0(SALU_CYCLE_1)
	s_or_b32 s28, s28, s29
	s_mov_b32 s40, -1
	s_or_b32 s26, s26, exec_lo
	s_and_saveexec_b32 s29, s28
	s_cbranch_execz .LBB4_7887
.LBB4_7891:                             ;   in Loop: Header=BB4_7888 Depth=2
	s_sleep 1
	s_trap 2
	ds_load_b64 v[2:3], v0
	s_wait_dscnt 0x0
	s_and_not1_b32 s26, s26, exec_lo
	v_cmp_ge_u64_e32 vcc_lo, v[2:3], v[28:29]
	s_or_not1_b32 s40, vcc_lo, exec_lo
	s_branch .LBB4_7887
.LBB4_7892:                             ;   in Loop: Header=BB4_7855 Depth=1
	s_or_b32 exec_lo, exec_lo, s24
	s_and_saveexec_b32 s24, s25
	s_delay_alu instid0(SALU_CYCLE_1)
	s_xor_b32 s24, exec_lo, s24
	s_cbranch_execz .LBB4_7894
; %bb.7893:                             ;   in Loop: Header=BB4_7855 Depth=1
	ds_store_b32 v0, v99
	s_trap 2
.LBB4_7894:                             ;   in Loop: Header=BB4_7855 Depth=1
	s_or_b32 exec_lo, exec_lo, s23
	;;#ASMSTART
	s_wakeup
	;;#ASMEND
.LBB4_7895:                             ;   in Loop: Header=BB4_7855 Depth=1
	s_or_b32 exec_lo, exec_lo, s22
.LBB4_7896:                             ;   in Loop: Header=BB4_7855 Depth=1
	s_and_not1_saveexec_b32 s11, s11
	s_cbranch_execz .LBB4_7898
; %bb.7897:                             ;   in Loop: Header=BB4_7855 Depth=1
	global_wb scope:SCOPE_DEV
	s_wait_storecnt 0x0
	s_wait_loadcnt_dscnt 0x0
	global_inv scope:SCOPE_DEV
	s_barrier_signal -1
	s_barrier_wait -1
.LBB4_7898:                             ;   in Loop: Header=BB4_7855 Depth=1
	s_or_b32 exec_lo, exec_lo, s11
.LBB4_7899:                             ;   in Loop: Header=BB4_7855 Depth=1
	s_delay_alu instid0(SALU_CYCLE_1) | instskip(SKIP_3) | instid1(VALU_DEP_1)
	s_or_b32 exec_lo, exec_lo, s10
	s_trap 2
	ds_load_b32 v2, v0
	v_and_b32_e32 v3, 0x4000, v112
	v_cmp_ne_u32_e32 vcc_lo, 0, v3
	s_and_b32 s11, s19, vcc_lo
	s_delay_alu instid0(SALU_CYCLE_1)
	s_and_saveexec_b32 s10, s11
	s_cbranch_execz .LBB4_7918
; %bb.7900:                             ;   in Loop: Header=BB4_7855 Depth=1
	s_and_saveexec_b32 s11, s3
	s_delay_alu instid0(SALU_CYCLE_1)
	s_xor_b32 s11, exec_lo, s11
	s_cbranch_execz .LBB4_7915
; %bb.7901:                             ;   in Loop: Header=BB4_7855 Depth=1
	s_and_saveexec_b32 s22, s4
	s_cbranch_execz .LBB4_7914
; %bb.7902:                             ;   in Loop: Header=BB4_7855 Depth=1
	s_mov_b32 s24, exec_lo
	s_mov_b32 s23, exec_lo
	v_mbcnt_lo_u32_b32 v3, s24, 0
	global_wb scope:SCOPE_DEV
	s_wait_storecnt 0x0
	s_wait_loadcnt_dscnt 0x0
	global_inv scope:SCOPE_DEV
	v_cmpx_eq_u32_e32 0, v3
	s_cbranch_execz .LBB4_7904
; %bb.7903:                             ;   in Loop: Header=BB4_7855 Depth=1
	s_bcnt1_i32_b32 s24, s24
	s_delay_alu instid0(SALU_CYCLE_1)
	v_mov_b32_e32 v14, s24
	s_wait_loadcnt 0x0
	ds_add_u64 v0, v[14:15]
	s_trap 2
.LBB4_7904:                             ;   in Loop: Header=BB4_7855 Depth=1
	s_or_b32 exec_lo, exec_lo, s23
	s_trap 2
	ds_load_b64 v[10:11], v0
	s_wait_dscnt 0x0
	v_add_nc_u64_e32 v[28:29], v[28:29], v[16:17]
	s_mov_b32 s23, exec_lo
	s_delay_alu instid0(VALU_DEP_1)
	v_cmpx_lt_u64_e64 v[10:11], v[28:29]
	s_cbranch_execz .LBB4_7913
; %bb.7905:                             ;   in Loop: Header=BB4_7855 Depth=1
	s_mov_b32 s24, 0
	s_mov_b32 s27, 0
                                        ; implicit-def: $sgpr25
                                        ; implicit-def: $sgpr26
	s_branch .LBB4_7907
.LBB4_7906:                             ;   in Loop: Header=BB4_7907 Depth=2
	s_or_b32 exec_lo, exec_lo, s29
	s_delay_alu instid0(SALU_CYCLE_1) | instskip(NEXT) | instid1(SALU_CYCLE_1)
	s_and_b32 s28, exec_lo, s40
	s_or_b32 s24, s28, s24
	s_and_not1_b32 s25, s25, exec_lo
	s_and_b32 s28, s26, exec_lo
	s_delay_alu instid0(SALU_CYCLE_1)
	s_or_b32 s25, s25, s28
	s_and_not1_b32 exec_lo, exec_lo, s24
	s_cbranch_execz .LBB4_7911
.LBB4_7907:                             ;   Parent Loop BB4_7855 Depth=1
                                        ; =>  This Inner Loop Header: Depth=2
	s_add_co_i32 s27, s27, 1
	s_delay_alu instid0(SALU_CYCLE_1) | instskip(SKIP_1) | instid1(SALU_CYCLE_1)
	s_cmp_lg_u32 s27, 0x2710
	s_cselect_b32 s28, -1, 0
	s_and_b32 vcc_lo, exec_lo, s28
	s_cbranch_vccz .LBB4_7909
; %bb.7908:                             ;   in Loop: Header=BB4_7907 Depth=2
	s_mov_b32 s40, -1
	s_or_b32 s26, s26, exec_lo
	s_and_saveexec_b32 s29, s28
	s_cbranch_execz .LBB4_7906
	s_branch .LBB4_7910
.LBB4_7909:                             ;   in Loop: Header=BB4_7907 Depth=2
	s_trap 2
	ds_load_b64 v[10:11], v0
	s_and_not1_b32 s28, s28, exec_lo
	s_mov_b32 s27, 0
	s_wait_loadcnt_dscnt 0x0
	flat_load_b32 v3, v[10:11] scope:SCOPE_SYS
	s_wait_loadcnt_dscnt 0x0
	global_inv scope:SCOPE_SYS
	v_cmp_eq_u32_e32 vcc_lo, 0, v3
	s_and_b32 s29, vcc_lo, exec_lo
	s_delay_alu instid0(SALU_CYCLE_1)
	s_or_b32 s28, s28, s29
	s_mov_b32 s40, -1
	s_or_b32 s26, s26, exec_lo
	s_and_saveexec_b32 s29, s28
	s_cbranch_execz .LBB4_7906
.LBB4_7910:                             ;   in Loop: Header=BB4_7907 Depth=2
	s_sleep 1
	s_trap 2
	ds_load_b64 v[10:11], v0
	s_wait_dscnt 0x0
	s_and_not1_b32 s26, s26, exec_lo
	v_cmp_ge_u64_e32 vcc_lo, v[10:11], v[28:29]
	s_or_not1_b32 s40, vcc_lo, exec_lo
	s_branch .LBB4_7906
.LBB4_7911:                             ;   in Loop: Header=BB4_7855 Depth=1
	s_or_b32 exec_lo, exec_lo, s24
	s_and_saveexec_b32 s24, s25
	s_delay_alu instid0(SALU_CYCLE_1)
	s_xor_b32 s24, exec_lo, s24
	s_cbranch_execz .LBB4_7913
; %bb.7912:                             ;   in Loop: Header=BB4_7855 Depth=1
	ds_store_b32 v0, v99
	s_trap 2
.LBB4_7913:                             ;   in Loop: Header=BB4_7855 Depth=1
	s_or_b32 exec_lo, exec_lo, s23
	;;#ASMSTART
	s_wakeup
	;;#ASMEND
.LBB4_7914:                             ;   in Loop: Header=BB4_7855 Depth=1
	s_or_b32 exec_lo, exec_lo, s22
.LBB4_7915:                             ;   in Loop: Header=BB4_7855 Depth=1
	s_and_not1_saveexec_b32 s11, s11
	s_cbranch_execz .LBB4_7917
; %bb.7916:                             ;   in Loop: Header=BB4_7855 Depth=1
	global_wb scope:SCOPE_DEV
	s_wait_storecnt 0x0
	s_wait_loadcnt_dscnt 0x0
	global_inv scope:SCOPE_DEV
	s_barrier_signal -1
	s_barrier_wait -1
.LBB4_7917:                             ;   in Loop: Header=BB4_7855 Depth=1
	s_or_b32 exec_lo, exec_lo, s11
.LBB4_7918:                             ;   in Loop: Header=BB4_7855 Depth=1
	s_delay_alu instid0(SALU_CYCLE_1)
	s_or_b32 exec_lo, exec_lo, s10
	s_trap 2
	ds_load_b64 v[68:69], v0
	s_wait_dscnt 0x0
	v_cmp_eq_u64_e32 vcc_lo, 0, v[68:69]
	s_cbranch_vccnz .LBB4_7926
; %bb.7919:                             ;   in Loop: Header=BB4_7855 Depth=1
	s_trap 2
	ds_load_b64 v[70:71], v0
	s_wait_dscnt 0x0
	v_cmp_eq_u64_e32 vcc_lo, 0, v[70:71]
	s_cbranch_vccnz .LBB4_7926
; %bb.7920:                             ;   in Loop: Header=BB4_7855 Depth=1
	s_mov_b32 s10, -1
	s_and_saveexec_b32 s11, s5
	s_cbranch_execz .LBB4_7922
; %bb.7921:                             ;   in Loop: Header=BB4_7855 Depth=1
	ds_load_b32 v3, v0 offset:720
	s_wait_dscnt 0x0
	v_and_b32_e32 v3, 15, v3
	s_delay_alu instid0(VALU_DEP_1)
	v_cmp_eq_u32_e32 vcc_lo, 0, v3
	s_or_not1_b32 s10, vcc_lo, exec_lo
.LBB4_7922:                             ;   in Loop: Header=BB4_7855 Depth=1
	s_or_b32 exec_lo, exec_lo, s11
	s_and_saveexec_b32 s11, s6
	s_cbranch_execz .LBB4_7924
; %bb.7923:                             ;   in Loop: Header=BB4_7855 Depth=1
	ds_load_b32 v3, v0 offset:784
	s_wait_dscnt 0x0
	v_and_b32_e32 v3, 15, v3
	s_delay_alu instid0(VALU_DEP_1) | instskip(SKIP_3) | instid1(SALU_CYCLE_1)
	v_cmp_eq_u32_e32 vcc_lo, 0, v3
	s_and_b32 s22, s10, vcc_lo
	s_and_not1_b32 s10, s10, exec_lo
	s_and_b32 s22, s22, exec_lo
	s_or_b32 s10, s10, s22
.LBB4_7924:                             ;   in Loop: Header=BB4_7855 Depth=1
	s_or_b32 exec_lo, exec_lo, s11
	v_cmp_eq_u32_e32 vcc_lo, 0, v2
	s_xor_b32 s10, s10, -1
	v_mov_b32_e32 v84, 0
	v_cndmask_b32_e64 v3, 0, 1, s10
	s_mov_b32 s10, -1
	v_dual_cndmask_b32 v65, 0, v66 :: v_dual_mov_b32 v86, v0
	s_delay_alu instid0(VALU_DEP_2) | instskip(NEXT) | instid1(VALU_DEP_2)
	v_cmp_ne_u32_e32 vcc_lo, 0, v3
	v_mov_b32_e32 v85, v65
	s_cbranch_vccz .LBB4_7927
; %bb.7925:                             ;   in Loop: Header=BB4_7855 Depth=1
	s_and_saveexec_b32 s22, s10
	s_cbranch_execnz .LBB4_9834
	s_branch .LBB4_10326
.LBB4_7926:                             ;   in Loop: Header=BB4_7855 Depth=1
	s_mov_b32 s10, 0
	s_and_saveexec_b32 s11, s2
	s_cbranch_execnz .LBB4_10327
	s_branch .LBB4_10345
.LBB4_7927:                             ;   in Loop: Header=BB4_7855 Depth=1
	v_dual_lshrrev_b32 v2, 11, v65 :: v_dual_lshrrev_b32 v3, 5, v0
	s_mov_b32 s11, exec_lo
	s_delay_alu instid0(VALU_DEP_1) | instskip(NEXT) | instid1(VALU_DEP_1)
	v_sub_nc_u32_e32 v67, v2, v3
	v_cmpx_lt_i32_e32 0, v67
	s_cbranch_execz .LBB4_9443
; %bb.7928:                             ;   in Loop: Header=BB4_7855 Depth=1
	s_trap 2
	ds_load_b64 v[2:3], v0
	v_mov_b64_e32 v[80:81], v[70:71]
	v_mov_b64_e32 v[82:83], v[68:69]
	s_wait_dscnt 0x0
	v_readfirstlane_b32 s24, v2
	v_readfirstlane_b32 s25, v3
	s_and_b32 s10, s24, 7
	s_and_b32 s26, s24, 0x7f
	s_clz_i32_u32 s10, s10
	s_bfe_u32 s22, s24, 0x40003
	s_min_u32 s10, s10, 32
	s_delay_alu instid0(SALU_CYCLE_1)
	s_sub_co_i32 s23, s10, 28
	s_sub_co_i32 s10, 29, s10
	s_cmp_lt_u32 s26, 8
	s_cselect_b32 s10, s10, s22
	s_cselect_b32 s22, s23, 0
	s_lshl_b32 s27, s24, 24
	s_lshl_b64 s[22:23], s[24:25], s22
	s_and_b32 s23, s27, 0x80000000
	s_lshl_b32 s22, s22, 20
	s_lshl_b32 s10, s10, 23
	s_and_b32 s22, s22, 0x700000
	s_add_co_i32 s10, s10, 0x3c000000
	s_or_b32 s22, s22, s23
	s_mov_b32 s23, 0
	s_or_b32 s10, s10, s22
	s_cmp_lg_u32 s26, 0x7f
	s_cselect_b32 s22, s10, 0x7f800001
	s_and_b32 s24, s24, 0xff
	s_delay_alu instid0(SALU_CYCLE_1)
	s_and_b32 s25, 0xffff, s24
	s_branch .LBB4_7930
.LBB4_7929:                             ;   in Loop: Header=BB4_7930 Depth=2
	s_or_b32 exec_lo, exec_lo, s10
	v_lshl_or_b32 v11, v91, 8, v90
	v_dual_lshlrev_b32 v12, 16, v96 :: v_dual_lshlrev_b32 v13, 24, v97
	v_lshl_or_b32 v14, v79, 8, v78
	v_dual_lshlrev_b32 v20, 16, v88 :: v_dual_lshlrev_b32 v21, 24, v89
	;; [unrolled: 2-line block ×3, first 2 shown]
	v_dual_lshlrev_b32 v97, 24, v107 :: v_dual_lshlrev_b32 v98, 16, v106
	v_lshl_or_b32 v113, v105, 8, v104
	v_lshl_or_b32 v78, v59, 8, v58
	v_dual_lshlrev_b32 v79, 16, v60 :: v_dual_lshlrev_b32 v88, 24, v61
	v_or3_b32 v59, v11, v12, v13
	v_or3_b32 v58, v14, v20, v21
	v_lshl_or_b32 v11, v47, 8, v46
	v_dual_lshlrev_b32 v12, 16, v56 :: v_dual_lshlrev_b32 v13, 24, v57
	v_lshl_or_b32 v14, v63, 8, v62
	v_dual_lshlrev_b32 v20, 16, v72 :: v_dual_lshlrev_b32 v21, 24, v73
	v_or3_b32 v60, v84, v85, v96
	v_or3_b32 v61, v113, v98, v97
	;; [unrolled: 1-line block ×3, first 2 shown]
	v_dual_lshlrev_b32 v84, 24, v77 :: v_dual_lshlrev_b32 v85, 16, v76
	v_lshl_or_b32 v96, v75, 8, v74
	v_lshl_or_b32 v97, v115, 8, v114
	v_dual_lshlrev_b32 v98, 16, v116 :: v_dual_lshlrev_b32 v113, 24, v117
	v_lshl_or_b32 v100, v101, 8, v100
	v_dual_lshlrev_b32 v101, 16, v102 :: v_dual_lshlrev_b32 v102, 24, v103
	v_or3_b32 v88, v11, v12, v13
	v_or3_b32 v90, v14, v20, v21
	v_lshl_or_b32 v11, v119, 8, v118
	v_dual_lshlrev_b32 v12, 16, v40 :: v_dual_lshlrev_b32 v13, 24, v41
	v_dual_lshlrev_b32 v14, 24, v45 :: v_dual_lshlrev_b32 v20, 16, v44
	v_lshl_or_b32 v21, v43, 8, v42
	v_dual_lshlrev_b32 v10, 24, v10 :: v_dual_sub_nc_u32 v67, v67, v16
	v_or3_b32 v91, v96, v85, v84
	v_or3_b32 v85, v97, v98, v113
	;; [unrolled: 1-line block ×3, first 2 shown]
	v_lshl_or_b32 v96, v121, 8, v120
	v_dual_lshlrev_b32 v97, 16, v86 :: v_dual_lshlrev_b32 v98, 24, v87
	v_lshl_or_b32 v100, v109, 8, v108
	v_dual_lshlrev_b32 v102, 16, v110 :: v_dual_lshlrev_b32 v103, 24, v111
	v_or3_b32 v86, v11, v12, v13
	v_or3_b32 v87, v21, v20, v14
	v_lshl_or_b32 v11, v123, 8, v122
	v_dual_lshlrev_b32 v14, 16, v124 :: v_dual_lshlrev_b32 v20, 24, v125
	v_lshlrev_b32_e32 v3, 16, v3
	v_lshl_or_b32 v2, v2, 8, v126
	v_add_nc_u64_e32 v[12:13], v[52:53], v[80:81]
	v_add_nc_u64_e32 v[82:83], v[82:83], v[38:39]
	v_cmp_gt_i32_e32 vcc_lo, 1, v67
	v_add_nc_u64_e32 v[80:81], v[80:81], v[38:39]
	v_or3_b32 v101, v96, v97, v98
	v_or3_b32 v100, v100, v102, v103
	;; [unrolled: 1-line block ×4, first 2 shown]
	s_or_b32 s23, vcc_lo, s23
	s_clause 0x3
	global_store_b128 v[12:13], v[84:87], off th:TH_STORE_NT
	global_store_b128 v[12:13], v[88:91], off offset:512 th:TH_STORE_NT
	global_store_b128 v[12:13], v[58:61], off offset:1024 th:TH_STORE_NT
	;; [unrolled: 1-line block ×3, first 2 shown]
	s_wait_xcnt 0x0
	s_and_not1_b32 exec_lo, exec_lo, s23
	s_cbranch_execz .LBB4_9442
.LBB4_7930:                             ;   Parent Loop BB4_7855 Depth=1
                                        ; =>  This Inner Loop Header: Depth=2
	s_cmp_lt_i32 s24, 0x80
	s_cbranch_scc1 .LBB4_7934
; %bb.7931:                             ;   in Loop: Header=BB4_7930 Depth=2
	s_cmp_eq_u32 s25, 0x80
	s_mov_b32 s10, -1
	s_cbranch_scc0 .LBB4_7933
; %bb.7932:                             ;   in Loop: Header=BB4_7930 Depth=2
	s_mov_b32 s10, 0
.LBB4_7933:                             ;   in Loop: Header=BB4_7930 Depth=2
	s_brev_b32 s26, 1
	s_branch .LBB4_7936
.LBB4_7934:                             ;   in Loop: Header=BB4_7930 Depth=2
	s_mov_b32 s10, 0
	s_brev_b32 s26, 1
	s_cbranch_execz .LBB4_7936
; %bb.7935:                             ;   in Loop: Header=BB4_7930 Depth=2
	s_cmp_lg_u32 s25, 0
	s_mov_b32 s26, 0
	s_cselect_b32 s10, -1, 0
.LBB4_7936:                             ;   in Loop: Header=BB4_7930 Depth=2
	s_delay_alu instid0(SALU_CYCLE_1)
	s_and_not1_b32 vcc_lo, exec_lo, s10
	s_cbranch_vccnz .LBB4_7938
; %bb.7937:                             ;   in Loop: Header=BB4_7930 Depth=2
	s_mov_b32 s26, s22
.LBB4_7938:                             ;   in Loop: Header=BB4_7930 Depth=2
	v_add_nc_u64_e32 v[84:85], v[52:53], v[82:83]
	v_mov_b32_e32 v2, 0
	s_mov_b32 s10, exec_lo
	global_load_b128 v[10:13], v[84:85], off th:TH_LOAD_NT
	s_wait_loadcnt 0x0
	v_and_b32_e32 v3, 0xff, v10
	s_wait_xcnt 0x0
	s_delay_alu instid0(VALU_DEP_1)
	v_cmpx_ne_u16_e32 0, v3
	s_cbranch_execz .LBB4_7944
; %bb.7939:                             ;   in Loop: Header=BB4_7930 Depth=2
	v_bfrev_b32_e32 v2, 1
	s_mov_b32 s27, exec_lo
	v_cmpx_ne_u16_e32 0x80, v3
	s_cbranch_execz .LBB4_7943
; %bb.7940:                             ;   in Loop: Header=BB4_7930 Depth=2
	v_and_b32_e32 v3, 0x7f, v10
	v_mov_b32_e32 v2, 0x7f800001
	s_mov_b32 s28, exec_lo
	s_delay_alu instid0(VALU_DEP_2)
	v_cmpx_ne_u32_e32 0x7f, v3
	s_cbranch_execz .LBB4_7942
; %bb.7941:                             ;   in Loop: Header=BB4_7930 Depth=2
	v_dual_lshrrev_b32 v14, 3, v3 :: v_dual_bitop2_b32 v2, 7, v10 bitop3:0x40
	v_cmp_gt_u32_e32 vcc_lo, 8, v3
	s_delay_alu instid0(VALU_DEP_2) | instskip(NEXT) | instid1(VALU_DEP_1)
	v_clz_i32_u32_e32 v2, v2
	v_min_u32_e32 v2, 32, v2
	s_delay_alu instid0(VALU_DEP_1) | instskip(SKIP_1) | instid1(VALU_DEP_1)
	v_subrev_nc_u32_e32 v20, 28, v2
	v_sub_nc_u32_e32 v2, 29, v2
	v_dual_cndmask_b32 v14, v14, v2, vcc_lo :: v_dual_cndmask_b32 v2, 0, v20, vcc_lo
	s_delay_alu instid0(VALU_DEP_1) | instskip(NEXT) | instid1(VALU_DEP_2)
	v_lshl_add_u32 v14, v14, 23, 0x3c000000
	v_lshlrev_b64_e32 v[2:3], v2, v[10:11]
	v_lshlrev_b32_e32 v3, 24, v10
	s_delay_alu instid0(VALU_DEP_1) | instskip(NEXT) | instid1(VALU_DEP_3)
	v_and_b32_e32 v3, 0x80000000, v3
	v_lshlrev_b32_e32 v2, 20, v2
	s_delay_alu instid0(VALU_DEP_1) | instskip(NEXT) | instid1(VALU_DEP_1)
	v_and_b32_e32 v2, 0x700000, v2
	v_or3_b32 v2, v2, v3, v14
.LBB4_7942:                             ;   in Loop: Header=BB4_7930 Depth=2
	s_or_b32 exec_lo, exec_lo, s28
.LBB4_7943:                             ;   in Loop: Header=BB4_7930 Depth=2
	s_delay_alu instid0(SALU_CYCLE_1)
	s_or_b32 exec_lo, exec_lo, s27
.LBB4_7944:                             ;   in Loop: Header=BB4_7930 Depth=2
	s_delay_alu instid0(SALU_CYCLE_1) | instskip(NEXT) | instid1(VALU_DEP_1)
	s_or_b32 exec_lo, exec_lo, s10
	v_mul_f32_e32 v3, s26, v2
                                        ; implicit-def: $vgpr100
	s_mov_b32 s10, exec_lo
	s_delay_alu instid0(VALU_DEP_1) | instskip(SKIP_1) | instid1(VALU_DEP_2)
	v_and_b32_e32 v14, 0x7f800000, v3
	v_lshrrev_b32_e32 v2, 24, v3
	v_cmpx_ne_u64_e32 0x7f800000, v[14:15]
	s_xor_b32 s27, exec_lo, s10
	s_cbranch_execz .LBB4_7958
; %bb.7945:                             ;   in Loop: Header=BB4_7930 Depth=2
	v_and_b32_e32 v14, 0x7fffffff, v3
	v_and_b32_e32 v2, 0x80, v2
                                        ; implicit-def: $vgpr100
	s_mov_b32 s10, exec_lo
	s_delay_alu instid0(VALU_DEP_2)
	v_cmpx_gt_u64_e32 0x43e00001, v[14:15]
	s_xor_b32 s28, exec_lo, s10
	s_cbranch_execz .LBB4_7955
; %bb.7946:                             ;   in Loop: Header=BB4_7930 Depth=2
	v_mov_b32_e32 v100, 0
	s_mov_b32 s29, exec_lo
	v_cmpx_ne_u32_e32 0, v3
	s_cbranch_execz .LBB4_7954
; %bb.7947:                             ;   in Loop: Header=BB4_7930 Depth=2
	v_bfe_u32 v98, v3, 23, 8
	v_and_b32_e32 v3, 0x7fffff, v3
	s_delay_alu instid0(VALU_DEP_2) | instskip(SKIP_1) | instid1(VALU_DEP_3)
	v_sub_nc_u32_e32 v14, 0x79, v98
	v_cmp_gt_u32_e32 vcc_lo, 0x7a, v98
	v_or_b32_e32 v20, 0x800000, v3
	s_delay_alu instid0(VALU_DEP_3) | instskip(SKIP_1) | instid1(VALU_DEP_2)
	v_cndmask_b32_e32 v14, 0, v14, vcc_lo
	v_cmp_eq_u32_e32 vcc_lo, 0, v98
	v_cndmask_b32_e64 v100, v14, 0x78, vcc_lo
	s_delay_alu instid0(VALU_DEP_1) | instskip(NEXT) | instid1(VALU_DEP_1)
	v_dual_add_nc_u32 v14, 20, v100 :: v_dual_add_nc_u32 v21, 19, v100
	v_lshlrev_b64_e64 v[86:87], v14, -1
	v_cndmask_b32_e32 v14, v20, v3, vcc_lo
	s_delay_alu instid0(VALU_DEP_3) | instskip(NEXT) | instid1(VALU_DEP_3)
	v_lshlrev_b64_e64 v[96:97], v21, 1
	v_bfi_b32 v103, v87, 0, 0
	s_delay_alu instid0(VALU_DEP_3) | instskip(SKIP_1) | instid1(VALU_DEP_2)
	v_bfi_b32 v102, v86, 0, v14
	v_lshrrev_b64 v[86:87], v100, v[14:15]
	v_cmp_eq_u64_e64 s10, v[102:103], v[96:97]
	s_delay_alu instid0(VALU_DEP_2)
	v_mov_b64_e32 v[96:97], v[86:87]
	s_and_saveexec_b32 s40, s10
; %bb.7948:                             ;   in Loop: Header=BB4_7930 Depth=2
	v_bfe_u32 v14, v86, 20, 1
	s_delay_alu instid0(VALU_DEP_1) | instskip(NEXT) | instid1(VALU_DEP_1)
	v_add_nc_u64_e32 v[96:97], v[86:87], v[14:15]
	v_add_nc_u64_e32 v[96:97], -1, v[96:97]
; %bb.7949:                             ;   in Loop: Header=BB4_7930 Depth=2
	s_or_b32 exec_lo, exec_lo, s40
	v_add_nc_u32_e32 v3, 0xffffff81, v98
	v_lshrrev_b32_e32 v14, 23, v86
	s_mov_b32 s10, exec_lo
	s_delay_alu instid0(VALU_DEP_2) | instskip(NEXT) | instid1(VALU_DEP_1)
	v_cndmask_b32_e64 v3, v3, 0xffffff82, vcc_lo
	v_add3_u32 v97, v100, v3, v14
	v_and_b32_e32 v3, 0xfffff, v96
	s_delay_alu instid0(VALU_DEP_1) | instskip(NEXT) | instid1(VALU_DEP_1)
	v_dual_add_nc_u32 v96, 6, v97 :: v_dual_add_nc_u32 v14, v3, v86
                                        ; implicit-def: $vgpr86_vgpr87
                                        ; implicit-def: $vgpr3
	v_cmpx_ne_u32_e32 0, v96
	s_xor_b32 s10, exec_lo, s10
; %bb.7950:                             ;   in Loop: Header=BB4_7930 Depth=2
	s_delay_alu instid0(VALU_DEP_2) | instskip(SKIP_2) | instid1(VALU_DEP_2)
	v_cmp_lt_u64_e32 vcc_lo, 0xffffff, v[14:15]
	v_add_nc_u32_e32 v3, 7, v97
	v_cndmask_b32_e64 v20, 0, 1, vcc_lo
	v_cndmask_b32_e32 v3, v96, v3, vcc_lo
	s_delay_alu instid0(VALU_DEP_2)
	v_lshrrev_b64 v[86:87], v20, v[14:15]
; %bb.7951:                             ;   in Loop: Header=BB4_7930 Depth=2
	s_and_not1_saveexec_b32 s10, s10
; %bb.7952:                             ;   in Loop: Header=BB4_7930 Depth=2
	v_mov_b64_e32 v[86:87], v[14:15]
	v_bfe_u32 v3, v14, 23, 1
; %bb.7953:                             ;   in Loop: Header=BB4_7930 Depth=2
	s_or_b32 exec_lo, exec_lo, s10
	s_delay_alu instid0(VALU_DEP_2) | instskip(NEXT) | instid1(VALU_DEP_2)
	v_lshrrev_b64 v[86:87], 20, v[86:87]
	v_cmp_gt_i32_e32 vcc_lo, 16, v3
	v_min_i32_e32 v14, 15, v3
	v_cmp_eq_u32_e64 s10, 0, v3
	s_delay_alu instid0(VALU_DEP_4) | instskip(NEXT) | instid1(VALU_DEP_3)
	v_cndmask_b32_e32 v86, 7, v86, vcc_lo
	v_dual_cndmask_b32 v87, 0, v87 :: v_dual_lshlrev_b32 v14, 3, v14
	s_delay_alu instid0(VALU_DEP_1) | instskip(NEXT) | instid1(VALU_DEP_2)
	v_and_b32_e32 v14, 0xf8, v14
	v_cmp_eq_u64_e32 vcc_lo, 0, v[86:87]
	s_delay_alu instid0(VALU_DEP_2)
	v_and_or_b32 v3, v86, 7, v14
	s_and_b32 s10, s10, vcc_lo
	s_delay_alu instid0(VALU_DEP_1) | instid1(SALU_CYCLE_1)
	v_cndmask_b32_e64 v3, v3, 0, s10
	s_delay_alu instid0(VALU_DEP_1)
	v_or_b32_e32 v100, v3, v2
.LBB4_7954:                             ;   in Loop: Header=BB4_7930 Depth=2
	s_or_b32 exec_lo, exec_lo, s29
                                        ; implicit-def: $vgpr2
.LBB4_7955:                             ;   in Loop: Header=BB4_7930 Depth=2
	s_and_not1_saveexec_b32 s10, s28
; %bb.7956:                             ;   in Loop: Header=BB4_7930 Depth=2
	v_or_b32_e32 v100, 0x7e, v2
; %bb.7957:                             ;   in Loop: Header=BB4_7930 Depth=2
	s_or_b32 exec_lo, exec_lo, s10
                                        ; implicit-def: $vgpr2
.LBB4_7958:                             ;   in Loop: Header=BB4_7930 Depth=2
	s_and_not1_saveexec_b32 s10, s27
; %bb.7959:                             ;   in Loop: Header=BB4_7930 Depth=2
	v_or_b32_e32 v100, 0x7f, v2
; %bb.7960:                             ;   in Loop: Header=BB4_7930 Depth=2
	s_or_b32 exec_lo, exec_lo, s10
	v_lshrrev_b16 v3, 8, v10
	v_mov_b32_e32 v2, 0
	s_mov_b32 s10, exec_lo
	s_delay_alu instid0(VALU_DEP_2)
	v_cmpx_ne_u16_e32 0, v3
	s_cbranch_execz .LBB4_7968
; %bb.7961:                             ;   in Loop: Header=BB4_7930 Depth=2
	v_bfrev_b32_e32 v2, 1
	s_mov_b32 s27, exec_lo
	v_cmpx_ne_u16_e32 0x80, v3
	s_cbranch_execz .LBB4_7967
; %bb.7962:                             ;   in Loop: Header=BB4_7930 Depth=2
	v_and_b32_e32 v14, 0xffff, v3
	v_mov_b32_e32 v2, 0x7f800001
	s_mov_b32 s28, exec_lo
	s_delay_alu instid0(VALU_DEP_2) | instskip(NEXT) | instid1(VALU_DEP_1)
	v_and_b32_e32 v3, 0x7f, v14
	v_cmpx_ne_u32_e32 0x7f, v3
	s_cbranch_execz .LBB4_7966
; %bb.7963:                             ;   in Loop: Header=BB4_7930 Depth=2
	v_dual_lshrrev_b32 v2, 3, v3 :: v_dual_bitop2_b32 v14, 7, v14 bitop3:0x40
	s_mov_b32 s29, exec_lo
	v_cmpx_gt_u32_e32 8, v3
; %bb.7964:                             ;   in Loop: Header=BB4_7930 Depth=2
	s_delay_alu instid0(VALU_DEP_2) | instskip(NEXT) | instid1(VALU_DEP_1)
	v_clz_i32_u32_e32 v2, v14
	v_min_u32_e32 v2, 32, v2
	s_delay_alu instid0(VALU_DEP_1) | instskip(SKIP_1) | instid1(VALU_DEP_2)
	v_subrev_nc_u32_e32 v3, 28, v2
	v_sub_nc_u32_e32 v2, 29, v2
	v_lshlrev_b64_e32 v[86:87], v3, v[14:15]
	s_delay_alu instid0(VALU_DEP_1)
	v_and_b32_e32 v14, 7, v86
; %bb.7965:                             ;   in Loop: Header=BB4_7930 Depth=2
	s_or_b32 exec_lo, exec_lo, s29
	v_lshlrev_b32_e32 v3, 16, v10
	s_delay_alu instid0(VALU_DEP_2) | instskip(SKIP_1) | instid1(VALU_DEP_3)
	v_lshlrev_b32_e32 v14, 20, v14
	v_lshl_add_u32 v2, v2, 23, 0x3c000000
	v_and_b32_e32 v3, 0x80000000, v3
	s_delay_alu instid0(VALU_DEP_1)
	v_or3_b32 v2, v14, v3, v2
.LBB4_7966:                             ;   in Loop: Header=BB4_7930 Depth=2
	s_or_b32 exec_lo, exec_lo, s28
.LBB4_7967:                             ;   in Loop: Header=BB4_7930 Depth=2
	s_delay_alu instid0(SALU_CYCLE_1)
	s_or_b32 exec_lo, exec_lo, s27
.LBB4_7968:                             ;   in Loop: Header=BB4_7930 Depth=2
	s_delay_alu instid0(SALU_CYCLE_1) | instskip(NEXT) | instid1(VALU_DEP_1)
	s_or_b32 exec_lo, exec_lo, s10
	v_mul_f32_e32 v3, s26, v2
                                        ; implicit-def: $vgpr101
	s_mov_b32 s10, exec_lo
	s_delay_alu instid0(VALU_DEP_1) | instskip(SKIP_1) | instid1(VALU_DEP_2)
	v_and_b32_e32 v14, 0x7f800000, v3
	v_lshrrev_b32_e32 v2, 24, v3
	v_cmpx_ne_u64_e32 0x7f800000, v[14:15]
	s_xor_b32 s27, exec_lo, s10
	s_cbranch_execz .LBB4_7982
; %bb.7969:                             ;   in Loop: Header=BB4_7930 Depth=2
	v_and_b32_e32 v14, 0x7fffffff, v3
	v_and_b32_e32 v2, 0x80, v2
                                        ; implicit-def: $vgpr101
	s_mov_b32 s10, exec_lo
	s_delay_alu instid0(VALU_DEP_2)
	v_cmpx_gt_u64_e32 0x43e00001, v[14:15]
	s_xor_b32 s28, exec_lo, s10
	s_cbranch_execz .LBB4_7979
; %bb.7970:                             ;   in Loop: Header=BB4_7930 Depth=2
	v_mov_b32_e32 v101, 0
	s_mov_b32 s29, exec_lo
	v_cmpx_ne_u32_e32 0, v3
	s_cbranch_execz .LBB4_7978
; %bb.7971:                             ;   in Loop: Header=BB4_7930 Depth=2
	v_bfe_u32 v98, v3, 23, 8
	v_and_b32_e32 v3, 0x7fffff, v3
	s_delay_alu instid0(VALU_DEP_2) | instskip(SKIP_1) | instid1(VALU_DEP_3)
	v_sub_nc_u32_e32 v14, 0x79, v98
	v_cmp_gt_u32_e32 vcc_lo, 0x7a, v98
	v_or_b32_e32 v20, 0x800000, v3
	s_delay_alu instid0(VALU_DEP_3) | instskip(SKIP_1) | instid1(VALU_DEP_2)
	v_cndmask_b32_e32 v14, 0, v14, vcc_lo
	v_cmp_eq_u32_e32 vcc_lo, 0, v98
	v_cndmask_b32_e64 v101, v14, 0x78, vcc_lo
	s_delay_alu instid0(VALU_DEP_1) | instskip(NEXT) | instid1(VALU_DEP_1)
	v_dual_add_nc_u32 v14, 20, v101 :: v_dual_add_nc_u32 v21, 19, v101
	v_lshlrev_b64_e64 v[86:87], v14, -1
	v_cndmask_b32_e32 v14, v20, v3, vcc_lo
	s_delay_alu instid0(VALU_DEP_3) | instskip(NEXT) | instid1(VALU_DEP_3)
	v_lshlrev_b64_e64 v[96:97], v21, 1
	v_bfi_b32 v103, v87, 0, 0
	s_delay_alu instid0(VALU_DEP_3) | instskip(SKIP_1) | instid1(VALU_DEP_2)
	v_bfi_b32 v102, v86, 0, v14
	v_lshrrev_b64 v[86:87], v101, v[14:15]
	v_cmp_eq_u64_e64 s10, v[102:103], v[96:97]
	s_delay_alu instid0(VALU_DEP_2)
	v_mov_b64_e32 v[96:97], v[86:87]
	s_and_saveexec_b32 s40, s10
; %bb.7972:                             ;   in Loop: Header=BB4_7930 Depth=2
	v_bfe_u32 v14, v86, 20, 1
	s_delay_alu instid0(VALU_DEP_1) | instskip(NEXT) | instid1(VALU_DEP_1)
	v_add_nc_u64_e32 v[96:97], v[86:87], v[14:15]
	v_add_nc_u64_e32 v[96:97], -1, v[96:97]
; %bb.7973:                             ;   in Loop: Header=BB4_7930 Depth=2
	s_or_b32 exec_lo, exec_lo, s40
	v_add_nc_u32_e32 v3, 0xffffff81, v98
	v_lshrrev_b32_e32 v14, 23, v86
	s_mov_b32 s10, exec_lo
	s_delay_alu instid0(VALU_DEP_2) | instskip(NEXT) | instid1(VALU_DEP_1)
	v_cndmask_b32_e64 v3, v3, 0xffffff82, vcc_lo
	v_add3_u32 v97, v101, v3, v14
	v_and_b32_e32 v3, 0xfffff, v96
	s_delay_alu instid0(VALU_DEP_1) | instskip(NEXT) | instid1(VALU_DEP_1)
	v_dual_add_nc_u32 v96, 6, v97 :: v_dual_add_nc_u32 v14, v3, v86
                                        ; implicit-def: $vgpr86_vgpr87
                                        ; implicit-def: $vgpr3
	v_cmpx_ne_u32_e32 0, v96
	s_xor_b32 s10, exec_lo, s10
; %bb.7974:                             ;   in Loop: Header=BB4_7930 Depth=2
	s_delay_alu instid0(VALU_DEP_2) | instskip(SKIP_2) | instid1(VALU_DEP_2)
	v_cmp_lt_u64_e32 vcc_lo, 0xffffff, v[14:15]
	v_add_nc_u32_e32 v3, 7, v97
	v_cndmask_b32_e64 v20, 0, 1, vcc_lo
	v_cndmask_b32_e32 v3, v96, v3, vcc_lo
	s_delay_alu instid0(VALU_DEP_2)
	v_lshrrev_b64 v[86:87], v20, v[14:15]
; %bb.7975:                             ;   in Loop: Header=BB4_7930 Depth=2
	s_and_not1_saveexec_b32 s10, s10
; %bb.7976:                             ;   in Loop: Header=BB4_7930 Depth=2
	v_mov_b64_e32 v[86:87], v[14:15]
	v_bfe_u32 v3, v14, 23, 1
; %bb.7977:                             ;   in Loop: Header=BB4_7930 Depth=2
	s_or_b32 exec_lo, exec_lo, s10
	s_delay_alu instid0(VALU_DEP_2) | instskip(NEXT) | instid1(VALU_DEP_2)
	v_lshrrev_b64 v[86:87], 20, v[86:87]
	v_cmp_gt_i32_e32 vcc_lo, 16, v3
	v_min_i32_e32 v14, 15, v3
	v_cmp_eq_u32_e64 s10, 0, v3
	s_delay_alu instid0(VALU_DEP_4) | instskip(NEXT) | instid1(VALU_DEP_3)
	v_cndmask_b32_e32 v86, 7, v86, vcc_lo
	v_dual_cndmask_b32 v87, 0, v87 :: v_dual_lshlrev_b32 v14, 3, v14
	s_delay_alu instid0(VALU_DEP_1) | instskip(NEXT) | instid1(VALU_DEP_2)
	v_and_b32_e32 v14, 0xf8, v14
	v_cmp_eq_u64_e32 vcc_lo, 0, v[86:87]
	s_delay_alu instid0(VALU_DEP_2)
	v_and_or_b32 v3, v86, 7, v14
	s_and_b32 s10, s10, vcc_lo
	s_delay_alu instid0(VALU_DEP_1) | instid1(SALU_CYCLE_1)
	v_cndmask_b32_e64 v3, v3, 0, s10
	s_delay_alu instid0(VALU_DEP_1)
	v_or_b32_e32 v101, v3, v2
.LBB4_7978:                             ;   in Loop: Header=BB4_7930 Depth=2
	s_or_b32 exec_lo, exec_lo, s29
                                        ; implicit-def: $vgpr2
.LBB4_7979:                             ;   in Loop: Header=BB4_7930 Depth=2
	s_and_not1_saveexec_b32 s10, s28
; %bb.7980:                             ;   in Loop: Header=BB4_7930 Depth=2
	v_or_b32_e32 v101, 0x7e, v2
; %bb.7981:                             ;   in Loop: Header=BB4_7930 Depth=2
	s_or_b32 exec_lo, exec_lo, s10
                                        ; implicit-def: $vgpr2
.LBB4_7982:                             ;   in Loop: Header=BB4_7930 Depth=2
	s_and_not1_saveexec_b32 s10, s27
; %bb.7983:                             ;   in Loop: Header=BB4_7930 Depth=2
	v_or_b32_e32 v101, 0x7f, v2
; %bb.7984:                             ;   in Loop: Header=BB4_7930 Depth=2
	s_or_b32 exec_lo, exec_lo, s10
	v_dual_mov_b32 v3, 0 :: v_dual_lshrrev_b32 v2, 16, v10
	s_mov_b32 s10, exec_lo
	s_delay_alu instid0(VALU_DEP_1) | instskip(NEXT) | instid1(VALU_DEP_1)
	v_and_b32_e32 v14, 0xff, v2
	v_cmpx_ne_u16_e32 0, v14
	s_cbranch_execz .LBB4_7992
; %bb.7985:                             ;   in Loop: Header=BB4_7930 Depth=2
	v_bfrev_b32_e32 v3, 1
	s_mov_b32 s27, exec_lo
	v_cmpx_ne_u16_e32 0x80, v14
	s_cbranch_execz .LBB4_7991
; %bb.7986:                             ;   in Loop: Header=BB4_7930 Depth=2
	v_bfe_u32 v86, v10, 16, 7
	v_mov_b32_e32 v3, 0x7f800001
	s_mov_b32 s28, exec_lo
	s_delay_alu instid0(VALU_DEP_2)
	v_cmpx_ne_u32_e32 0x7f, v86
	s_cbranch_execz .LBB4_7990
; %bb.7987:                             ;   in Loop: Header=BB4_7930 Depth=2
	v_and_b32_e32 v14, 7, v2
	v_lshrrev_b32_e32 v3, 3, v86
	s_mov_b32 s29, exec_lo
	v_cmpx_gt_u32_e32 8, v86
; %bb.7988:                             ;   in Loop: Header=BB4_7930 Depth=2
	s_delay_alu instid0(VALU_DEP_3) | instskip(NEXT) | instid1(VALU_DEP_1)
	v_clz_i32_u32_e32 v3, v14
	v_min_u32_e32 v3, 32, v3
	s_delay_alu instid0(VALU_DEP_1) | instskip(NEXT) | instid1(VALU_DEP_1)
	v_subrev_nc_u32_e32 v20, 28, v3
	v_lshlrev_b64_e32 v[86:87], v20, v[14:15]
	s_delay_alu instid0(VALU_DEP_1)
	v_dual_sub_nc_u32 v3, 29, v3 :: v_dual_bitop2_b32 v14, 7, v86 bitop3:0x40
; %bb.7989:                             ;   in Loop: Header=BB4_7930 Depth=2
	s_or_b32 exec_lo, exec_lo, s29
	v_lshlrev_b32_e32 v2, 24, v2
	s_delay_alu instid0(VALU_DEP_2) | instskip(NEXT) | instid1(VALU_DEP_3)
	v_lshlrev_b32_e32 v14, 20, v14
	v_lshl_add_u32 v3, v3, 23, 0x3c000000
	s_delay_alu instid0(VALU_DEP_3) | instskip(NEXT) | instid1(VALU_DEP_1)
	v_and_b32_e32 v2, 0x80000000, v2
	v_or3_b32 v3, v14, v2, v3
.LBB4_7990:                             ;   in Loop: Header=BB4_7930 Depth=2
	s_or_b32 exec_lo, exec_lo, s28
.LBB4_7991:                             ;   in Loop: Header=BB4_7930 Depth=2
	s_delay_alu instid0(SALU_CYCLE_1)
	s_or_b32 exec_lo, exec_lo, s27
.LBB4_7992:                             ;   in Loop: Header=BB4_7930 Depth=2
	s_delay_alu instid0(SALU_CYCLE_1) | instskip(NEXT) | instid1(VALU_DEP_1)
	s_or_b32 exec_lo, exec_lo, s10
	v_mul_f32_e32 v3, s26, v3
                                        ; implicit-def: $vgpr102
	s_mov_b32 s10, exec_lo
	s_delay_alu instid0(VALU_DEP_1) | instskip(SKIP_1) | instid1(VALU_DEP_2)
	v_and_b32_e32 v14, 0x7f800000, v3
	v_lshrrev_b32_e32 v2, 24, v3
	v_cmpx_ne_u64_e32 0x7f800000, v[14:15]
	s_xor_b32 s27, exec_lo, s10
	s_cbranch_execz .LBB4_8006
; %bb.7993:                             ;   in Loop: Header=BB4_7930 Depth=2
	v_and_b32_e32 v14, 0x7fffffff, v3
	v_and_b32_e32 v2, 0x80, v2
                                        ; implicit-def: $vgpr102
	s_mov_b32 s10, exec_lo
	s_delay_alu instid0(VALU_DEP_2)
	v_cmpx_gt_u64_e32 0x43e00001, v[14:15]
	s_xor_b32 s28, exec_lo, s10
	s_cbranch_execz .LBB4_8003
; %bb.7994:                             ;   in Loop: Header=BB4_7930 Depth=2
	v_mov_b32_e32 v102, 0
	s_mov_b32 s29, exec_lo
	v_cmpx_ne_u32_e32 0, v3
	s_cbranch_execz .LBB4_8002
; %bb.7995:                             ;   in Loop: Header=BB4_7930 Depth=2
	v_bfe_u32 v98, v3, 23, 8
	v_and_b32_e32 v3, 0x7fffff, v3
	s_delay_alu instid0(VALU_DEP_2) | instskip(SKIP_1) | instid1(VALU_DEP_3)
	v_sub_nc_u32_e32 v14, 0x79, v98
	v_cmp_gt_u32_e32 vcc_lo, 0x7a, v98
	v_or_b32_e32 v20, 0x800000, v3
	s_delay_alu instid0(VALU_DEP_3) | instskip(SKIP_1) | instid1(VALU_DEP_2)
	v_cndmask_b32_e32 v14, 0, v14, vcc_lo
	v_cmp_eq_u32_e32 vcc_lo, 0, v98
	v_cndmask_b32_e64 v102, v14, 0x78, vcc_lo
	s_delay_alu instid0(VALU_DEP_1) | instskip(NEXT) | instid1(VALU_DEP_1)
	v_dual_add_nc_u32 v14, 20, v102 :: v_dual_add_nc_u32 v21, 19, v102
	v_lshlrev_b64_e64 v[86:87], v14, -1
	v_cndmask_b32_e32 v14, v20, v3, vcc_lo
	s_delay_alu instid0(VALU_DEP_3) | instskip(NEXT) | instid1(VALU_DEP_3)
	v_lshlrev_b64_e64 v[96:97], v21, 1
	v_bfi_b32 v115, v87, 0, 0
	s_delay_alu instid0(VALU_DEP_3) | instskip(SKIP_1) | instid1(VALU_DEP_2)
	v_bfi_b32 v114, v86, 0, v14
	v_lshrrev_b64 v[86:87], v102, v[14:15]
	v_cmp_eq_u64_e64 s10, v[114:115], v[96:97]
	s_delay_alu instid0(VALU_DEP_2)
	v_mov_b64_e32 v[96:97], v[86:87]
	s_and_saveexec_b32 s40, s10
; %bb.7996:                             ;   in Loop: Header=BB4_7930 Depth=2
	v_bfe_u32 v14, v86, 20, 1
	s_delay_alu instid0(VALU_DEP_1) | instskip(NEXT) | instid1(VALU_DEP_1)
	v_add_nc_u64_e32 v[96:97], v[86:87], v[14:15]
	v_add_nc_u64_e32 v[96:97], -1, v[96:97]
; %bb.7997:                             ;   in Loop: Header=BB4_7930 Depth=2
	s_or_b32 exec_lo, exec_lo, s40
	v_add_nc_u32_e32 v3, 0xffffff81, v98
	v_lshrrev_b32_e32 v14, 23, v86
	s_mov_b32 s10, exec_lo
	s_delay_alu instid0(VALU_DEP_2) | instskip(NEXT) | instid1(VALU_DEP_1)
	v_cndmask_b32_e64 v3, v3, 0xffffff82, vcc_lo
	v_add3_u32 v97, v102, v3, v14
	v_and_b32_e32 v3, 0xfffff, v96
	s_delay_alu instid0(VALU_DEP_1) | instskip(NEXT) | instid1(VALU_DEP_1)
	v_dual_add_nc_u32 v96, 6, v97 :: v_dual_add_nc_u32 v14, v3, v86
                                        ; implicit-def: $vgpr86_vgpr87
                                        ; implicit-def: $vgpr3
	v_cmpx_ne_u32_e32 0, v96
	s_xor_b32 s10, exec_lo, s10
; %bb.7998:                             ;   in Loop: Header=BB4_7930 Depth=2
	s_delay_alu instid0(VALU_DEP_2) | instskip(SKIP_2) | instid1(VALU_DEP_2)
	v_cmp_lt_u64_e32 vcc_lo, 0xffffff, v[14:15]
	v_add_nc_u32_e32 v3, 7, v97
	v_cndmask_b32_e64 v20, 0, 1, vcc_lo
	v_cndmask_b32_e32 v3, v96, v3, vcc_lo
	s_delay_alu instid0(VALU_DEP_2)
	v_lshrrev_b64 v[86:87], v20, v[14:15]
; %bb.7999:                             ;   in Loop: Header=BB4_7930 Depth=2
	s_and_not1_saveexec_b32 s10, s10
; %bb.8000:                             ;   in Loop: Header=BB4_7930 Depth=2
	v_mov_b64_e32 v[86:87], v[14:15]
	v_bfe_u32 v3, v14, 23, 1
; %bb.8001:                             ;   in Loop: Header=BB4_7930 Depth=2
	s_or_b32 exec_lo, exec_lo, s10
	s_delay_alu instid0(VALU_DEP_2) | instskip(NEXT) | instid1(VALU_DEP_2)
	v_lshrrev_b64 v[86:87], 20, v[86:87]
	v_cmp_gt_i32_e32 vcc_lo, 16, v3
	v_min_i32_e32 v14, 15, v3
	v_cmp_eq_u32_e64 s10, 0, v3
	s_delay_alu instid0(VALU_DEP_4) | instskip(NEXT) | instid1(VALU_DEP_3)
	v_cndmask_b32_e32 v86, 7, v86, vcc_lo
	v_dual_cndmask_b32 v87, 0, v87 :: v_dual_lshlrev_b32 v14, 3, v14
	s_delay_alu instid0(VALU_DEP_1) | instskip(NEXT) | instid1(VALU_DEP_2)
	v_and_b32_e32 v14, 0xf8, v14
	v_cmp_eq_u64_e32 vcc_lo, 0, v[86:87]
	s_delay_alu instid0(VALU_DEP_2)
	v_and_or_b32 v3, v86, 7, v14
	s_and_b32 s10, s10, vcc_lo
	s_delay_alu instid0(VALU_DEP_1) | instid1(SALU_CYCLE_1)
	v_cndmask_b32_e64 v3, v3, 0, s10
	s_delay_alu instid0(VALU_DEP_1)
	v_or_b32_e32 v102, v3, v2
.LBB4_8002:                             ;   in Loop: Header=BB4_7930 Depth=2
	s_or_b32 exec_lo, exec_lo, s29
                                        ; implicit-def: $vgpr2
.LBB4_8003:                             ;   in Loop: Header=BB4_7930 Depth=2
	s_and_not1_saveexec_b32 s10, s28
; %bb.8004:                             ;   in Loop: Header=BB4_7930 Depth=2
	v_or_b32_e32 v102, 0x7e, v2
; %bb.8005:                             ;   in Loop: Header=BB4_7930 Depth=2
	s_or_b32 exec_lo, exec_lo, s10
                                        ; implicit-def: $vgpr2
.LBB4_8006:                             ;   in Loop: Header=BB4_7930 Depth=2
	s_and_not1_saveexec_b32 s10, s27
; %bb.8007:                             ;   in Loop: Header=BB4_7930 Depth=2
	v_or_b32_e32 v102, 0x7f, v2
; %bb.8008:                             ;   in Loop: Header=BB4_7930 Depth=2
	s_or_b32 exec_lo, exec_lo, s10
	v_mov_b32_e32 v3, 0
	s_mov_b32 s10, exec_lo
	v_cmpx_lt_u32_e32 0xffffff, v10
	s_cbranch_execz .LBB4_8016
; %bb.8009:                             ;   in Loop: Header=BB4_7930 Depth=2
	v_lshrrev_b32_e32 v2, 24, v10
	v_bfrev_b32_e32 v3, 1
	s_mov_b32 s27, exec_lo
	s_delay_alu instid0(VALU_DEP_2)
	v_cmpx_ne_u32_e32 0x80, v2
	s_cbranch_execz .LBB4_8015
; %bb.8010:                             ;   in Loop: Header=BB4_7930 Depth=2
	v_bfe_u32 v86, v10, 24, 7
	v_mov_b32_e32 v3, 0x7f800001
	s_mov_b32 s28, exec_lo
	s_delay_alu instid0(VALU_DEP_2)
	v_cmpx_ne_u32_e32 0x7f, v86
	s_cbranch_execz .LBB4_8014
; %bb.8011:                             ;   in Loop: Header=BB4_7930 Depth=2
	v_and_b32_e32 v14, 7, v2
	v_lshrrev_b32_e32 v3, 3, v86
	s_mov_b32 s29, exec_lo
	v_cmpx_gt_u32_e32 8, v86
; %bb.8012:                             ;   in Loop: Header=BB4_7930 Depth=2
	s_delay_alu instid0(VALU_DEP_3) | instskip(NEXT) | instid1(VALU_DEP_1)
	v_clz_i32_u32_e32 v3, v14
	v_min_u32_e32 v3, 32, v3
	s_delay_alu instid0(VALU_DEP_1) | instskip(NEXT) | instid1(VALU_DEP_1)
	v_subrev_nc_u32_e32 v20, 28, v3
	v_lshlrev_b64_e32 v[86:87], v20, v[14:15]
	s_delay_alu instid0(VALU_DEP_1)
	v_dual_sub_nc_u32 v3, 29, v3 :: v_dual_bitop2_b32 v14, 7, v86 bitop3:0x40
; %bb.8013:                             ;   in Loop: Header=BB4_7930 Depth=2
	s_or_b32 exec_lo, exec_lo, s29
	v_lshlrev_b32_e32 v2, 24, v2
	s_delay_alu instid0(VALU_DEP_2) | instskip(NEXT) | instid1(VALU_DEP_3)
	v_lshlrev_b32_e32 v14, 20, v14
	v_lshl_add_u32 v3, v3, 23, 0x3c000000
	s_delay_alu instid0(VALU_DEP_3) | instskip(NEXT) | instid1(VALU_DEP_1)
	v_and_b32_e32 v2, 0x80000000, v2
	v_or3_b32 v3, v14, v2, v3
.LBB4_8014:                             ;   in Loop: Header=BB4_7930 Depth=2
	s_or_b32 exec_lo, exec_lo, s28
.LBB4_8015:                             ;   in Loop: Header=BB4_7930 Depth=2
	s_delay_alu instid0(SALU_CYCLE_1)
	s_or_b32 exec_lo, exec_lo, s27
.LBB4_8016:                             ;   in Loop: Header=BB4_7930 Depth=2
	s_delay_alu instid0(SALU_CYCLE_1) | instskip(NEXT) | instid1(VALU_DEP_1)
	s_or_b32 exec_lo, exec_lo, s10
	v_mul_f32_e32 v3, s26, v3
                                        ; implicit-def: $vgpr103
	s_mov_b32 s10, exec_lo
	s_delay_alu instid0(VALU_DEP_1) | instskip(SKIP_1) | instid1(VALU_DEP_2)
	v_and_b32_e32 v14, 0x7f800000, v3
	v_lshrrev_b32_e32 v2, 24, v3
	v_cmpx_ne_u64_e32 0x7f800000, v[14:15]
	s_xor_b32 s27, exec_lo, s10
	s_cbranch_execz .LBB4_8030
; %bb.8017:                             ;   in Loop: Header=BB4_7930 Depth=2
	v_and_b32_e32 v14, 0x7fffffff, v3
	v_and_b32_e32 v2, 0x80, v2
                                        ; implicit-def: $vgpr103
	s_mov_b32 s10, exec_lo
	s_delay_alu instid0(VALU_DEP_2)
	v_cmpx_gt_u64_e32 0x43e00001, v[14:15]
	s_xor_b32 s28, exec_lo, s10
	s_cbranch_execz .LBB4_8027
; %bb.8018:                             ;   in Loop: Header=BB4_7930 Depth=2
	v_mov_b32_e32 v103, 0
	s_mov_b32 s29, exec_lo
	v_cmpx_ne_u32_e32 0, v3
	s_cbranch_execz .LBB4_8026
; %bb.8019:                             ;   in Loop: Header=BB4_7930 Depth=2
	v_bfe_u32 v98, v3, 23, 8
	v_and_b32_e32 v3, 0x7fffff, v3
	s_delay_alu instid0(VALU_DEP_2) | instskip(SKIP_1) | instid1(VALU_DEP_3)
	v_sub_nc_u32_e32 v14, 0x79, v98
	v_cmp_gt_u32_e32 vcc_lo, 0x7a, v98
	v_or_b32_e32 v20, 0x800000, v3
	s_delay_alu instid0(VALU_DEP_3) | instskip(SKIP_1) | instid1(VALU_DEP_2)
	v_cndmask_b32_e32 v14, 0, v14, vcc_lo
	v_cmp_eq_u32_e32 vcc_lo, 0, v98
	v_cndmask_b32_e64 v103, v14, 0x78, vcc_lo
	s_delay_alu instid0(VALU_DEP_1) | instskip(NEXT) | instid1(VALU_DEP_1)
	v_dual_add_nc_u32 v14, 20, v103 :: v_dual_add_nc_u32 v21, 19, v103
	v_lshlrev_b64_e64 v[86:87], v14, -1
	v_cndmask_b32_e32 v14, v20, v3, vcc_lo
	s_delay_alu instid0(VALU_DEP_3) | instskip(NEXT) | instid1(VALU_DEP_3)
	v_lshlrev_b64_e64 v[96:97], v21, 1
	v_bfi_b32 v115, v87, 0, 0
	s_delay_alu instid0(VALU_DEP_3) | instskip(SKIP_1) | instid1(VALU_DEP_2)
	v_bfi_b32 v114, v86, 0, v14
	v_lshrrev_b64 v[86:87], v103, v[14:15]
	v_cmp_eq_u64_e64 s10, v[114:115], v[96:97]
	s_delay_alu instid0(VALU_DEP_2)
	v_mov_b64_e32 v[96:97], v[86:87]
	s_and_saveexec_b32 s40, s10
; %bb.8020:                             ;   in Loop: Header=BB4_7930 Depth=2
	v_bfe_u32 v14, v86, 20, 1
	s_delay_alu instid0(VALU_DEP_1) | instskip(NEXT) | instid1(VALU_DEP_1)
	v_add_nc_u64_e32 v[96:97], v[86:87], v[14:15]
	v_add_nc_u64_e32 v[96:97], -1, v[96:97]
; %bb.8021:                             ;   in Loop: Header=BB4_7930 Depth=2
	s_or_b32 exec_lo, exec_lo, s40
	v_add_nc_u32_e32 v3, 0xffffff81, v98
	v_lshrrev_b32_e32 v14, 23, v86
	s_mov_b32 s10, exec_lo
	s_delay_alu instid0(VALU_DEP_2) | instskip(NEXT) | instid1(VALU_DEP_1)
	v_cndmask_b32_e64 v3, v3, 0xffffff82, vcc_lo
	v_add3_u32 v97, v103, v3, v14
	v_and_b32_e32 v3, 0xfffff, v96
	s_delay_alu instid0(VALU_DEP_1) | instskip(NEXT) | instid1(VALU_DEP_1)
	v_dual_add_nc_u32 v96, 6, v97 :: v_dual_add_nc_u32 v14, v3, v86
                                        ; implicit-def: $vgpr86_vgpr87
                                        ; implicit-def: $vgpr3
	v_cmpx_ne_u32_e32 0, v96
	s_xor_b32 s10, exec_lo, s10
; %bb.8022:                             ;   in Loop: Header=BB4_7930 Depth=2
	s_delay_alu instid0(VALU_DEP_2) | instskip(SKIP_2) | instid1(VALU_DEP_2)
	v_cmp_lt_u64_e32 vcc_lo, 0xffffff, v[14:15]
	v_add_nc_u32_e32 v3, 7, v97
	v_cndmask_b32_e64 v20, 0, 1, vcc_lo
	v_cndmask_b32_e32 v3, v96, v3, vcc_lo
	s_delay_alu instid0(VALU_DEP_2)
	v_lshrrev_b64 v[86:87], v20, v[14:15]
; %bb.8023:                             ;   in Loop: Header=BB4_7930 Depth=2
	s_and_not1_saveexec_b32 s10, s10
; %bb.8024:                             ;   in Loop: Header=BB4_7930 Depth=2
	v_mov_b64_e32 v[86:87], v[14:15]
	v_bfe_u32 v3, v14, 23, 1
; %bb.8025:                             ;   in Loop: Header=BB4_7930 Depth=2
	s_or_b32 exec_lo, exec_lo, s10
	s_delay_alu instid0(VALU_DEP_2) | instskip(NEXT) | instid1(VALU_DEP_2)
	v_lshrrev_b64 v[86:87], 20, v[86:87]
	v_cmp_gt_i32_e32 vcc_lo, 16, v3
	v_min_i32_e32 v14, 15, v3
	v_cmp_eq_u32_e64 s10, 0, v3
	s_delay_alu instid0(VALU_DEP_4) | instskip(NEXT) | instid1(VALU_DEP_3)
	v_cndmask_b32_e32 v86, 7, v86, vcc_lo
	v_dual_cndmask_b32 v87, 0, v87 :: v_dual_lshlrev_b32 v14, 3, v14
	s_delay_alu instid0(VALU_DEP_1) | instskip(NEXT) | instid1(VALU_DEP_2)
	v_and_b32_e32 v14, 0xf8, v14
	v_cmp_eq_u64_e32 vcc_lo, 0, v[86:87]
	s_delay_alu instid0(VALU_DEP_2)
	v_and_or_b32 v3, v86, 7, v14
	s_and_b32 s10, s10, vcc_lo
	s_delay_alu instid0(VALU_DEP_1) | instid1(SALU_CYCLE_1)
	v_cndmask_b32_e64 v3, v3, 0, s10
	s_delay_alu instid0(VALU_DEP_1)
	v_or_b32_e32 v103, v3, v2
.LBB4_8026:                             ;   in Loop: Header=BB4_7930 Depth=2
	s_or_b32 exec_lo, exec_lo, s29
                                        ; implicit-def: $vgpr2
.LBB4_8027:                             ;   in Loop: Header=BB4_7930 Depth=2
	s_and_not1_saveexec_b32 s10, s28
; %bb.8028:                             ;   in Loop: Header=BB4_7930 Depth=2
	v_or_b32_e32 v103, 0x7e, v2
; %bb.8029:                             ;   in Loop: Header=BB4_7930 Depth=2
	s_or_b32 exec_lo, exec_lo, s10
                                        ; implicit-def: $vgpr2
.LBB4_8030:                             ;   in Loop: Header=BB4_7930 Depth=2
	s_and_not1_saveexec_b32 s10, s27
; %bb.8031:                             ;   in Loop: Header=BB4_7930 Depth=2
	v_or_b32_e32 v103, 0x7f, v2
; %bb.8032:                             ;   in Loop: Header=BB4_7930 Depth=2
	s_or_b32 exec_lo, exec_lo, s10
	v_and_b32_e32 v3, 0xff, v11
	v_dual_mov_b32 v14, v11 :: v_dual_mov_b32 v2, 0
	s_mov_b32 s10, exec_lo
	s_delay_alu instid0(VALU_DEP_2)
	v_cmpx_ne_u16_e32 0, v3
	s_cbranch_execz .LBB4_8038
; %bb.8033:                             ;   in Loop: Header=BB4_7930 Depth=2
	v_bfrev_b32_e32 v2, 1
	s_mov_b32 s27, exec_lo
	v_cmpx_ne_u16_e32 0x80, v3
	s_cbranch_execz .LBB4_8037
; %bb.8034:                             ;   in Loop: Header=BB4_7930 Depth=2
	v_and_b32_e32 v3, 0x7f, v11
	v_mov_b32_e32 v2, 0x7f800001
	s_mov_b32 s28, exec_lo
	s_delay_alu instid0(VALU_DEP_2)
	v_cmpx_ne_u32_e32 0x7f, v3
	s_cbranch_execz .LBB4_8036
; %bb.8035:                             ;   in Loop: Header=BB4_7930 Depth=2
	v_and_b32_e32 v2, 7, v11
	v_cmp_gt_u32_e32 vcc_lo, 8, v3
	s_delay_alu instid0(VALU_DEP_2) | instskip(NEXT) | instid1(VALU_DEP_1)
	v_clz_i32_u32_e32 v2, v2
	v_min_u32_e32 v2, 32, v2
	v_lshrrev_b32_e32 v20, 3, v3
	s_delay_alu instid0(VALU_DEP_2) | instskip(SKIP_1) | instid1(VALU_DEP_1)
	v_subrev_nc_u32_e32 v21, 28, v2
	v_sub_nc_u32_e32 v2, 29, v2
	v_dual_cndmask_b32 v20, v20, v2, vcc_lo :: v_dual_cndmask_b32 v2, 0, v21, vcc_lo
	s_delay_alu instid0(VALU_DEP_1) | instskip(NEXT) | instid1(VALU_DEP_2)
	v_lshl_add_u32 v20, v20, 23, 0x3c000000
	v_lshlrev_b64_e32 v[2:3], v2, v[14:15]
	v_lshlrev_b32_e32 v3, 24, v14
	s_delay_alu instid0(VALU_DEP_1) | instskip(NEXT) | instid1(VALU_DEP_3)
	v_and_b32_e32 v3, 0x80000000, v3
	v_lshlrev_b32_e32 v2, 20, v2
	s_delay_alu instid0(VALU_DEP_1) | instskip(NEXT) | instid1(VALU_DEP_1)
	v_and_b32_e32 v2, 0x700000, v2
	v_or3_b32 v2, v2, v3, v20
.LBB4_8036:                             ;   in Loop: Header=BB4_7930 Depth=2
	s_or_b32 exec_lo, exec_lo, s28
.LBB4_8037:                             ;   in Loop: Header=BB4_7930 Depth=2
	s_delay_alu instid0(SALU_CYCLE_1)
	s_or_b32 exec_lo, exec_lo, s27
.LBB4_8038:                             ;   in Loop: Header=BB4_7930 Depth=2
	s_delay_alu instid0(SALU_CYCLE_1) | instskip(NEXT) | instid1(VALU_DEP_1)
	s_or_b32 exec_lo, exec_lo, s10
	v_dual_mul_f32 v3, s26, v2 :: v_dual_mov_b32 v87, v15
                                        ; implicit-def: $vgpr114
	s_mov_b32 s10, exec_lo
	s_delay_alu instid0(VALU_DEP_1) | instskip(SKIP_1) | instid1(VALU_DEP_2)
	v_and_b32_e32 v86, 0x7f800000, v3
	v_lshrrev_b32_e32 v2, 24, v3
	v_cmpx_ne_u64_e32 0x7f800000, v[86:87]
	s_xor_b32 s27, exec_lo, s10
	s_cbranch_execz .LBB4_8052
; %bb.8039:                             ;   in Loop: Header=BB4_7930 Depth=2
	v_and_b32_e32 v86, 0x7fffffff, v3
	v_mov_b32_e32 v87, v15
	v_and_b32_e32 v2, 0x80, v2
                                        ; implicit-def: $vgpr114
	s_mov_b32 s10, exec_lo
	s_delay_alu instid0(VALU_DEP_2)
	v_cmpx_gt_u64_e32 0x43e00001, v[86:87]
	s_xor_b32 s28, exec_lo, s10
	s_cbranch_execz .LBB4_8049
; %bb.8040:                             ;   in Loop: Header=BB4_7930 Depth=2
	v_mov_b32_e32 v114, 0
	s_mov_b32 s29, exec_lo
	v_cmpx_ne_u32_e32 0, v3
	s_cbranch_execz .LBB4_8048
; %bb.8041:                             ;   in Loop: Header=BB4_7930 Depth=2
	v_bfe_u32 v98, v3, 23, 8
	v_and_b32_e32 v3, 0x7fffff, v3
	s_mov_b32 s40, exec_lo
	s_delay_alu instid0(VALU_DEP_2) | instskip(SKIP_1) | instid1(VALU_DEP_3)
	v_dual_mov_b32 v97, v15 :: v_dual_sub_nc_u32 v20, 0x79, v98
	v_cmp_gt_u32_e32 vcc_lo, 0x7a, v98
	v_or_b32_e32 v21, 0x800000, v3
	s_delay_alu instid0(VALU_DEP_3) | instskip(SKIP_1) | instid1(VALU_DEP_3)
	v_cndmask_b32_e32 v20, 0, v20, vcc_lo
	v_cmp_eq_u32_e32 vcc_lo, 0, v98
	v_cndmask_b32_e32 v96, v21, v3, vcc_lo
	s_delay_alu instid0(VALU_DEP_3) | instskip(NEXT) | instid1(VALU_DEP_1)
	v_cndmask_b32_e64 v113, v20, 0x78, vcc_lo
	v_add_nc_u32_e32 v20, 20, v113
	s_delay_alu instid0(VALU_DEP_1) | instskip(SKIP_1) | instid1(VALU_DEP_1)
	v_lshlrev_b64_e64 v[86:87], v20, -1
	v_add_nc_u32_e32 v20, 19, v113
	v_lshlrev_b64_e64 v[114:115], v20, 1
	s_delay_alu instid0(VALU_DEP_3) | instskip(NEXT) | instid1(VALU_DEP_4)
	v_bfi_b32 v117, v87, 0, 0
	v_bfi_b32 v116, v86, 0, v96
	v_lshrrev_b64 v[86:87], v113, v[96:97]
	s_delay_alu instid0(VALU_DEP_1) | instskip(NEXT) | instid1(VALU_DEP_3)
	v_mov_b64_e32 v[96:97], v[86:87]
	v_cmpx_eq_u64_e64 v[116:117], v[114:115]
; %bb.8042:                             ;   in Loop: Header=BB4_7930 Depth=2
	v_bfe_u32 v96, v86, 20, 1
	v_mov_b32_e32 v97, v15
	s_delay_alu instid0(VALU_DEP_1) | instskip(NEXT) | instid1(VALU_DEP_1)
	v_add_nc_u64_e32 v[96:97], v[86:87], v[96:97]
	v_add_nc_u64_e32 v[96:97], -1, v[96:97]
; %bb.8043:                             ;   in Loop: Header=BB4_7930 Depth=2
	s_or_b32 exec_lo, exec_lo, s40
	v_add_nc_u32_e32 v3, 0xffffff81, v98
	v_dual_mov_b32 v87, v15 :: v_dual_lshrrev_b32 v20, 23, v86
	s_mov_b32 s10, exec_lo
	s_delay_alu instid0(VALU_DEP_2) | instskip(NEXT) | instid1(VALU_DEP_1)
	v_cndmask_b32_e64 v3, v3, 0xffffff82, vcc_lo
	v_add3_u32 v97, v113, v3, v20
	v_and_b32_e32 v3, 0xfffff, v96
	s_delay_alu instid0(VALU_DEP_1) | instskip(NEXT) | instid1(VALU_DEP_1)
	v_dual_add_nc_u32 v96, 6, v97 :: v_dual_add_nc_u32 v86, v3, v86
                                        ; implicit-def: $vgpr3
	v_cmpx_ne_u32_e32 0, v96
	s_xor_b32 s10, exec_lo, s10
; %bb.8044:                             ;   in Loop: Header=BB4_7930 Depth=2
	s_delay_alu instid0(VALU_DEP_2) | instskip(SKIP_2) | instid1(VALU_DEP_2)
	v_cmp_lt_u64_e32 vcc_lo, 0xffffff, v[86:87]
	v_add_nc_u32_e32 v3, 7, v97
	v_cndmask_b32_e64 v20, 0, 1, vcc_lo
	v_cndmask_b32_e32 v3, v96, v3, vcc_lo
	s_delay_alu instid0(VALU_DEP_2)
	v_lshrrev_b64 v[86:87], v20, v[86:87]
; %bb.8045:                             ;   in Loop: Header=BB4_7930 Depth=2
	s_and_not1_saveexec_b32 s10, s10
; %bb.8046:                             ;   in Loop: Header=BB4_7930 Depth=2
	s_delay_alu instid0(VALU_DEP_1)
	v_bfe_u32 v3, v86, 23, 1
; %bb.8047:                             ;   in Loop: Header=BB4_7930 Depth=2
	s_or_b32 exec_lo, exec_lo, s10
	s_delay_alu instid0(VALU_DEP_2) | instskip(NEXT) | instid1(VALU_DEP_2)
	v_lshrrev_b64 v[86:87], 20, v[86:87]
	v_cmp_gt_i32_e32 vcc_lo, 16, v3
	v_min_i32_e32 v20, 15, v3
	v_cmp_eq_u32_e64 s10, 0, v3
	s_delay_alu instid0(VALU_DEP_2) | instskip(SKIP_1) | instid1(VALU_DEP_2)
	v_dual_cndmask_b32 v86, 7, v86, vcc_lo :: v_dual_lshlrev_b32 v20, 3, v20
	v_cndmask_b32_e32 v87, 0, v87, vcc_lo
	v_and_b32_e32 v20, 0xf8, v20
	s_delay_alu instid0(VALU_DEP_2) | instskip(NEXT) | instid1(VALU_DEP_2)
	v_cmp_eq_u64_e32 vcc_lo, 0, v[86:87]
	v_and_or_b32 v3, v86, 7, v20
	s_and_b32 s10, s10, vcc_lo
	s_delay_alu instid0(VALU_DEP_1) | instid1(SALU_CYCLE_1)
	v_cndmask_b32_e64 v3, v3, 0, s10
	s_delay_alu instid0(VALU_DEP_1)
	v_or_b32_e32 v114, v3, v2
.LBB4_8048:                             ;   in Loop: Header=BB4_7930 Depth=2
	s_or_b32 exec_lo, exec_lo, s29
                                        ; implicit-def: $vgpr2
.LBB4_8049:                             ;   in Loop: Header=BB4_7930 Depth=2
	s_and_not1_saveexec_b32 s10, s28
; %bb.8050:                             ;   in Loop: Header=BB4_7930 Depth=2
	v_or_b32_e32 v114, 0x7e, v2
; %bb.8051:                             ;   in Loop: Header=BB4_7930 Depth=2
	s_or_b32 exec_lo, exec_lo, s10
                                        ; implicit-def: $vgpr2
.LBB4_8052:                             ;   in Loop: Header=BB4_7930 Depth=2
	s_and_not1_saveexec_b32 s10, s27
; %bb.8053:                             ;   in Loop: Header=BB4_7930 Depth=2
	v_or_b32_e32 v114, 0x7f, v2
; %bb.8054:                             ;   in Loop: Header=BB4_7930 Depth=2
	s_or_b32 exec_lo, exec_lo, s10
	v_lshrrev_b16 v3, 8, v14
	v_mov_b32_e32 v2, 0
	s_mov_b32 s10, exec_lo
	s_delay_alu instid0(VALU_DEP_2)
	v_cmpx_ne_u16_e32 0, v3
	s_cbranch_execz .LBB4_8062
; %bb.8055:                             ;   in Loop: Header=BB4_7930 Depth=2
	v_bfrev_b32_e32 v2, 1
	s_mov_b32 s27, exec_lo
	v_cmpx_ne_u16_e32 0x80, v3
	s_cbranch_execz .LBB4_8061
; %bb.8056:                             ;   in Loop: Header=BB4_7930 Depth=2
	v_and_b32_e32 v86, 0xffff, v3
	v_mov_b32_e32 v2, 0x7f800001
	s_mov_b32 s28, exec_lo
	s_delay_alu instid0(VALU_DEP_2) | instskip(NEXT) | instid1(VALU_DEP_1)
	v_and_b32_e32 v3, 0x7f, v86
	v_cmpx_ne_u32_e32 0x7f, v3
	s_cbranch_execz .LBB4_8060
; %bb.8057:                             ;   in Loop: Header=BB4_7930 Depth=2
	v_dual_mov_b32 v87, v15 :: v_dual_bitop2_b32 v86, 7, v86 bitop3:0x40
	v_lshrrev_b32_e32 v2, 3, v3
	s_mov_b32 s29, exec_lo
	v_cmpx_gt_u32_e32 8, v3
; %bb.8058:                             ;   in Loop: Header=BB4_7930 Depth=2
	s_delay_alu instid0(VALU_DEP_3) | instskip(NEXT) | instid1(VALU_DEP_1)
	v_clz_i32_u32_e32 v2, v86
	v_min_u32_e32 v2, 32, v2
	s_delay_alu instid0(VALU_DEP_1) | instskip(SKIP_1) | instid1(VALU_DEP_2)
	v_subrev_nc_u32_e32 v3, 28, v2
	v_sub_nc_u32_e32 v2, 29, v2
	v_lshlrev_b64_e32 v[86:87], v3, v[86:87]
	s_delay_alu instid0(VALU_DEP_1)
	v_and_b32_e32 v86, 7, v86
; %bb.8059:                             ;   in Loop: Header=BB4_7930 Depth=2
	s_or_b32 exec_lo, exec_lo, s29
	v_lshlrev_b32_e32 v3, 16, v14
	s_delay_alu instid0(VALU_DEP_2) | instskip(SKIP_1) | instid1(VALU_DEP_3)
	v_lshlrev_b32_e32 v14, 20, v86
	v_lshl_add_u32 v2, v2, 23, 0x3c000000
	v_and_b32_e32 v3, 0x80000000, v3
	s_delay_alu instid0(VALU_DEP_1)
	v_or3_b32 v2, v14, v3, v2
.LBB4_8060:                             ;   in Loop: Header=BB4_7930 Depth=2
	s_or_b32 exec_lo, exec_lo, s28
.LBB4_8061:                             ;   in Loop: Header=BB4_7930 Depth=2
	s_delay_alu instid0(SALU_CYCLE_1)
	s_or_b32 exec_lo, exec_lo, s27
.LBB4_8062:                             ;   in Loop: Header=BB4_7930 Depth=2
	s_delay_alu instid0(SALU_CYCLE_1) | instskip(NEXT) | instid1(VALU_DEP_1)
	s_or_b32 exec_lo, exec_lo, s10
	v_mul_f32_e32 v3, s26, v2
                                        ; implicit-def: $vgpr115
	s_mov_b32 s10, exec_lo
	s_delay_alu instid0(VALU_DEP_1) | instskip(SKIP_1) | instid1(VALU_DEP_2)
	v_and_b32_e32 v14, 0x7f800000, v3
	v_lshrrev_b32_e32 v2, 24, v3
	v_cmpx_ne_u64_e32 0x7f800000, v[14:15]
	s_xor_b32 s27, exec_lo, s10
	s_cbranch_execz .LBB4_8076
; %bb.8063:                             ;   in Loop: Header=BB4_7930 Depth=2
	v_and_b32_e32 v14, 0x7fffffff, v3
	v_and_b32_e32 v2, 0x80, v2
                                        ; implicit-def: $vgpr115
	s_mov_b32 s10, exec_lo
	s_delay_alu instid0(VALU_DEP_2)
	v_cmpx_gt_u64_e32 0x43e00001, v[14:15]
	s_xor_b32 s28, exec_lo, s10
	s_cbranch_execz .LBB4_8073
; %bb.8064:                             ;   in Loop: Header=BB4_7930 Depth=2
	v_mov_b32_e32 v115, 0
	s_mov_b32 s29, exec_lo
	v_cmpx_ne_u32_e32 0, v3
	s_cbranch_execz .LBB4_8072
; %bb.8065:                             ;   in Loop: Header=BB4_7930 Depth=2
	v_bfe_u32 v98, v3, 23, 8
	v_and_b32_e32 v3, 0x7fffff, v3
	s_delay_alu instid0(VALU_DEP_2) | instskip(SKIP_1) | instid1(VALU_DEP_3)
	v_sub_nc_u32_e32 v14, 0x79, v98
	v_cmp_gt_u32_e32 vcc_lo, 0x7a, v98
	v_or_b32_e32 v20, 0x800000, v3
	s_delay_alu instid0(VALU_DEP_3) | instskip(SKIP_1) | instid1(VALU_DEP_2)
	v_cndmask_b32_e32 v14, 0, v14, vcc_lo
	v_cmp_eq_u32_e32 vcc_lo, 0, v98
	v_cndmask_b32_e64 v113, v14, 0x78, vcc_lo
	s_delay_alu instid0(VALU_DEP_1) | instskip(NEXT) | instid1(VALU_DEP_1)
	v_dual_add_nc_u32 v14, 20, v113 :: v_dual_add_nc_u32 v21, 19, v113
	v_lshlrev_b64_e64 v[86:87], v14, -1
	v_cndmask_b32_e32 v14, v20, v3, vcc_lo
	s_delay_alu instid0(VALU_DEP_3) | instskip(NEXT) | instid1(VALU_DEP_3)
	v_lshlrev_b64_e64 v[96:97], v21, 1
	v_bfi_b32 v117, v87, 0, 0
	s_delay_alu instid0(VALU_DEP_3) | instskip(SKIP_1) | instid1(VALU_DEP_2)
	v_bfi_b32 v116, v86, 0, v14
	v_lshrrev_b64 v[86:87], v113, v[14:15]
	v_cmp_eq_u64_e64 s10, v[116:117], v[96:97]
	s_delay_alu instid0(VALU_DEP_2)
	v_mov_b64_e32 v[96:97], v[86:87]
	s_and_saveexec_b32 s40, s10
; %bb.8066:                             ;   in Loop: Header=BB4_7930 Depth=2
	v_bfe_u32 v14, v86, 20, 1
	s_delay_alu instid0(VALU_DEP_1) | instskip(NEXT) | instid1(VALU_DEP_1)
	v_add_nc_u64_e32 v[96:97], v[86:87], v[14:15]
	v_add_nc_u64_e32 v[96:97], -1, v[96:97]
; %bb.8067:                             ;   in Loop: Header=BB4_7930 Depth=2
	s_or_b32 exec_lo, exec_lo, s40
	v_add_nc_u32_e32 v3, 0xffffff81, v98
	v_lshrrev_b32_e32 v14, 23, v86
	s_mov_b32 s10, exec_lo
	s_delay_alu instid0(VALU_DEP_2) | instskip(NEXT) | instid1(VALU_DEP_1)
	v_cndmask_b32_e64 v3, v3, 0xffffff82, vcc_lo
	v_add3_u32 v97, v113, v3, v14
	v_and_b32_e32 v3, 0xfffff, v96
	s_delay_alu instid0(VALU_DEP_1) | instskip(NEXT) | instid1(VALU_DEP_1)
	v_dual_add_nc_u32 v96, 6, v97 :: v_dual_add_nc_u32 v14, v3, v86
                                        ; implicit-def: $vgpr86_vgpr87
                                        ; implicit-def: $vgpr3
	v_cmpx_ne_u32_e32 0, v96
	s_xor_b32 s10, exec_lo, s10
; %bb.8068:                             ;   in Loop: Header=BB4_7930 Depth=2
	s_delay_alu instid0(VALU_DEP_2) | instskip(SKIP_2) | instid1(VALU_DEP_2)
	v_cmp_lt_u64_e32 vcc_lo, 0xffffff, v[14:15]
	v_add_nc_u32_e32 v3, 7, v97
	v_cndmask_b32_e64 v20, 0, 1, vcc_lo
	v_cndmask_b32_e32 v3, v96, v3, vcc_lo
	s_delay_alu instid0(VALU_DEP_2)
	v_lshrrev_b64 v[86:87], v20, v[14:15]
; %bb.8069:                             ;   in Loop: Header=BB4_7930 Depth=2
	s_and_not1_saveexec_b32 s10, s10
; %bb.8070:                             ;   in Loop: Header=BB4_7930 Depth=2
	v_mov_b64_e32 v[86:87], v[14:15]
	v_bfe_u32 v3, v14, 23, 1
; %bb.8071:                             ;   in Loop: Header=BB4_7930 Depth=2
	s_or_b32 exec_lo, exec_lo, s10
	s_delay_alu instid0(VALU_DEP_2) | instskip(NEXT) | instid1(VALU_DEP_2)
	v_lshrrev_b64 v[86:87], 20, v[86:87]
	v_cmp_gt_i32_e32 vcc_lo, 16, v3
	v_min_i32_e32 v14, 15, v3
	v_cmp_eq_u32_e64 s10, 0, v3
	s_delay_alu instid0(VALU_DEP_4) | instskip(NEXT) | instid1(VALU_DEP_3)
	v_cndmask_b32_e32 v86, 7, v86, vcc_lo
	v_dual_cndmask_b32 v87, 0, v87 :: v_dual_lshlrev_b32 v14, 3, v14
	s_delay_alu instid0(VALU_DEP_1) | instskip(NEXT) | instid1(VALU_DEP_2)
	v_and_b32_e32 v14, 0xf8, v14
	v_cmp_eq_u64_e32 vcc_lo, 0, v[86:87]
	s_delay_alu instid0(VALU_DEP_2)
	v_and_or_b32 v3, v86, 7, v14
	s_and_b32 s10, s10, vcc_lo
	s_delay_alu instid0(VALU_DEP_1) | instid1(SALU_CYCLE_1)
	v_cndmask_b32_e64 v3, v3, 0, s10
	s_delay_alu instid0(VALU_DEP_1)
	v_or_b32_e32 v115, v3, v2
.LBB4_8072:                             ;   in Loop: Header=BB4_7930 Depth=2
	s_or_b32 exec_lo, exec_lo, s29
                                        ; implicit-def: $vgpr2
.LBB4_8073:                             ;   in Loop: Header=BB4_7930 Depth=2
	s_and_not1_saveexec_b32 s10, s28
; %bb.8074:                             ;   in Loop: Header=BB4_7930 Depth=2
	v_or_b32_e32 v115, 0x7e, v2
; %bb.8075:                             ;   in Loop: Header=BB4_7930 Depth=2
	s_or_b32 exec_lo, exec_lo, s10
                                        ; implicit-def: $vgpr2
.LBB4_8076:                             ;   in Loop: Header=BB4_7930 Depth=2
	s_and_not1_saveexec_b32 s10, s27
; %bb.8077:                             ;   in Loop: Header=BB4_7930 Depth=2
	v_or_b32_e32 v115, 0x7f, v2
; %bb.8078:                             ;   in Loop: Header=BB4_7930 Depth=2
	s_or_b32 exec_lo, exec_lo, s10
	v_dual_mov_b32 v3, 0 :: v_dual_lshrrev_b32 v2, 16, v11
	s_mov_b32 s10, exec_lo
	s_delay_alu instid0(VALU_DEP_1) | instskip(NEXT) | instid1(VALU_DEP_1)
	v_and_b32_e32 v14, 0xff, v2
	v_cmpx_ne_u16_e32 0, v14
	s_cbranch_execz .LBB4_8086
; %bb.8079:                             ;   in Loop: Header=BB4_7930 Depth=2
	v_bfrev_b32_e32 v3, 1
	s_mov_b32 s27, exec_lo
	v_cmpx_ne_u16_e32 0x80, v14
	s_cbranch_execz .LBB4_8085
; %bb.8080:                             ;   in Loop: Header=BB4_7930 Depth=2
	v_bfe_u32 v86, v11, 16, 7
	v_mov_b32_e32 v3, 0x7f800001
	s_mov_b32 s28, exec_lo
	s_delay_alu instid0(VALU_DEP_2)
	v_cmpx_ne_u32_e32 0x7f, v86
	s_cbranch_execz .LBB4_8084
; %bb.8081:                             ;   in Loop: Header=BB4_7930 Depth=2
	v_and_b32_e32 v14, 7, v2
	v_lshrrev_b32_e32 v3, 3, v86
	s_mov_b32 s29, exec_lo
	v_cmpx_gt_u32_e32 8, v86
; %bb.8082:                             ;   in Loop: Header=BB4_7930 Depth=2
	s_delay_alu instid0(VALU_DEP_3) | instskip(NEXT) | instid1(VALU_DEP_1)
	v_clz_i32_u32_e32 v3, v14
	v_min_u32_e32 v3, 32, v3
	s_delay_alu instid0(VALU_DEP_1) | instskip(NEXT) | instid1(VALU_DEP_1)
	v_subrev_nc_u32_e32 v20, 28, v3
	v_lshlrev_b64_e32 v[86:87], v20, v[14:15]
	s_delay_alu instid0(VALU_DEP_1)
	v_dual_sub_nc_u32 v3, 29, v3 :: v_dual_bitop2_b32 v14, 7, v86 bitop3:0x40
; %bb.8083:                             ;   in Loop: Header=BB4_7930 Depth=2
	s_or_b32 exec_lo, exec_lo, s29
	v_lshlrev_b32_e32 v2, 24, v2
	s_delay_alu instid0(VALU_DEP_2) | instskip(NEXT) | instid1(VALU_DEP_3)
	v_lshlrev_b32_e32 v14, 20, v14
	v_lshl_add_u32 v3, v3, 23, 0x3c000000
	s_delay_alu instid0(VALU_DEP_3) | instskip(NEXT) | instid1(VALU_DEP_1)
	v_and_b32_e32 v2, 0x80000000, v2
	v_or3_b32 v3, v14, v2, v3
.LBB4_8084:                             ;   in Loop: Header=BB4_7930 Depth=2
	s_or_b32 exec_lo, exec_lo, s28
.LBB4_8085:                             ;   in Loop: Header=BB4_7930 Depth=2
	s_delay_alu instid0(SALU_CYCLE_1)
	s_or_b32 exec_lo, exec_lo, s27
.LBB4_8086:                             ;   in Loop: Header=BB4_7930 Depth=2
	s_delay_alu instid0(SALU_CYCLE_1) | instskip(NEXT) | instid1(VALU_DEP_1)
	s_or_b32 exec_lo, exec_lo, s10
	v_mul_f32_e32 v3, s26, v3
                                        ; implicit-def: $vgpr116
	s_mov_b32 s10, exec_lo
	s_delay_alu instid0(VALU_DEP_1) | instskip(SKIP_1) | instid1(VALU_DEP_2)
	v_and_b32_e32 v14, 0x7f800000, v3
	v_lshrrev_b32_e32 v2, 24, v3
	v_cmpx_ne_u64_e32 0x7f800000, v[14:15]
	s_xor_b32 s27, exec_lo, s10
	s_cbranch_execz .LBB4_8100
; %bb.8087:                             ;   in Loop: Header=BB4_7930 Depth=2
	v_and_b32_e32 v14, 0x7fffffff, v3
	v_and_b32_e32 v2, 0x80, v2
                                        ; implicit-def: $vgpr116
	s_mov_b32 s10, exec_lo
	s_delay_alu instid0(VALU_DEP_2)
	v_cmpx_gt_u64_e32 0x43e00001, v[14:15]
	s_xor_b32 s28, exec_lo, s10
	s_cbranch_execz .LBB4_8097
; %bb.8088:                             ;   in Loop: Header=BB4_7930 Depth=2
	v_mov_b32_e32 v116, 0
	s_mov_b32 s29, exec_lo
	v_cmpx_ne_u32_e32 0, v3
	s_cbranch_execz .LBB4_8096
; %bb.8089:                             ;   in Loop: Header=BB4_7930 Depth=2
	v_bfe_u32 v98, v3, 23, 8
	v_and_b32_e32 v3, 0x7fffff, v3
	s_delay_alu instid0(VALU_DEP_2) | instskip(SKIP_1) | instid1(VALU_DEP_3)
	v_sub_nc_u32_e32 v14, 0x79, v98
	v_cmp_gt_u32_e32 vcc_lo, 0x7a, v98
	v_or_b32_e32 v20, 0x800000, v3
	s_delay_alu instid0(VALU_DEP_3) | instskip(SKIP_1) | instid1(VALU_DEP_2)
	v_cndmask_b32_e32 v14, 0, v14, vcc_lo
	v_cmp_eq_u32_e32 vcc_lo, 0, v98
	v_cndmask_b32_e64 v113, v14, 0x78, vcc_lo
	s_delay_alu instid0(VALU_DEP_1) | instskip(NEXT) | instid1(VALU_DEP_1)
	v_dual_add_nc_u32 v14, 20, v113 :: v_dual_add_nc_u32 v21, 19, v113
	v_lshlrev_b64_e64 v[86:87], v14, -1
	v_cndmask_b32_e32 v14, v20, v3, vcc_lo
	s_delay_alu instid0(VALU_DEP_3) | instskip(NEXT) | instid1(VALU_DEP_3)
	v_lshlrev_b64_e64 v[96:97], v21, 1
	v_bfi_b32 v117, v87, 0, 0
	s_delay_alu instid0(VALU_DEP_3) | instskip(SKIP_1) | instid1(VALU_DEP_2)
	v_bfi_b32 v116, v86, 0, v14
	v_lshrrev_b64 v[86:87], v113, v[14:15]
	v_cmp_eq_u64_e64 s10, v[116:117], v[96:97]
	s_delay_alu instid0(VALU_DEP_2)
	v_mov_b64_e32 v[96:97], v[86:87]
	s_and_saveexec_b32 s40, s10
; %bb.8090:                             ;   in Loop: Header=BB4_7930 Depth=2
	v_bfe_u32 v14, v86, 20, 1
	s_delay_alu instid0(VALU_DEP_1) | instskip(NEXT) | instid1(VALU_DEP_1)
	v_add_nc_u64_e32 v[96:97], v[86:87], v[14:15]
	v_add_nc_u64_e32 v[96:97], -1, v[96:97]
; %bb.8091:                             ;   in Loop: Header=BB4_7930 Depth=2
	s_or_b32 exec_lo, exec_lo, s40
	v_add_nc_u32_e32 v3, 0xffffff81, v98
	v_lshrrev_b32_e32 v14, 23, v86
	s_mov_b32 s10, exec_lo
	s_delay_alu instid0(VALU_DEP_2) | instskip(NEXT) | instid1(VALU_DEP_1)
	v_cndmask_b32_e64 v3, v3, 0xffffff82, vcc_lo
	v_add3_u32 v97, v113, v3, v14
	v_and_b32_e32 v3, 0xfffff, v96
	s_delay_alu instid0(VALU_DEP_1) | instskip(NEXT) | instid1(VALU_DEP_1)
	v_dual_add_nc_u32 v96, 6, v97 :: v_dual_add_nc_u32 v14, v3, v86
                                        ; implicit-def: $vgpr86_vgpr87
                                        ; implicit-def: $vgpr3
	v_cmpx_ne_u32_e32 0, v96
	s_xor_b32 s10, exec_lo, s10
; %bb.8092:                             ;   in Loop: Header=BB4_7930 Depth=2
	s_delay_alu instid0(VALU_DEP_2) | instskip(SKIP_2) | instid1(VALU_DEP_2)
	v_cmp_lt_u64_e32 vcc_lo, 0xffffff, v[14:15]
	v_add_nc_u32_e32 v3, 7, v97
	v_cndmask_b32_e64 v20, 0, 1, vcc_lo
	v_cndmask_b32_e32 v3, v96, v3, vcc_lo
	s_delay_alu instid0(VALU_DEP_2)
	v_lshrrev_b64 v[86:87], v20, v[14:15]
; %bb.8093:                             ;   in Loop: Header=BB4_7930 Depth=2
	s_and_not1_saveexec_b32 s10, s10
; %bb.8094:                             ;   in Loop: Header=BB4_7930 Depth=2
	v_mov_b64_e32 v[86:87], v[14:15]
	v_bfe_u32 v3, v14, 23, 1
; %bb.8095:                             ;   in Loop: Header=BB4_7930 Depth=2
	s_or_b32 exec_lo, exec_lo, s10
	s_delay_alu instid0(VALU_DEP_2) | instskip(NEXT) | instid1(VALU_DEP_2)
	v_lshrrev_b64 v[86:87], 20, v[86:87]
	v_cmp_gt_i32_e32 vcc_lo, 16, v3
	v_min_i32_e32 v14, 15, v3
	v_cmp_eq_u32_e64 s10, 0, v3
	s_delay_alu instid0(VALU_DEP_4) | instskip(NEXT) | instid1(VALU_DEP_3)
	v_cndmask_b32_e32 v86, 7, v86, vcc_lo
	v_dual_cndmask_b32 v87, 0, v87 :: v_dual_lshlrev_b32 v14, 3, v14
	s_delay_alu instid0(VALU_DEP_1) | instskip(NEXT) | instid1(VALU_DEP_2)
	v_and_b32_e32 v14, 0xf8, v14
	v_cmp_eq_u64_e32 vcc_lo, 0, v[86:87]
	s_delay_alu instid0(VALU_DEP_2)
	v_and_or_b32 v3, v86, 7, v14
	s_and_b32 s10, s10, vcc_lo
	s_delay_alu instid0(VALU_DEP_1) | instid1(SALU_CYCLE_1)
	v_cndmask_b32_e64 v3, v3, 0, s10
	s_delay_alu instid0(VALU_DEP_1)
	v_or_b32_e32 v116, v3, v2
.LBB4_8096:                             ;   in Loop: Header=BB4_7930 Depth=2
	s_or_b32 exec_lo, exec_lo, s29
                                        ; implicit-def: $vgpr2
.LBB4_8097:                             ;   in Loop: Header=BB4_7930 Depth=2
	s_and_not1_saveexec_b32 s10, s28
; %bb.8098:                             ;   in Loop: Header=BB4_7930 Depth=2
	v_or_b32_e32 v116, 0x7e, v2
; %bb.8099:                             ;   in Loop: Header=BB4_7930 Depth=2
	s_or_b32 exec_lo, exec_lo, s10
                                        ; implicit-def: $vgpr2
.LBB4_8100:                             ;   in Loop: Header=BB4_7930 Depth=2
	s_and_not1_saveexec_b32 s10, s27
; %bb.8101:                             ;   in Loop: Header=BB4_7930 Depth=2
	v_or_b32_e32 v116, 0x7f, v2
; %bb.8102:                             ;   in Loop: Header=BB4_7930 Depth=2
	s_or_b32 exec_lo, exec_lo, s10
	v_mov_b32_e32 v3, 0
	s_mov_b32 s10, exec_lo
	v_cmpx_lt_u64_e64 s[12:13], v[10:11]
	s_cbranch_execz .LBB4_8110
; %bb.8103:                             ;   in Loop: Header=BB4_7930 Depth=2
	v_lshrrev_b32_e32 v2, 24, v11
	v_bfrev_b32_e32 v3, 1
	s_mov_b32 s27, exec_lo
	s_delay_alu instid0(VALU_DEP_2)
	v_cmpx_ne_u32_e32 0x80, v2
	s_cbranch_execz .LBB4_8109
; %bb.8104:                             ;   in Loop: Header=BB4_7930 Depth=2
	v_bfe_u32 v10, v11, 24, 7
	v_mov_b32_e32 v3, 0x7f800001
	s_mov_b32 s28, exec_lo
	s_delay_alu instid0(VALU_DEP_2)
	v_cmpx_ne_u32_e32 0x7f, v10
	s_cbranch_execz .LBB4_8108
; %bb.8105:                             ;   in Loop: Header=BB4_7930 Depth=2
	v_and_b32_e32 v14, 7, v2
	v_lshrrev_b32_e32 v3, 3, v10
	s_mov_b32 s29, exec_lo
	v_cmpx_gt_u32_e32 8, v10
; %bb.8106:                             ;   in Loop: Header=BB4_7930 Depth=2
	s_delay_alu instid0(VALU_DEP_3) | instskip(NEXT) | instid1(VALU_DEP_1)
	v_clz_i32_u32_e32 v3, v14
	v_min_u32_e32 v3, 32, v3
	s_delay_alu instid0(VALU_DEP_1) | instskip(NEXT) | instid1(VALU_DEP_1)
	v_subrev_nc_u32_e32 v10, 28, v3
	v_lshlrev_b64_e32 v[10:11], v10, v[14:15]
	s_delay_alu instid0(VALU_DEP_1)
	v_dual_sub_nc_u32 v3, 29, v3 :: v_dual_bitop2_b32 v14, 7, v10 bitop3:0x40
; %bb.8107:                             ;   in Loop: Header=BB4_7930 Depth=2
	s_or_b32 exec_lo, exec_lo, s29
	v_lshlrev_b32_e32 v2, 24, v2
	s_delay_alu instid0(VALU_DEP_2) | instskip(NEXT) | instid1(VALU_DEP_3)
	v_lshlrev_b32_e32 v10, 20, v14
	v_lshl_add_u32 v3, v3, 23, 0x3c000000
	s_delay_alu instid0(VALU_DEP_3) | instskip(NEXT) | instid1(VALU_DEP_1)
	v_and_b32_e32 v2, 0x80000000, v2
	v_or3_b32 v3, v10, v2, v3
.LBB4_8108:                             ;   in Loop: Header=BB4_7930 Depth=2
	s_or_b32 exec_lo, exec_lo, s28
.LBB4_8109:                             ;   in Loop: Header=BB4_7930 Depth=2
	s_delay_alu instid0(SALU_CYCLE_1)
	s_or_b32 exec_lo, exec_lo, s27
.LBB4_8110:                             ;   in Loop: Header=BB4_7930 Depth=2
	s_delay_alu instid0(SALU_CYCLE_1) | instskip(NEXT) | instid1(VALU_DEP_1)
	s_or_b32 exec_lo, exec_lo, s10
	v_mul_f32_e32 v3, s26, v3
                                        ; implicit-def: $vgpr117
	s_mov_b32 s10, exec_lo
	s_delay_alu instid0(VALU_DEP_1) | instskip(SKIP_1) | instid1(VALU_DEP_2)
	v_and_b32_e32 v14, 0x7f800000, v3
	v_lshrrev_b32_e32 v2, 24, v3
	v_cmpx_ne_u64_e32 0x7f800000, v[14:15]
	s_xor_b32 s27, exec_lo, s10
	s_cbranch_execz .LBB4_8124
; %bb.8111:                             ;   in Loop: Header=BB4_7930 Depth=2
	v_and_b32_e32 v14, 0x7fffffff, v3
	v_and_b32_e32 v2, 0x80, v2
                                        ; implicit-def: $vgpr117
	s_mov_b32 s10, exec_lo
	s_delay_alu instid0(VALU_DEP_2)
	v_cmpx_gt_u64_e32 0x43e00001, v[14:15]
	s_xor_b32 s28, exec_lo, s10
	s_cbranch_execz .LBB4_8121
; %bb.8112:                             ;   in Loop: Header=BB4_7930 Depth=2
	v_mov_b32_e32 v117, 0
	s_mov_b32 s29, exec_lo
	v_cmpx_ne_u32_e32 0, v3
	s_cbranch_execz .LBB4_8120
; %bb.8113:                             ;   in Loop: Header=BB4_7930 Depth=2
	v_bfe_u32 v96, v3, 23, 8
	v_and_b32_e32 v3, 0x7fffff, v3
	s_delay_alu instid0(VALU_DEP_2) | instskip(SKIP_1) | instid1(VALU_DEP_3)
	v_sub_nc_u32_e32 v10, 0x79, v96
	v_cmp_gt_u32_e32 vcc_lo, 0x7a, v96
	v_or_b32_e32 v14, 0x800000, v3
	s_delay_alu instid0(VALU_DEP_3) | instskip(SKIP_1) | instid1(VALU_DEP_2)
	v_cndmask_b32_e32 v10, 0, v10, vcc_lo
	v_cmp_eq_u32_e32 vcc_lo, 0, v96
	v_cndmask_b32_e64 v97, v10, 0x78, vcc_lo
	s_delay_alu instid0(VALU_DEP_1) | instskip(SKIP_1) | instid1(VALU_DEP_2)
	v_dual_cndmask_b32 v14, v14, v3, vcc_lo :: v_dual_add_nc_u32 v10, 20, v97
	v_add_nc_u32_e32 v20, 19, v97
	v_lshlrev_b64_e64 v[10:11], v10, -1
	s_delay_alu instid0(VALU_DEP_2) | instskip(NEXT) | instid1(VALU_DEP_2)
	v_lshlrev_b64_e64 v[86:87], v20, 1
	v_bfi_b32 v119, v11, 0, 0
	s_delay_alu instid0(VALU_DEP_3) | instskip(SKIP_1) | instid1(VALU_DEP_2)
	v_bfi_b32 v118, v10, 0, v14
	v_lshrrev_b64 v[10:11], v97, v[14:15]
	v_cmp_eq_u64_e64 s10, v[118:119], v[86:87]
	s_delay_alu instid0(VALU_DEP_2)
	v_mov_b64_e32 v[86:87], v[10:11]
	s_and_saveexec_b32 s40, s10
; %bb.8114:                             ;   in Loop: Header=BB4_7930 Depth=2
	v_bfe_u32 v14, v10, 20, 1
	s_delay_alu instid0(VALU_DEP_1) | instskip(NEXT) | instid1(VALU_DEP_1)
	v_add_nc_u64_e32 v[86:87], v[10:11], v[14:15]
	v_add_nc_u64_e32 v[86:87], -1, v[86:87]
; %bb.8115:                             ;   in Loop: Header=BB4_7930 Depth=2
	s_or_b32 exec_lo, exec_lo, s40
	v_add_nc_u32_e32 v3, 0xffffff81, v96
	v_lshrrev_b32_e32 v11, 23, v10
	s_mov_b32 s10, exec_lo
	s_delay_alu instid0(VALU_DEP_2) | instskip(NEXT) | instid1(VALU_DEP_1)
	v_cndmask_b32_e64 v3, v3, 0xffffff82, vcc_lo
	v_add3_u32 v87, v97, v3, v11
	v_and_b32_e32 v3, 0xfffff, v86
	s_delay_alu instid0(VALU_DEP_1) | instskip(NEXT) | instid1(VALU_DEP_1)
	v_dual_add_nc_u32 v86, 6, v87 :: v_dual_add_nc_u32 v14, v3, v10
                                        ; implicit-def: $vgpr10_vgpr11
                                        ; implicit-def: $vgpr3
	v_cmpx_ne_u32_e32 0, v86
	s_xor_b32 s10, exec_lo, s10
; %bb.8116:                             ;   in Loop: Header=BB4_7930 Depth=2
	s_delay_alu instid0(VALU_DEP_2) | instskip(SKIP_2) | instid1(VALU_DEP_2)
	v_cmp_lt_u64_e32 vcc_lo, 0xffffff, v[14:15]
	v_add_nc_u32_e32 v3, 7, v87
	v_cndmask_b32_e64 v10, 0, 1, vcc_lo
	v_cndmask_b32_e32 v3, v86, v3, vcc_lo
	s_delay_alu instid0(VALU_DEP_2)
	v_lshrrev_b64 v[10:11], v10, v[14:15]
; %bb.8117:                             ;   in Loop: Header=BB4_7930 Depth=2
	s_and_not1_saveexec_b32 s10, s10
; %bb.8118:                             ;   in Loop: Header=BB4_7930 Depth=2
	v_mov_b64_e32 v[10:11], v[14:15]
	v_bfe_u32 v3, v14, 23, 1
; %bb.8119:                             ;   in Loop: Header=BB4_7930 Depth=2
	s_or_b32 exec_lo, exec_lo, s10
	s_delay_alu instid0(VALU_DEP_2) | instskip(NEXT) | instid1(VALU_DEP_2)
	v_lshrrev_b64 v[10:11], 20, v[10:11]
	v_cmp_gt_i32_e32 vcc_lo, 16, v3
	v_min_i32_e32 v14, 15, v3
	v_cmp_eq_u32_e64 s10, 0, v3
	s_delay_alu instid0(VALU_DEP_4) | instskip(NEXT) | instid1(VALU_DEP_3)
	v_cndmask_b32_e32 v10, 7, v10, vcc_lo
	v_dual_cndmask_b32 v11, 0, v11 :: v_dual_lshlrev_b32 v14, 3, v14
	s_delay_alu instid0(VALU_DEP_1) | instskip(NEXT) | instid1(VALU_DEP_2)
	v_and_b32_e32 v14, 0xf8, v14
	v_cmp_eq_u64_e32 vcc_lo, 0, v[10:11]
	s_delay_alu instid0(VALU_DEP_2)
	v_and_or_b32 v3, v10, 7, v14
	s_and_b32 s10, s10, vcc_lo
	s_delay_alu instid0(VALU_DEP_1) | instid1(SALU_CYCLE_1)
	v_cndmask_b32_e64 v3, v3, 0, s10
	s_delay_alu instid0(VALU_DEP_1)
	v_or_b32_e32 v117, v3, v2
.LBB4_8120:                             ;   in Loop: Header=BB4_7930 Depth=2
	s_or_b32 exec_lo, exec_lo, s29
                                        ; implicit-def: $vgpr2
.LBB4_8121:                             ;   in Loop: Header=BB4_7930 Depth=2
	s_and_not1_saveexec_b32 s10, s28
; %bb.8122:                             ;   in Loop: Header=BB4_7930 Depth=2
	v_or_b32_e32 v117, 0x7e, v2
; %bb.8123:                             ;   in Loop: Header=BB4_7930 Depth=2
	s_or_b32 exec_lo, exec_lo, s10
                                        ; implicit-def: $vgpr2
.LBB4_8124:                             ;   in Loop: Header=BB4_7930 Depth=2
	s_and_not1_saveexec_b32 s10, s27
; %bb.8125:                             ;   in Loop: Header=BB4_7930 Depth=2
	v_or_b32_e32 v117, 0x7f, v2
; %bb.8126:                             ;   in Loop: Header=BB4_7930 Depth=2
	s_or_b32 exec_lo, exec_lo, s10
	v_and_b32_e32 v3, 0xff, v12
	v_mov_b32_e32 v2, 0
	s_mov_b32 s10, exec_lo
	s_delay_alu instid0(VALU_DEP_2)
	v_cmpx_ne_u16_e32 0, v3
	s_cbranch_execz .LBB4_8132
; %bb.8127:                             ;   in Loop: Header=BB4_7930 Depth=2
	v_bfrev_b32_e32 v2, 1
	s_mov_b32 s27, exec_lo
	v_cmpx_ne_u16_e32 0x80, v3
	s_cbranch_execz .LBB4_8131
; %bb.8128:                             ;   in Loop: Header=BB4_7930 Depth=2
	v_and_b32_e32 v3, 0x7f, v12
	v_mov_b32_e32 v2, 0x7f800001
	s_mov_b32 s28, exec_lo
	s_delay_alu instid0(VALU_DEP_2)
	v_cmpx_ne_u32_e32 0x7f, v3
	s_cbranch_execz .LBB4_8130
; %bb.8129:                             ;   in Loop: Header=BB4_7930 Depth=2
	v_dual_lshrrev_b32 v10, 3, v3 :: v_dual_bitop2_b32 v2, 7, v12 bitop3:0x40
	v_cmp_gt_u32_e32 vcc_lo, 8, v3
	s_delay_alu instid0(VALU_DEP_2) | instskip(NEXT) | instid1(VALU_DEP_1)
	v_clz_i32_u32_e32 v2, v2
	v_min_u32_e32 v2, 32, v2
	s_delay_alu instid0(VALU_DEP_1) | instskip(SKIP_1) | instid1(VALU_DEP_1)
	v_subrev_nc_u32_e32 v11, 28, v2
	v_sub_nc_u32_e32 v2, 29, v2
	v_dual_cndmask_b32 v10, v10, v2, vcc_lo :: v_dual_cndmask_b32 v2, 0, v11, vcc_lo
	s_delay_alu instid0(VALU_DEP_1) | instskip(NEXT) | instid1(VALU_DEP_2)
	v_lshl_add_u32 v10, v10, 23, 0x3c000000
	v_lshlrev_b64_e32 v[2:3], v2, v[12:13]
	v_lshlrev_b32_e32 v3, 24, v12
	s_delay_alu instid0(VALU_DEP_1) | instskip(NEXT) | instid1(VALU_DEP_3)
	v_and_b32_e32 v3, 0x80000000, v3
	v_lshlrev_b32_e32 v2, 20, v2
	s_delay_alu instid0(VALU_DEP_1) | instskip(NEXT) | instid1(VALU_DEP_1)
	v_and_b32_e32 v2, 0x700000, v2
	v_or3_b32 v2, v2, v3, v10
.LBB4_8130:                             ;   in Loop: Header=BB4_7930 Depth=2
	s_or_b32 exec_lo, exec_lo, s28
.LBB4_8131:                             ;   in Loop: Header=BB4_7930 Depth=2
	s_delay_alu instid0(SALU_CYCLE_1)
	s_or_b32 exec_lo, exec_lo, s27
.LBB4_8132:                             ;   in Loop: Header=BB4_7930 Depth=2
	s_delay_alu instid0(SALU_CYCLE_1) | instskip(NEXT) | instid1(VALU_DEP_1)
	s_or_b32 exec_lo, exec_lo, s10
	v_mul_f32_e32 v3, s26, v2
                                        ; implicit-def: $vgpr118
	s_mov_b32 s10, exec_lo
	s_delay_alu instid0(VALU_DEP_1) | instskip(SKIP_1) | instid1(VALU_DEP_2)
	v_and_b32_e32 v14, 0x7f800000, v3
	v_lshrrev_b32_e32 v2, 24, v3
	v_cmpx_ne_u64_e32 0x7f800000, v[14:15]
	s_xor_b32 s27, exec_lo, s10
	s_cbranch_execz .LBB4_8146
; %bb.8133:                             ;   in Loop: Header=BB4_7930 Depth=2
	v_and_b32_e32 v14, 0x7fffffff, v3
	v_and_b32_e32 v2, 0x80, v2
                                        ; implicit-def: $vgpr118
	s_mov_b32 s10, exec_lo
	s_delay_alu instid0(VALU_DEP_2)
	v_cmpx_gt_u64_e32 0x43e00001, v[14:15]
	s_xor_b32 s28, exec_lo, s10
	s_cbranch_execz .LBB4_8143
; %bb.8134:                             ;   in Loop: Header=BB4_7930 Depth=2
	v_mov_b32_e32 v118, 0
	s_mov_b32 s29, exec_lo
	v_cmpx_ne_u32_e32 0, v3
	s_cbranch_execz .LBB4_8142
; %bb.8135:                             ;   in Loop: Header=BB4_7930 Depth=2
	v_bfe_u32 v96, v3, 23, 8
	v_and_b32_e32 v3, 0x7fffff, v3
	s_delay_alu instid0(VALU_DEP_2) | instskip(SKIP_1) | instid1(VALU_DEP_3)
	v_sub_nc_u32_e32 v10, 0x79, v96
	v_cmp_gt_u32_e32 vcc_lo, 0x7a, v96
	v_or_b32_e32 v14, 0x800000, v3
	s_delay_alu instid0(VALU_DEP_3) | instskip(SKIP_1) | instid1(VALU_DEP_2)
	v_cndmask_b32_e32 v10, 0, v10, vcc_lo
	v_cmp_eq_u32_e32 vcc_lo, 0, v96
	v_cndmask_b32_e64 v97, v10, 0x78, vcc_lo
	s_delay_alu instid0(VALU_DEP_1) | instskip(SKIP_1) | instid1(VALU_DEP_2)
	v_dual_cndmask_b32 v14, v14, v3, vcc_lo :: v_dual_add_nc_u32 v10, 20, v97
	v_add_nc_u32_e32 v20, 19, v97
	v_lshlrev_b64_e64 v[10:11], v10, -1
	s_delay_alu instid0(VALU_DEP_2) | instskip(NEXT) | instid1(VALU_DEP_2)
	v_lshlrev_b64_e64 v[86:87], v20, 1
	v_bfi_b32 v119, v11, 0, 0
	s_delay_alu instid0(VALU_DEP_3) | instskip(SKIP_1) | instid1(VALU_DEP_2)
	v_bfi_b32 v118, v10, 0, v14
	v_lshrrev_b64 v[10:11], v97, v[14:15]
	v_cmp_eq_u64_e64 s10, v[118:119], v[86:87]
	s_delay_alu instid0(VALU_DEP_2)
	v_mov_b64_e32 v[86:87], v[10:11]
	s_and_saveexec_b32 s40, s10
; %bb.8136:                             ;   in Loop: Header=BB4_7930 Depth=2
	v_bfe_u32 v14, v10, 20, 1
	s_delay_alu instid0(VALU_DEP_1) | instskip(NEXT) | instid1(VALU_DEP_1)
	v_add_nc_u64_e32 v[86:87], v[10:11], v[14:15]
	v_add_nc_u64_e32 v[86:87], -1, v[86:87]
; %bb.8137:                             ;   in Loop: Header=BB4_7930 Depth=2
	s_or_b32 exec_lo, exec_lo, s40
	v_add_nc_u32_e32 v3, 0xffffff81, v96
	v_lshrrev_b32_e32 v11, 23, v10
	s_mov_b32 s10, exec_lo
	s_delay_alu instid0(VALU_DEP_2) | instskip(NEXT) | instid1(VALU_DEP_1)
	v_cndmask_b32_e64 v3, v3, 0xffffff82, vcc_lo
	v_add3_u32 v87, v97, v3, v11
	v_and_b32_e32 v3, 0xfffff, v86
	s_delay_alu instid0(VALU_DEP_1) | instskip(NEXT) | instid1(VALU_DEP_1)
	v_dual_add_nc_u32 v86, 6, v87 :: v_dual_add_nc_u32 v14, v3, v10
                                        ; implicit-def: $vgpr10_vgpr11
                                        ; implicit-def: $vgpr3
	v_cmpx_ne_u32_e32 0, v86
	s_xor_b32 s10, exec_lo, s10
; %bb.8138:                             ;   in Loop: Header=BB4_7930 Depth=2
	s_delay_alu instid0(VALU_DEP_2) | instskip(SKIP_2) | instid1(VALU_DEP_2)
	v_cmp_lt_u64_e32 vcc_lo, 0xffffff, v[14:15]
	v_add_nc_u32_e32 v3, 7, v87
	v_cndmask_b32_e64 v10, 0, 1, vcc_lo
	v_cndmask_b32_e32 v3, v86, v3, vcc_lo
	s_delay_alu instid0(VALU_DEP_2)
	v_lshrrev_b64 v[10:11], v10, v[14:15]
; %bb.8139:                             ;   in Loop: Header=BB4_7930 Depth=2
	s_and_not1_saveexec_b32 s10, s10
; %bb.8140:                             ;   in Loop: Header=BB4_7930 Depth=2
	v_mov_b64_e32 v[10:11], v[14:15]
	v_bfe_u32 v3, v14, 23, 1
; %bb.8141:                             ;   in Loop: Header=BB4_7930 Depth=2
	s_or_b32 exec_lo, exec_lo, s10
	s_delay_alu instid0(VALU_DEP_2) | instskip(NEXT) | instid1(VALU_DEP_2)
	v_lshrrev_b64 v[10:11], 20, v[10:11]
	v_cmp_gt_i32_e32 vcc_lo, 16, v3
	v_min_i32_e32 v14, 15, v3
	v_cmp_eq_u32_e64 s10, 0, v3
	s_delay_alu instid0(VALU_DEP_4) | instskip(NEXT) | instid1(VALU_DEP_3)
	v_cndmask_b32_e32 v10, 7, v10, vcc_lo
	v_dual_cndmask_b32 v11, 0, v11 :: v_dual_lshlrev_b32 v14, 3, v14
	s_delay_alu instid0(VALU_DEP_1) | instskip(NEXT) | instid1(VALU_DEP_2)
	v_and_b32_e32 v14, 0xf8, v14
	v_cmp_eq_u64_e32 vcc_lo, 0, v[10:11]
	s_delay_alu instid0(VALU_DEP_2)
	v_and_or_b32 v3, v10, 7, v14
	s_and_b32 s10, s10, vcc_lo
	s_delay_alu instid0(VALU_DEP_1) | instid1(SALU_CYCLE_1)
	v_cndmask_b32_e64 v3, v3, 0, s10
	s_delay_alu instid0(VALU_DEP_1)
	v_or_b32_e32 v118, v3, v2
.LBB4_8142:                             ;   in Loop: Header=BB4_7930 Depth=2
	s_or_b32 exec_lo, exec_lo, s29
                                        ; implicit-def: $vgpr2
.LBB4_8143:                             ;   in Loop: Header=BB4_7930 Depth=2
	s_and_not1_saveexec_b32 s10, s28
; %bb.8144:                             ;   in Loop: Header=BB4_7930 Depth=2
	v_or_b32_e32 v118, 0x7e, v2
; %bb.8145:                             ;   in Loop: Header=BB4_7930 Depth=2
	s_or_b32 exec_lo, exec_lo, s10
                                        ; implicit-def: $vgpr2
.LBB4_8146:                             ;   in Loop: Header=BB4_7930 Depth=2
	s_and_not1_saveexec_b32 s10, s27
; %bb.8147:                             ;   in Loop: Header=BB4_7930 Depth=2
	v_or_b32_e32 v118, 0x7f, v2
; %bb.8148:                             ;   in Loop: Header=BB4_7930 Depth=2
	s_or_b32 exec_lo, exec_lo, s10
	v_lshrrev_b16 v3, 8, v12
	v_mov_b32_e32 v2, 0
	s_mov_b32 s10, exec_lo
	s_delay_alu instid0(VALU_DEP_2)
	v_cmpx_ne_u16_e32 0, v3
	s_cbranch_execz .LBB4_8156
; %bb.8149:                             ;   in Loop: Header=BB4_7930 Depth=2
	v_bfrev_b32_e32 v2, 1
	s_mov_b32 s27, exec_lo
	v_cmpx_ne_u16_e32 0x80, v3
	s_cbranch_execz .LBB4_8155
; %bb.8150:                             ;   in Loop: Header=BB4_7930 Depth=2
	v_and_b32_e32 v10, 0xffff, v3
	v_mov_b32_e32 v2, 0x7f800001
	s_mov_b32 s28, exec_lo
	s_delay_alu instid0(VALU_DEP_2) | instskip(NEXT) | instid1(VALU_DEP_1)
	v_and_b32_e32 v3, 0x7f, v10
	v_cmpx_ne_u32_e32 0x7f, v3
	s_cbranch_execz .LBB4_8154
; %bb.8151:                             ;   in Loop: Header=BB4_7930 Depth=2
	v_dual_lshrrev_b32 v2, 3, v3 :: v_dual_bitop2_b32 v14, 7, v10 bitop3:0x40
	s_mov_b32 s29, exec_lo
	v_cmpx_gt_u32_e32 8, v3
; %bb.8152:                             ;   in Loop: Header=BB4_7930 Depth=2
	s_delay_alu instid0(VALU_DEP_2) | instskip(NEXT) | instid1(VALU_DEP_1)
	v_clz_i32_u32_e32 v2, v14
	v_min_u32_e32 v2, 32, v2
	s_delay_alu instid0(VALU_DEP_1) | instskip(SKIP_1) | instid1(VALU_DEP_2)
	v_subrev_nc_u32_e32 v3, 28, v2
	v_sub_nc_u32_e32 v2, 29, v2
	v_lshlrev_b64_e32 v[10:11], v3, v[14:15]
	s_delay_alu instid0(VALU_DEP_1)
	v_and_b32_e32 v14, 7, v10
; %bb.8153:                             ;   in Loop: Header=BB4_7930 Depth=2
	s_or_b32 exec_lo, exec_lo, s29
	s_delay_alu instid0(VALU_DEP_1) | instskip(SKIP_1) | instid1(VALU_DEP_2)
	v_dual_lshlrev_b32 v3, 16, v12 :: v_dual_lshlrev_b32 v10, 20, v14
	v_lshl_add_u32 v2, v2, 23, 0x3c000000
	v_and_b32_e32 v3, 0x80000000, v3
	s_delay_alu instid0(VALU_DEP_1)
	v_or3_b32 v2, v10, v3, v2
.LBB4_8154:                             ;   in Loop: Header=BB4_7930 Depth=2
	s_or_b32 exec_lo, exec_lo, s28
.LBB4_8155:                             ;   in Loop: Header=BB4_7930 Depth=2
	s_delay_alu instid0(SALU_CYCLE_1)
	s_or_b32 exec_lo, exec_lo, s27
.LBB4_8156:                             ;   in Loop: Header=BB4_7930 Depth=2
	s_delay_alu instid0(SALU_CYCLE_1) | instskip(NEXT) | instid1(VALU_DEP_1)
	s_or_b32 exec_lo, exec_lo, s10
	v_mul_f32_e32 v3, s26, v2
                                        ; implicit-def: $vgpr119
	s_mov_b32 s10, exec_lo
	s_delay_alu instid0(VALU_DEP_1) | instskip(SKIP_1) | instid1(VALU_DEP_2)
	v_and_b32_e32 v14, 0x7f800000, v3
	v_lshrrev_b32_e32 v2, 24, v3
	v_cmpx_ne_u64_e32 0x7f800000, v[14:15]
	s_xor_b32 s27, exec_lo, s10
	s_cbranch_execz .LBB4_8170
; %bb.8157:                             ;   in Loop: Header=BB4_7930 Depth=2
	v_and_b32_e32 v14, 0x7fffffff, v3
	v_and_b32_e32 v2, 0x80, v2
                                        ; implicit-def: $vgpr119
	s_mov_b32 s10, exec_lo
	s_delay_alu instid0(VALU_DEP_2)
	v_cmpx_gt_u64_e32 0x43e00001, v[14:15]
	s_xor_b32 s28, exec_lo, s10
	s_cbranch_execz .LBB4_8167
; %bb.8158:                             ;   in Loop: Header=BB4_7930 Depth=2
	v_mov_b32_e32 v119, 0
	s_mov_b32 s29, exec_lo
	v_cmpx_ne_u32_e32 0, v3
	s_cbranch_execz .LBB4_8166
; %bb.8159:                             ;   in Loop: Header=BB4_7930 Depth=2
	v_bfe_u32 v96, v3, 23, 8
	v_and_b32_e32 v3, 0x7fffff, v3
	s_delay_alu instid0(VALU_DEP_2) | instskip(SKIP_1) | instid1(VALU_DEP_3)
	v_sub_nc_u32_e32 v10, 0x79, v96
	v_cmp_gt_u32_e32 vcc_lo, 0x7a, v96
	v_or_b32_e32 v14, 0x800000, v3
	s_delay_alu instid0(VALU_DEP_3) | instskip(SKIP_1) | instid1(VALU_DEP_2)
	v_cndmask_b32_e32 v10, 0, v10, vcc_lo
	v_cmp_eq_u32_e32 vcc_lo, 0, v96
	v_cndmask_b32_e64 v97, v10, 0x78, vcc_lo
	s_delay_alu instid0(VALU_DEP_1) | instskip(SKIP_1) | instid1(VALU_DEP_2)
	v_dual_cndmask_b32 v14, v14, v3, vcc_lo :: v_dual_add_nc_u32 v10, 20, v97
	v_add_nc_u32_e32 v20, 19, v97
	v_lshlrev_b64_e64 v[10:11], v10, -1
	s_delay_alu instid0(VALU_DEP_2) | instskip(NEXT) | instid1(VALU_DEP_2)
	v_lshlrev_b64_e64 v[86:87], v20, 1
	v_bfi_b32 v41, v11, 0, 0
	s_delay_alu instid0(VALU_DEP_3) | instskip(SKIP_1) | instid1(VALU_DEP_2)
	v_bfi_b32 v40, v10, 0, v14
	v_lshrrev_b64 v[10:11], v97, v[14:15]
	v_cmp_eq_u64_e64 s10, v[40:41], v[86:87]
	s_delay_alu instid0(VALU_DEP_2)
	v_mov_b64_e32 v[86:87], v[10:11]
	s_and_saveexec_b32 s40, s10
; %bb.8160:                             ;   in Loop: Header=BB4_7930 Depth=2
	v_bfe_u32 v14, v10, 20, 1
	s_delay_alu instid0(VALU_DEP_1) | instskip(NEXT) | instid1(VALU_DEP_1)
	v_add_nc_u64_e32 v[86:87], v[10:11], v[14:15]
	v_add_nc_u64_e32 v[86:87], -1, v[86:87]
; %bb.8161:                             ;   in Loop: Header=BB4_7930 Depth=2
	s_or_b32 exec_lo, exec_lo, s40
	v_add_nc_u32_e32 v3, 0xffffff81, v96
	v_lshrrev_b32_e32 v11, 23, v10
	s_mov_b32 s10, exec_lo
	s_delay_alu instid0(VALU_DEP_2) | instskip(NEXT) | instid1(VALU_DEP_1)
	v_cndmask_b32_e64 v3, v3, 0xffffff82, vcc_lo
	v_add3_u32 v87, v97, v3, v11
	v_and_b32_e32 v3, 0xfffff, v86
	s_delay_alu instid0(VALU_DEP_1) | instskip(NEXT) | instid1(VALU_DEP_1)
	v_dual_add_nc_u32 v86, 6, v87 :: v_dual_add_nc_u32 v14, v3, v10
                                        ; implicit-def: $vgpr10_vgpr11
                                        ; implicit-def: $vgpr3
	v_cmpx_ne_u32_e32 0, v86
	s_xor_b32 s10, exec_lo, s10
; %bb.8162:                             ;   in Loop: Header=BB4_7930 Depth=2
	s_delay_alu instid0(VALU_DEP_2) | instskip(SKIP_2) | instid1(VALU_DEP_2)
	v_cmp_lt_u64_e32 vcc_lo, 0xffffff, v[14:15]
	v_add_nc_u32_e32 v3, 7, v87
	v_cndmask_b32_e64 v10, 0, 1, vcc_lo
	v_cndmask_b32_e32 v3, v86, v3, vcc_lo
	s_delay_alu instid0(VALU_DEP_2)
	v_lshrrev_b64 v[10:11], v10, v[14:15]
; %bb.8163:                             ;   in Loop: Header=BB4_7930 Depth=2
	s_and_not1_saveexec_b32 s10, s10
; %bb.8164:                             ;   in Loop: Header=BB4_7930 Depth=2
	v_mov_b64_e32 v[10:11], v[14:15]
	v_bfe_u32 v3, v14, 23, 1
; %bb.8165:                             ;   in Loop: Header=BB4_7930 Depth=2
	s_or_b32 exec_lo, exec_lo, s10
	s_delay_alu instid0(VALU_DEP_2) | instskip(NEXT) | instid1(VALU_DEP_2)
	v_lshrrev_b64 v[10:11], 20, v[10:11]
	v_cmp_gt_i32_e32 vcc_lo, 16, v3
	v_min_i32_e32 v14, 15, v3
	v_cmp_eq_u32_e64 s10, 0, v3
	s_delay_alu instid0(VALU_DEP_4) | instskip(NEXT) | instid1(VALU_DEP_3)
	v_cndmask_b32_e32 v10, 7, v10, vcc_lo
	v_dual_cndmask_b32 v11, 0, v11 :: v_dual_lshlrev_b32 v14, 3, v14
	s_delay_alu instid0(VALU_DEP_1) | instskip(NEXT) | instid1(VALU_DEP_2)
	v_and_b32_e32 v14, 0xf8, v14
	v_cmp_eq_u64_e32 vcc_lo, 0, v[10:11]
	s_delay_alu instid0(VALU_DEP_2)
	v_and_or_b32 v3, v10, 7, v14
	s_and_b32 s10, s10, vcc_lo
	s_delay_alu instid0(VALU_DEP_1) | instid1(SALU_CYCLE_1)
	v_cndmask_b32_e64 v3, v3, 0, s10
	s_delay_alu instid0(VALU_DEP_1)
	v_or_b32_e32 v119, v3, v2
.LBB4_8166:                             ;   in Loop: Header=BB4_7930 Depth=2
	s_or_b32 exec_lo, exec_lo, s29
                                        ; implicit-def: $vgpr2
.LBB4_8167:                             ;   in Loop: Header=BB4_7930 Depth=2
	s_and_not1_saveexec_b32 s10, s28
; %bb.8168:                             ;   in Loop: Header=BB4_7930 Depth=2
	v_or_b32_e32 v119, 0x7e, v2
; %bb.8169:                             ;   in Loop: Header=BB4_7930 Depth=2
	s_or_b32 exec_lo, exec_lo, s10
                                        ; implicit-def: $vgpr2
.LBB4_8170:                             ;   in Loop: Header=BB4_7930 Depth=2
	s_and_not1_saveexec_b32 s10, s27
; %bb.8171:                             ;   in Loop: Header=BB4_7930 Depth=2
	v_or_b32_e32 v119, 0x7f, v2
; %bb.8172:                             ;   in Loop: Header=BB4_7930 Depth=2
	s_or_b32 exec_lo, exec_lo, s10
	v_dual_mov_b32 v3, 0 :: v_dual_lshrrev_b32 v2, 16, v12
	s_mov_b32 s10, exec_lo
	s_delay_alu instid0(VALU_DEP_1) | instskip(NEXT) | instid1(VALU_DEP_1)
	v_and_b32_e32 v10, 0xff, v2
	v_cmpx_ne_u16_e32 0, v10
	s_cbranch_execz .LBB4_8180
; %bb.8173:                             ;   in Loop: Header=BB4_7930 Depth=2
	v_bfrev_b32_e32 v3, 1
	s_mov_b32 s27, exec_lo
	v_cmpx_ne_u16_e32 0x80, v10
	s_cbranch_execz .LBB4_8179
; %bb.8174:                             ;   in Loop: Header=BB4_7930 Depth=2
	v_bfe_u32 v10, v12, 16, 7
	v_mov_b32_e32 v3, 0x7f800001
	s_mov_b32 s28, exec_lo
	s_delay_alu instid0(VALU_DEP_2)
	v_cmpx_ne_u32_e32 0x7f, v10
	s_cbranch_execz .LBB4_8178
; %bb.8175:                             ;   in Loop: Header=BB4_7930 Depth=2
	v_and_b32_e32 v14, 7, v2
	v_lshrrev_b32_e32 v3, 3, v10
	s_mov_b32 s29, exec_lo
	v_cmpx_gt_u32_e32 8, v10
; %bb.8176:                             ;   in Loop: Header=BB4_7930 Depth=2
	s_delay_alu instid0(VALU_DEP_3) | instskip(NEXT) | instid1(VALU_DEP_1)
	v_clz_i32_u32_e32 v3, v14
	v_min_u32_e32 v3, 32, v3
	s_delay_alu instid0(VALU_DEP_1) | instskip(NEXT) | instid1(VALU_DEP_1)
	v_subrev_nc_u32_e32 v10, 28, v3
	v_lshlrev_b64_e32 v[10:11], v10, v[14:15]
	s_delay_alu instid0(VALU_DEP_1)
	v_dual_sub_nc_u32 v3, 29, v3 :: v_dual_bitop2_b32 v14, 7, v10 bitop3:0x40
; %bb.8177:                             ;   in Loop: Header=BB4_7930 Depth=2
	s_or_b32 exec_lo, exec_lo, s29
	v_lshlrev_b32_e32 v2, 24, v2
	s_delay_alu instid0(VALU_DEP_2) | instskip(NEXT) | instid1(VALU_DEP_3)
	v_lshlrev_b32_e32 v10, 20, v14
	v_lshl_add_u32 v3, v3, 23, 0x3c000000
	s_delay_alu instid0(VALU_DEP_3) | instskip(NEXT) | instid1(VALU_DEP_1)
	v_and_b32_e32 v2, 0x80000000, v2
	v_or3_b32 v3, v10, v2, v3
.LBB4_8178:                             ;   in Loop: Header=BB4_7930 Depth=2
	s_or_b32 exec_lo, exec_lo, s28
.LBB4_8179:                             ;   in Loop: Header=BB4_7930 Depth=2
	s_delay_alu instid0(SALU_CYCLE_1)
	s_or_b32 exec_lo, exec_lo, s27
.LBB4_8180:                             ;   in Loop: Header=BB4_7930 Depth=2
	s_delay_alu instid0(SALU_CYCLE_1) | instskip(NEXT) | instid1(VALU_DEP_1)
	s_or_b32 exec_lo, exec_lo, s10
	v_mul_f32_e32 v3, s26, v3
                                        ; implicit-def: $vgpr40
	s_mov_b32 s10, exec_lo
	s_delay_alu instid0(VALU_DEP_1) | instskip(SKIP_1) | instid1(VALU_DEP_2)
	v_and_b32_e32 v14, 0x7f800000, v3
	v_lshrrev_b32_e32 v2, 24, v3
	v_cmpx_ne_u64_e32 0x7f800000, v[14:15]
	s_xor_b32 s27, exec_lo, s10
	s_cbranch_execz .LBB4_8194
; %bb.8181:                             ;   in Loop: Header=BB4_7930 Depth=2
	v_and_b32_e32 v14, 0x7fffffff, v3
	v_and_b32_e32 v2, 0x80, v2
                                        ; implicit-def: $vgpr40
	s_mov_b32 s10, exec_lo
	s_delay_alu instid0(VALU_DEP_2)
	v_cmpx_gt_u64_e32 0x43e00001, v[14:15]
	s_xor_b32 s28, exec_lo, s10
	s_cbranch_execz .LBB4_8191
; %bb.8182:                             ;   in Loop: Header=BB4_7930 Depth=2
	v_mov_b32_e32 v40, 0
	s_mov_b32 s29, exec_lo
	v_cmpx_ne_u32_e32 0, v3
	s_cbranch_execz .LBB4_8190
; %bb.8183:                             ;   in Loop: Header=BB4_7930 Depth=2
	v_bfe_u32 v96, v3, 23, 8
	v_and_b32_e32 v3, 0x7fffff, v3
	s_delay_alu instid0(VALU_DEP_2) | instskip(SKIP_1) | instid1(VALU_DEP_3)
	v_sub_nc_u32_e32 v10, 0x79, v96
	v_cmp_gt_u32_e32 vcc_lo, 0x7a, v96
	v_or_b32_e32 v14, 0x800000, v3
	s_delay_alu instid0(VALU_DEP_3) | instskip(SKIP_1) | instid1(VALU_DEP_2)
	v_cndmask_b32_e32 v10, 0, v10, vcc_lo
	v_cmp_eq_u32_e32 vcc_lo, 0, v96
	v_cndmask_b32_e64 v97, v10, 0x78, vcc_lo
	s_delay_alu instid0(VALU_DEP_1) | instskip(SKIP_1) | instid1(VALU_DEP_2)
	v_dual_cndmask_b32 v14, v14, v3, vcc_lo :: v_dual_add_nc_u32 v10, 20, v97
	v_add_nc_u32_e32 v20, 19, v97
	v_lshlrev_b64_e64 v[10:11], v10, -1
	s_delay_alu instid0(VALU_DEP_2) | instskip(NEXT) | instid1(VALU_DEP_2)
	v_lshlrev_b64_e64 v[86:87], v20, 1
	v_bfi_b32 v41, v11, 0, 0
	s_delay_alu instid0(VALU_DEP_3) | instskip(SKIP_1) | instid1(VALU_DEP_2)
	v_bfi_b32 v40, v10, 0, v14
	v_lshrrev_b64 v[10:11], v97, v[14:15]
	v_cmp_eq_u64_e64 s10, v[40:41], v[86:87]
	s_delay_alu instid0(VALU_DEP_2)
	v_mov_b64_e32 v[86:87], v[10:11]
	s_and_saveexec_b32 s40, s10
; %bb.8184:                             ;   in Loop: Header=BB4_7930 Depth=2
	v_bfe_u32 v14, v10, 20, 1
	s_delay_alu instid0(VALU_DEP_1) | instskip(NEXT) | instid1(VALU_DEP_1)
	v_add_nc_u64_e32 v[86:87], v[10:11], v[14:15]
	v_add_nc_u64_e32 v[86:87], -1, v[86:87]
; %bb.8185:                             ;   in Loop: Header=BB4_7930 Depth=2
	s_or_b32 exec_lo, exec_lo, s40
	v_add_nc_u32_e32 v3, 0xffffff81, v96
	v_lshrrev_b32_e32 v11, 23, v10
	s_mov_b32 s10, exec_lo
	s_delay_alu instid0(VALU_DEP_2) | instskip(NEXT) | instid1(VALU_DEP_1)
	v_cndmask_b32_e64 v3, v3, 0xffffff82, vcc_lo
	v_add3_u32 v87, v97, v3, v11
	v_and_b32_e32 v3, 0xfffff, v86
	s_delay_alu instid0(VALU_DEP_1) | instskip(NEXT) | instid1(VALU_DEP_1)
	v_dual_add_nc_u32 v86, 6, v87 :: v_dual_add_nc_u32 v14, v3, v10
                                        ; implicit-def: $vgpr10_vgpr11
                                        ; implicit-def: $vgpr3
	v_cmpx_ne_u32_e32 0, v86
	s_xor_b32 s10, exec_lo, s10
; %bb.8186:                             ;   in Loop: Header=BB4_7930 Depth=2
	s_delay_alu instid0(VALU_DEP_2) | instskip(SKIP_2) | instid1(VALU_DEP_2)
	v_cmp_lt_u64_e32 vcc_lo, 0xffffff, v[14:15]
	v_add_nc_u32_e32 v3, 7, v87
	v_cndmask_b32_e64 v10, 0, 1, vcc_lo
	v_cndmask_b32_e32 v3, v86, v3, vcc_lo
	s_delay_alu instid0(VALU_DEP_2)
	v_lshrrev_b64 v[10:11], v10, v[14:15]
; %bb.8187:                             ;   in Loop: Header=BB4_7930 Depth=2
	s_and_not1_saveexec_b32 s10, s10
; %bb.8188:                             ;   in Loop: Header=BB4_7930 Depth=2
	v_mov_b64_e32 v[10:11], v[14:15]
	v_bfe_u32 v3, v14, 23, 1
; %bb.8189:                             ;   in Loop: Header=BB4_7930 Depth=2
	s_or_b32 exec_lo, exec_lo, s10
	s_delay_alu instid0(VALU_DEP_2) | instskip(NEXT) | instid1(VALU_DEP_2)
	v_lshrrev_b64 v[10:11], 20, v[10:11]
	v_cmp_gt_i32_e32 vcc_lo, 16, v3
	v_min_i32_e32 v14, 15, v3
	v_cmp_eq_u32_e64 s10, 0, v3
	s_delay_alu instid0(VALU_DEP_4) | instskip(NEXT) | instid1(VALU_DEP_3)
	v_cndmask_b32_e32 v10, 7, v10, vcc_lo
	v_dual_cndmask_b32 v11, 0, v11 :: v_dual_lshlrev_b32 v14, 3, v14
	s_delay_alu instid0(VALU_DEP_1) | instskip(NEXT) | instid1(VALU_DEP_2)
	v_and_b32_e32 v14, 0xf8, v14
	v_cmp_eq_u64_e32 vcc_lo, 0, v[10:11]
	s_delay_alu instid0(VALU_DEP_2)
	v_and_or_b32 v3, v10, 7, v14
	s_and_b32 s10, s10, vcc_lo
	s_delay_alu instid0(VALU_DEP_1) | instid1(SALU_CYCLE_1)
	v_cndmask_b32_e64 v3, v3, 0, s10
	s_delay_alu instid0(VALU_DEP_1)
	v_or_b32_e32 v40, v3, v2
.LBB4_8190:                             ;   in Loop: Header=BB4_7930 Depth=2
	s_or_b32 exec_lo, exec_lo, s29
                                        ; implicit-def: $vgpr2
.LBB4_8191:                             ;   in Loop: Header=BB4_7930 Depth=2
	s_and_not1_saveexec_b32 s10, s28
; %bb.8192:                             ;   in Loop: Header=BB4_7930 Depth=2
	v_or_b32_e32 v40, 0x7e, v2
; %bb.8193:                             ;   in Loop: Header=BB4_7930 Depth=2
	s_or_b32 exec_lo, exec_lo, s10
                                        ; implicit-def: $vgpr2
.LBB4_8194:                             ;   in Loop: Header=BB4_7930 Depth=2
	s_and_not1_saveexec_b32 s10, s27
; %bb.8195:                             ;   in Loop: Header=BB4_7930 Depth=2
	v_or_b32_e32 v40, 0x7f, v2
; %bb.8196:                             ;   in Loop: Header=BB4_7930 Depth=2
	s_or_b32 exec_lo, exec_lo, s10
	v_mov_b32_e32 v3, 0
	s_mov_b32 s10, exec_lo
	v_cmpx_lt_u32_e32 0xffffff, v12
	s_cbranch_execz .LBB4_8204
; %bb.8197:                             ;   in Loop: Header=BB4_7930 Depth=2
	v_lshrrev_b32_e32 v2, 24, v12
	v_bfrev_b32_e32 v3, 1
	s_mov_b32 s27, exec_lo
	s_delay_alu instid0(VALU_DEP_2)
	v_cmpx_ne_u32_e32 0x80, v2
	s_cbranch_execz .LBB4_8203
; %bb.8198:                             ;   in Loop: Header=BB4_7930 Depth=2
	v_bfe_u32 v10, v12, 24, 7
	v_mov_b32_e32 v3, 0x7f800001
	s_mov_b32 s28, exec_lo
	s_delay_alu instid0(VALU_DEP_2)
	v_cmpx_ne_u32_e32 0x7f, v10
	s_cbranch_execz .LBB4_8202
; %bb.8199:                             ;   in Loop: Header=BB4_7930 Depth=2
	v_and_b32_e32 v14, 7, v2
	v_lshrrev_b32_e32 v3, 3, v10
	s_mov_b32 s29, exec_lo
	v_cmpx_gt_u32_e32 8, v10
; %bb.8200:                             ;   in Loop: Header=BB4_7930 Depth=2
	s_delay_alu instid0(VALU_DEP_3) | instskip(NEXT) | instid1(VALU_DEP_1)
	v_clz_i32_u32_e32 v3, v14
	v_min_u32_e32 v3, 32, v3
	s_delay_alu instid0(VALU_DEP_1) | instskip(NEXT) | instid1(VALU_DEP_1)
	v_subrev_nc_u32_e32 v10, 28, v3
	v_lshlrev_b64_e32 v[10:11], v10, v[14:15]
	s_delay_alu instid0(VALU_DEP_1)
	v_dual_sub_nc_u32 v3, 29, v3 :: v_dual_bitop2_b32 v14, 7, v10 bitop3:0x40
; %bb.8201:                             ;   in Loop: Header=BB4_7930 Depth=2
	s_or_b32 exec_lo, exec_lo, s29
	v_lshlrev_b32_e32 v2, 24, v2
	s_delay_alu instid0(VALU_DEP_2) | instskip(NEXT) | instid1(VALU_DEP_3)
	v_lshlrev_b32_e32 v10, 20, v14
	v_lshl_add_u32 v3, v3, 23, 0x3c000000
	s_delay_alu instid0(VALU_DEP_3) | instskip(NEXT) | instid1(VALU_DEP_1)
	v_and_b32_e32 v2, 0x80000000, v2
	v_or3_b32 v3, v10, v2, v3
.LBB4_8202:                             ;   in Loop: Header=BB4_7930 Depth=2
	s_or_b32 exec_lo, exec_lo, s28
.LBB4_8203:                             ;   in Loop: Header=BB4_7930 Depth=2
	s_delay_alu instid0(SALU_CYCLE_1)
	s_or_b32 exec_lo, exec_lo, s27
.LBB4_8204:                             ;   in Loop: Header=BB4_7930 Depth=2
	s_delay_alu instid0(SALU_CYCLE_1) | instskip(NEXT) | instid1(VALU_DEP_1)
	s_or_b32 exec_lo, exec_lo, s10
	v_mul_f32_e32 v3, s26, v3
                                        ; implicit-def: $vgpr41
	s_mov_b32 s10, exec_lo
	s_delay_alu instid0(VALU_DEP_1) | instskip(SKIP_1) | instid1(VALU_DEP_2)
	v_and_b32_e32 v14, 0x7f800000, v3
	v_lshrrev_b32_e32 v2, 24, v3
	v_cmpx_ne_u64_e32 0x7f800000, v[14:15]
	s_xor_b32 s27, exec_lo, s10
	s_cbranch_execz .LBB4_8218
; %bb.8205:                             ;   in Loop: Header=BB4_7930 Depth=2
	v_and_b32_e32 v14, 0x7fffffff, v3
	v_and_b32_e32 v2, 0x80, v2
                                        ; implicit-def: $vgpr41
	s_mov_b32 s10, exec_lo
	s_delay_alu instid0(VALU_DEP_2)
	v_cmpx_gt_u64_e32 0x43e00001, v[14:15]
	s_xor_b32 s28, exec_lo, s10
	s_cbranch_execz .LBB4_8215
; %bb.8206:                             ;   in Loop: Header=BB4_7930 Depth=2
	v_mov_b32_e32 v41, 0
	s_mov_b32 s29, exec_lo
	v_cmpx_ne_u32_e32 0, v3
	s_cbranch_execz .LBB4_8214
; %bb.8207:                             ;   in Loop: Header=BB4_7930 Depth=2
	v_bfe_u32 v96, v3, 23, 8
	v_and_b32_e32 v3, 0x7fffff, v3
	s_delay_alu instid0(VALU_DEP_2) | instskip(SKIP_1) | instid1(VALU_DEP_3)
	v_sub_nc_u32_e32 v10, 0x79, v96
	v_cmp_gt_u32_e32 vcc_lo, 0x7a, v96
	v_or_b32_e32 v14, 0x800000, v3
	s_delay_alu instid0(VALU_DEP_3) | instskip(SKIP_1) | instid1(VALU_DEP_2)
	v_cndmask_b32_e32 v10, 0, v10, vcc_lo
	v_cmp_eq_u32_e32 vcc_lo, 0, v96
	v_cndmask_b32_e64 v97, v10, 0x78, vcc_lo
	s_delay_alu instid0(VALU_DEP_1) | instskip(SKIP_1) | instid1(VALU_DEP_2)
	v_dual_cndmask_b32 v14, v14, v3, vcc_lo :: v_dual_add_nc_u32 v10, 20, v97
	v_add_nc_u32_e32 v20, 19, v97
	v_lshlrev_b64_e64 v[10:11], v10, -1
	s_delay_alu instid0(VALU_DEP_2) | instskip(NEXT) | instid1(VALU_DEP_2)
	v_lshlrev_b64_e64 v[86:87], v20, 1
	v_bfi_b32 v43, v11, 0, 0
	s_delay_alu instid0(VALU_DEP_3) | instskip(SKIP_1) | instid1(VALU_DEP_2)
	v_bfi_b32 v42, v10, 0, v14
	v_lshrrev_b64 v[10:11], v97, v[14:15]
	v_cmp_eq_u64_e64 s10, v[42:43], v[86:87]
	s_delay_alu instid0(VALU_DEP_2)
	v_mov_b64_e32 v[86:87], v[10:11]
	s_and_saveexec_b32 s40, s10
; %bb.8208:                             ;   in Loop: Header=BB4_7930 Depth=2
	v_bfe_u32 v14, v10, 20, 1
	s_delay_alu instid0(VALU_DEP_1) | instskip(NEXT) | instid1(VALU_DEP_1)
	v_add_nc_u64_e32 v[86:87], v[10:11], v[14:15]
	v_add_nc_u64_e32 v[86:87], -1, v[86:87]
; %bb.8209:                             ;   in Loop: Header=BB4_7930 Depth=2
	s_or_b32 exec_lo, exec_lo, s40
	v_add_nc_u32_e32 v3, 0xffffff81, v96
	v_lshrrev_b32_e32 v11, 23, v10
	s_mov_b32 s10, exec_lo
	s_delay_alu instid0(VALU_DEP_2) | instskip(NEXT) | instid1(VALU_DEP_1)
	v_cndmask_b32_e64 v3, v3, 0xffffff82, vcc_lo
	v_add3_u32 v87, v97, v3, v11
	v_and_b32_e32 v3, 0xfffff, v86
	s_delay_alu instid0(VALU_DEP_1) | instskip(NEXT) | instid1(VALU_DEP_1)
	v_dual_add_nc_u32 v86, 6, v87 :: v_dual_add_nc_u32 v14, v3, v10
                                        ; implicit-def: $vgpr10_vgpr11
                                        ; implicit-def: $vgpr3
	v_cmpx_ne_u32_e32 0, v86
	s_xor_b32 s10, exec_lo, s10
; %bb.8210:                             ;   in Loop: Header=BB4_7930 Depth=2
	s_delay_alu instid0(VALU_DEP_2) | instskip(SKIP_2) | instid1(VALU_DEP_2)
	v_cmp_lt_u64_e32 vcc_lo, 0xffffff, v[14:15]
	v_add_nc_u32_e32 v3, 7, v87
	v_cndmask_b32_e64 v10, 0, 1, vcc_lo
	v_cndmask_b32_e32 v3, v86, v3, vcc_lo
	s_delay_alu instid0(VALU_DEP_2)
	v_lshrrev_b64 v[10:11], v10, v[14:15]
; %bb.8211:                             ;   in Loop: Header=BB4_7930 Depth=2
	s_and_not1_saveexec_b32 s10, s10
; %bb.8212:                             ;   in Loop: Header=BB4_7930 Depth=2
	v_mov_b64_e32 v[10:11], v[14:15]
	v_bfe_u32 v3, v14, 23, 1
; %bb.8213:                             ;   in Loop: Header=BB4_7930 Depth=2
	s_or_b32 exec_lo, exec_lo, s10
	s_delay_alu instid0(VALU_DEP_2) | instskip(NEXT) | instid1(VALU_DEP_2)
	v_lshrrev_b64 v[10:11], 20, v[10:11]
	v_cmp_gt_i32_e32 vcc_lo, 16, v3
	v_min_i32_e32 v14, 15, v3
	v_cmp_eq_u32_e64 s10, 0, v3
	s_delay_alu instid0(VALU_DEP_4) | instskip(NEXT) | instid1(VALU_DEP_3)
	v_cndmask_b32_e32 v10, 7, v10, vcc_lo
	v_dual_cndmask_b32 v11, 0, v11 :: v_dual_lshlrev_b32 v14, 3, v14
	s_delay_alu instid0(VALU_DEP_1) | instskip(NEXT) | instid1(VALU_DEP_2)
	v_and_b32_e32 v14, 0xf8, v14
	v_cmp_eq_u64_e32 vcc_lo, 0, v[10:11]
	s_delay_alu instid0(VALU_DEP_2)
	v_and_or_b32 v3, v10, 7, v14
	s_and_b32 s10, s10, vcc_lo
	s_delay_alu instid0(VALU_DEP_1) | instid1(SALU_CYCLE_1)
	v_cndmask_b32_e64 v3, v3, 0, s10
	s_delay_alu instid0(VALU_DEP_1)
	v_or_b32_e32 v41, v3, v2
.LBB4_8214:                             ;   in Loop: Header=BB4_7930 Depth=2
	s_or_b32 exec_lo, exec_lo, s29
                                        ; implicit-def: $vgpr2
.LBB4_8215:                             ;   in Loop: Header=BB4_7930 Depth=2
	s_and_not1_saveexec_b32 s10, s28
; %bb.8216:                             ;   in Loop: Header=BB4_7930 Depth=2
	v_or_b32_e32 v41, 0x7e, v2
; %bb.8217:                             ;   in Loop: Header=BB4_7930 Depth=2
	s_or_b32 exec_lo, exec_lo, s10
                                        ; implicit-def: $vgpr2
.LBB4_8218:                             ;   in Loop: Header=BB4_7930 Depth=2
	s_and_not1_saveexec_b32 s10, s27
; %bb.8219:                             ;   in Loop: Header=BB4_7930 Depth=2
	v_or_b32_e32 v41, 0x7f, v2
; %bb.8220:                             ;   in Loop: Header=BB4_7930 Depth=2
	s_or_b32 exec_lo, exec_lo, s10
	v_and_b32_e32 v3, 0xff, v13
	v_dual_mov_b32 v14, v13 :: v_dual_mov_b32 v2, 0
	s_mov_b32 s10, exec_lo
	s_delay_alu instid0(VALU_DEP_2)
	v_cmpx_ne_u16_e32 0, v3
	s_cbranch_execz .LBB4_8226
; %bb.8221:                             ;   in Loop: Header=BB4_7930 Depth=2
	v_bfrev_b32_e32 v2, 1
	s_mov_b32 s27, exec_lo
	v_cmpx_ne_u16_e32 0x80, v3
	s_cbranch_execz .LBB4_8225
; %bb.8222:                             ;   in Loop: Header=BB4_7930 Depth=2
	v_and_b32_e32 v3, 0x7f, v13
	v_mov_b32_e32 v2, 0x7f800001
	s_mov_b32 s28, exec_lo
	s_delay_alu instid0(VALU_DEP_2)
	v_cmpx_ne_u32_e32 0x7f, v3
	s_cbranch_execz .LBB4_8224
; %bb.8223:                             ;   in Loop: Header=BB4_7930 Depth=2
	v_dual_lshrrev_b32 v10, 3, v3 :: v_dual_bitop2_b32 v2, 7, v13 bitop3:0x40
	v_cmp_gt_u32_e32 vcc_lo, 8, v3
	s_delay_alu instid0(VALU_DEP_2) | instskip(NEXT) | instid1(VALU_DEP_1)
	v_clz_i32_u32_e32 v2, v2
	v_min_u32_e32 v2, 32, v2
	s_delay_alu instid0(VALU_DEP_1) | instskip(SKIP_1) | instid1(VALU_DEP_1)
	v_subrev_nc_u32_e32 v11, 28, v2
	v_sub_nc_u32_e32 v2, 29, v2
	v_dual_cndmask_b32 v10, v10, v2, vcc_lo :: v_dual_cndmask_b32 v2, 0, v11, vcc_lo
	s_delay_alu instid0(VALU_DEP_1) | instskip(NEXT) | instid1(VALU_DEP_2)
	v_lshl_add_u32 v10, v10, 23, 0x3c000000
	v_lshlrev_b64_e32 v[2:3], v2, v[14:15]
	v_lshlrev_b32_e32 v3, 24, v14
	s_delay_alu instid0(VALU_DEP_1) | instskip(NEXT) | instid1(VALU_DEP_3)
	v_and_b32_e32 v3, 0x80000000, v3
	v_lshlrev_b32_e32 v2, 20, v2
	s_delay_alu instid0(VALU_DEP_1) | instskip(NEXT) | instid1(VALU_DEP_1)
	v_and_b32_e32 v2, 0x700000, v2
	v_or3_b32 v2, v2, v3, v10
.LBB4_8224:                             ;   in Loop: Header=BB4_7930 Depth=2
	s_or_b32 exec_lo, exec_lo, s28
.LBB4_8225:                             ;   in Loop: Header=BB4_7930 Depth=2
	s_delay_alu instid0(SALU_CYCLE_1)
	s_or_b32 exec_lo, exec_lo, s27
.LBB4_8226:                             ;   in Loop: Header=BB4_7930 Depth=2
	s_delay_alu instid0(SALU_CYCLE_1) | instskip(NEXT) | instid1(VALU_DEP_1)
	s_or_b32 exec_lo, exec_lo, s10
	v_dual_mul_f32 v3, s26, v2 :: v_dual_mov_b32 v11, v15
                                        ; implicit-def: $vgpr42
	s_mov_b32 s10, exec_lo
	s_delay_alu instid0(VALU_DEP_1) | instskip(SKIP_1) | instid1(VALU_DEP_2)
	v_and_b32_e32 v10, 0x7f800000, v3
	v_lshrrev_b32_e32 v2, 24, v3
	v_cmpx_ne_u64_e32 0x7f800000, v[10:11]
	s_xor_b32 s27, exec_lo, s10
	s_cbranch_execz .LBB4_8240
; %bb.8227:                             ;   in Loop: Header=BB4_7930 Depth=2
	v_and_b32_e32 v10, 0x7fffffff, v3
	v_mov_b32_e32 v11, v15
	v_and_b32_e32 v2, 0x80, v2
                                        ; implicit-def: $vgpr42
	s_mov_b32 s10, exec_lo
	s_delay_alu instid0(VALU_DEP_2)
	v_cmpx_gt_u64_e32 0x43e00001, v[10:11]
	s_xor_b32 s28, exec_lo, s10
	s_cbranch_execz .LBB4_8237
; %bb.8228:                             ;   in Loop: Header=BB4_7930 Depth=2
	v_mov_b32_e32 v42, 0
	s_mov_b32 s29, exec_lo
	v_cmpx_ne_u32_e32 0, v3
	s_cbranch_execz .LBB4_8236
; %bb.8229:                             ;   in Loop: Header=BB4_7930 Depth=2
	v_bfe_u32 v96, v3, 23, 8
	v_and_b32_e32 v3, 0x7fffff, v3
	s_mov_b32 s40, exec_lo
	s_delay_alu instid0(VALU_DEP_2) | instskip(SKIP_1) | instid1(VALU_DEP_3)
	v_dual_mov_b32 v87, v15 :: v_dual_sub_nc_u32 v10, 0x79, v96
	v_cmp_gt_u32_e32 vcc_lo, 0x7a, v96
	v_or_b32_e32 v20, 0x800000, v3
	s_delay_alu instid0(VALU_DEP_3) | instskip(SKIP_1) | instid1(VALU_DEP_2)
	v_cndmask_b32_e32 v10, 0, v10, vcc_lo
	v_cmp_eq_u32_e32 vcc_lo, 0, v96
	v_cndmask_b32_e64 v97, v10, 0x78, vcc_lo
	s_delay_alu instid0(VALU_DEP_1) | instskip(SKIP_1) | instid1(VALU_DEP_2)
	v_dual_cndmask_b32 v86, v20, v3, vcc_lo :: v_dual_add_nc_u32 v10, 20, v97
	v_add_nc_u32_e32 v21, 19, v97
	v_lshlrev_b64_e64 v[10:11], v10, -1
	s_delay_alu instid0(VALU_DEP_2) | instskip(NEXT) | instid1(VALU_DEP_2)
	v_lshlrev_b64_e64 v[42:43], v21, 1
	v_bfi_b32 v45, v11, 0, 0
	s_delay_alu instid0(VALU_DEP_3) | instskip(SKIP_1) | instid1(VALU_DEP_1)
	v_bfi_b32 v44, v10, 0, v86
	v_lshrrev_b64 v[10:11], v97, v[86:87]
	v_mov_b64_e32 v[86:87], v[10:11]
	s_delay_alu instid0(VALU_DEP_3)
	v_cmpx_eq_u64_e64 v[44:45], v[42:43]
; %bb.8230:                             ;   in Loop: Header=BB4_7930 Depth=2
	v_bfe_u32 v86, v10, 20, 1
	v_mov_b32_e32 v87, v15
	s_delay_alu instid0(VALU_DEP_1) | instskip(NEXT) | instid1(VALU_DEP_1)
	v_add_nc_u64_e32 v[86:87], v[10:11], v[86:87]
	v_add_nc_u64_e32 v[86:87], -1, v[86:87]
; %bb.8231:                             ;   in Loop: Header=BB4_7930 Depth=2
	s_or_b32 exec_lo, exec_lo, s40
	v_add_nc_u32_e32 v3, 0xffffff81, v96
	v_lshrrev_b32_e32 v11, 23, v10
	s_mov_b32 s10, exec_lo
	s_delay_alu instid0(VALU_DEP_2) | instskip(NEXT) | instid1(VALU_DEP_1)
	v_cndmask_b32_e64 v3, v3, 0xffffff82, vcc_lo
	v_add3_u32 v87, v97, v3, v11
	v_and_b32_e32 v3, 0xfffff, v86
	s_delay_alu instid0(VALU_DEP_2) | instskip(NEXT) | instid1(VALU_DEP_2)
	v_dual_mov_b32 v11, v15 :: v_dual_add_nc_u32 v86, 6, v87
	v_add_nc_u32_e32 v10, v3, v10
                                        ; implicit-def: $vgpr3
	s_delay_alu instid0(VALU_DEP_2)
	v_cmpx_ne_u32_e32 0, v86
	s_xor_b32 s10, exec_lo, s10
; %bb.8232:                             ;   in Loop: Header=BB4_7930 Depth=2
	s_delay_alu instid0(VALU_DEP_2) | instskip(SKIP_2) | instid1(VALU_DEP_2)
	v_cmp_lt_u64_e32 vcc_lo, 0xffffff, v[10:11]
	v_add_nc_u32_e32 v3, 7, v87
	v_cndmask_b32_e64 v20, 0, 1, vcc_lo
	v_cndmask_b32_e32 v3, v86, v3, vcc_lo
	s_delay_alu instid0(VALU_DEP_2)
	v_lshrrev_b64 v[10:11], v20, v[10:11]
; %bb.8233:                             ;   in Loop: Header=BB4_7930 Depth=2
	s_and_not1_saveexec_b32 s10, s10
; %bb.8234:                             ;   in Loop: Header=BB4_7930 Depth=2
	s_delay_alu instid0(VALU_DEP_1)
	v_bfe_u32 v3, v10, 23, 1
; %bb.8235:                             ;   in Loop: Header=BB4_7930 Depth=2
	s_or_b32 exec_lo, exec_lo, s10
	s_delay_alu instid0(VALU_DEP_2) | instskip(NEXT) | instid1(VALU_DEP_2)
	v_lshrrev_b64 v[10:11], 20, v[10:11]
	v_cmp_gt_i32_e32 vcc_lo, 16, v3
	v_min_i32_e32 v20, 15, v3
	v_cmp_eq_u32_e64 s10, 0, v3
	s_delay_alu instid0(VALU_DEP_2) | instskip(SKIP_1) | instid1(VALU_DEP_2)
	v_dual_cndmask_b32 v10, 7, v10, vcc_lo :: v_dual_lshlrev_b32 v20, 3, v20
	v_cndmask_b32_e32 v11, 0, v11, vcc_lo
	v_and_b32_e32 v20, 0xf8, v20
	s_delay_alu instid0(VALU_DEP_2) | instskip(NEXT) | instid1(VALU_DEP_2)
	v_cmp_eq_u64_e32 vcc_lo, 0, v[10:11]
	v_and_or_b32 v3, v10, 7, v20
	s_and_b32 s10, s10, vcc_lo
	s_delay_alu instid0(VALU_DEP_1) | instid1(SALU_CYCLE_1)
	v_cndmask_b32_e64 v3, v3, 0, s10
	s_delay_alu instid0(VALU_DEP_1)
	v_or_b32_e32 v42, v3, v2
.LBB4_8236:                             ;   in Loop: Header=BB4_7930 Depth=2
	s_or_b32 exec_lo, exec_lo, s29
                                        ; implicit-def: $vgpr2
.LBB4_8237:                             ;   in Loop: Header=BB4_7930 Depth=2
	s_and_not1_saveexec_b32 s10, s28
; %bb.8238:                             ;   in Loop: Header=BB4_7930 Depth=2
	v_or_b32_e32 v42, 0x7e, v2
; %bb.8239:                             ;   in Loop: Header=BB4_7930 Depth=2
	s_or_b32 exec_lo, exec_lo, s10
                                        ; implicit-def: $vgpr2
.LBB4_8240:                             ;   in Loop: Header=BB4_7930 Depth=2
	s_and_not1_saveexec_b32 s10, s27
; %bb.8241:                             ;   in Loop: Header=BB4_7930 Depth=2
	v_or_b32_e32 v42, 0x7f, v2
; %bb.8242:                             ;   in Loop: Header=BB4_7930 Depth=2
	s_or_b32 exec_lo, exec_lo, s10
	v_lshrrev_b16 v3, 8, v14
	v_mov_b32_e32 v2, 0
	s_mov_b32 s10, exec_lo
	s_delay_alu instid0(VALU_DEP_2)
	v_cmpx_ne_u16_e32 0, v3
	s_cbranch_execz .LBB4_8250
; %bb.8243:                             ;   in Loop: Header=BB4_7930 Depth=2
	v_bfrev_b32_e32 v2, 1
	s_mov_b32 s27, exec_lo
	v_cmpx_ne_u16_e32 0x80, v3
	s_cbranch_execz .LBB4_8249
; %bb.8244:                             ;   in Loop: Header=BB4_7930 Depth=2
	v_and_b32_e32 v10, 0xffff, v3
	v_mov_b32_e32 v2, 0x7f800001
	s_mov_b32 s28, exec_lo
	s_delay_alu instid0(VALU_DEP_2) | instskip(NEXT) | instid1(VALU_DEP_1)
	v_and_b32_e32 v3, 0x7f, v10
	v_cmpx_ne_u32_e32 0x7f, v3
	s_cbranch_execz .LBB4_8248
; %bb.8245:                             ;   in Loop: Header=BB4_7930 Depth=2
	v_dual_mov_b32 v11, v15 :: v_dual_bitop2_b32 v10, 7, v10 bitop3:0x40
	v_lshrrev_b32_e32 v2, 3, v3
	s_mov_b32 s29, exec_lo
	v_cmpx_gt_u32_e32 8, v3
; %bb.8246:                             ;   in Loop: Header=BB4_7930 Depth=2
	s_delay_alu instid0(VALU_DEP_3) | instskip(NEXT) | instid1(VALU_DEP_1)
	v_clz_i32_u32_e32 v2, v10
	v_min_u32_e32 v2, 32, v2
	s_delay_alu instid0(VALU_DEP_1) | instskip(SKIP_1) | instid1(VALU_DEP_2)
	v_subrev_nc_u32_e32 v3, 28, v2
	v_sub_nc_u32_e32 v2, 29, v2
	v_lshlrev_b64_e32 v[10:11], v3, v[10:11]
	s_delay_alu instid0(VALU_DEP_1)
	v_and_b32_e32 v10, 7, v10
; %bb.8247:                             ;   in Loop: Header=BB4_7930 Depth=2
	s_or_b32 exec_lo, exec_lo, s29
	v_lshlrev_b32_e32 v3, 16, v14
	s_delay_alu instid0(VALU_DEP_2) | instskip(SKIP_1) | instid1(VALU_DEP_3)
	v_lshlrev_b32_e32 v10, 20, v10
	v_lshl_add_u32 v2, v2, 23, 0x3c000000
	v_and_b32_e32 v3, 0x80000000, v3
	s_delay_alu instid0(VALU_DEP_1)
	v_or3_b32 v2, v10, v3, v2
.LBB4_8248:                             ;   in Loop: Header=BB4_7930 Depth=2
	s_or_b32 exec_lo, exec_lo, s28
.LBB4_8249:                             ;   in Loop: Header=BB4_7930 Depth=2
	s_delay_alu instid0(SALU_CYCLE_1)
	s_or_b32 exec_lo, exec_lo, s27
.LBB4_8250:                             ;   in Loop: Header=BB4_7930 Depth=2
	s_delay_alu instid0(SALU_CYCLE_1) | instskip(NEXT) | instid1(VALU_DEP_1)
	s_or_b32 exec_lo, exec_lo, s10
	v_mul_f32_e32 v3, s26, v2
                                        ; implicit-def: $vgpr43
	s_mov_b32 s10, exec_lo
	s_delay_alu instid0(VALU_DEP_1) | instskip(SKIP_1) | instid1(VALU_DEP_2)
	v_and_b32_e32 v14, 0x7f800000, v3
	v_lshrrev_b32_e32 v2, 24, v3
	v_cmpx_ne_u64_e32 0x7f800000, v[14:15]
	s_xor_b32 s27, exec_lo, s10
	s_cbranch_execz .LBB4_8264
; %bb.8251:                             ;   in Loop: Header=BB4_7930 Depth=2
	v_and_b32_e32 v14, 0x7fffffff, v3
	v_and_b32_e32 v2, 0x80, v2
                                        ; implicit-def: $vgpr43
	s_mov_b32 s10, exec_lo
	s_delay_alu instid0(VALU_DEP_2)
	v_cmpx_gt_u64_e32 0x43e00001, v[14:15]
	s_xor_b32 s28, exec_lo, s10
	s_cbranch_execz .LBB4_8261
; %bb.8252:                             ;   in Loop: Header=BB4_7930 Depth=2
	v_mov_b32_e32 v43, 0
	s_mov_b32 s29, exec_lo
	v_cmpx_ne_u32_e32 0, v3
	s_cbranch_execz .LBB4_8260
; %bb.8253:                             ;   in Loop: Header=BB4_7930 Depth=2
	v_bfe_u32 v96, v3, 23, 8
	v_and_b32_e32 v3, 0x7fffff, v3
	s_delay_alu instid0(VALU_DEP_2) | instskip(SKIP_1) | instid1(VALU_DEP_3)
	v_sub_nc_u32_e32 v10, 0x79, v96
	v_cmp_gt_u32_e32 vcc_lo, 0x7a, v96
	v_or_b32_e32 v14, 0x800000, v3
	s_delay_alu instid0(VALU_DEP_3) | instskip(SKIP_1) | instid1(VALU_DEP_2)
	v_cndmask_b32_e32 v10, 0, v10, vcc_lo
	v_cmp_eq_u32_e32 vcc_lo, 0, v96
	v_cndmask_b32_e64 v97, v10, 0x78, vcc_lo
	s_delay_alu instid0(VALU_DEP_1) | instskip(SKIP_1) | instid1(VALU_DEP_2)
	v_dual_cndmask_b32 v14, v14, v3, vcc_lo :: v_dual_add_nc_u32 v10, 20, v97
	v_add_nc_u32_e32 v20, 19, v97
	v_lshlrev_b64_e64 v[10:11], v10, -1
	s_delay_alu instid0(VALU_DEP_2) | instskip(NEXT) | instid1(VALU_DEP_2)
	v_lshlrev_b64_e64 v[86:87], v20, 1
	v_bfi_b32 v45, v11, 0, 0
	s_delay_alu instid0(VALU_DEP_3) | instskip(SKIP_1) | instid1(VALU_DEP_2)
	v_bfi_b32 v44, v10, 0, v14
	v_lshrrev_b64 v[10:11], v97, v[14:15]
	v_cmp_eq_u64_e64 s10, v[44:45], v[86:87]
	s_delay_alu instid0(VALU_DEP_2)
	v_mov_b64_e32 v[86:87], v[10:11]
	s_and_saveexec_b32 s40, s10
; %bb.8254:                             ;   in Loop: Header=BB4_7930 Depth=2
	v_bfe_u32 v14, v10, 20, 1
	s_delay_alu instid0(VALU_DEP_1) | instskip(NEXT) | instid1(VALU_DEP_1)
	v_add_nc_u64_e32 v[86:87], v[10:11], v[14:15]
	v_add_nc_u64_e32 v[86:87], -1, v[86:87]
; %bb.8255:                             ;   in Loop: Header=BB4_7930 Depth=2
	s_or_b32 exec_lo, exec_lo, s40
	v_add_nc_u32_e32 v3, 0xffffff81, v96
	v_lshrrev_b32_e32 v11, 23, v10
	s_mov_b32 s10, exec_lo
	s_delay_alu instid0(VALU_DEP_2) | instskip(NEXT) | instid1(VALU_DEP_1)
	v_cndmask_b32_e64 v3, v3, 0xffffff82, vcc_lo
	v_add3_u32 v87, v97, v3, v11
	v_and_b32_e32 v3, 0xfffff, v86
	s_delay_alu instid0(VALU_DEP_1) | instskip(NEXT) | instid1(VALU_DEP_1)
	v_dual_add_nc_u32 v86, 6, v87 :: v_dual_add_nc_u32 v14, v3, v10
                                        ; implicit-def: $vgpr10_vgpr11
                                        ; implicit-def: $vgpr3
	v_cmpx_ne_u32_e32 0, v86
	s_xor_b32 s10, exec_lo, s10
; %bb.8256:                             ;   in Loop: Header=BB4_7930 Depth=2
	s_delay_alu instid0(VALU_DEP_2) | instskip(SKIP_2) | instid1(VALU_DEP_2)
	v_cmp_lt_u64_e32 vcc_lo, 0xffffff, v[14:15]
	v_add_nc_u32_e32 v3, 7, v87
	v_cndmask_b32_e64 v10, 0, 1, vcc_lo
	v_cndmask_b32_e32 v3, v86, v3, vcc_lo
	s_delay_alu instid0(VALU_DEP_2)
	v_lshrrev_b64 v[10:11], v10, v[14:15]
; %bb.8257:                             ;   in Loop: Header=BB4_7930 Depth=2
	s_and_not1_saveexec_b32 s10, s10
; %bb.8258:                             ;   in Loop: Header=BB4_7930 Depth=2
	v_mov_b64_e32 v[10:11], v[14:15]
	v_bfe_u32 v3, v14, 23, 1
; %bb.8259:                             ;   in Loop: Header=BB4_7930 Depth=2
	s_or_b32 exec_lo, exec_lo, s10
	s_delay_alu instid0(VALU_DEP_2) | instskip(NEXT) | instid1(VALU_DEP_2)
	v_lshrrev_b64 v[10:11], 20, v[10:11]
	v_cmp_gt_i32_e32 vcc_lo, 16, v3
	v_min_i32_e32 v14, 15, v3
	v_cmp_eq_u32_e64 s10, 0, v3
	s_delay_alu instid0(VALU_DEP_4) | instskip(NEXT) | instid1(VALU_DEP_3)
	v_cndmask_b32_e32 v10, 7, v10, vcc_lo
	v_dual_cndmask_b32 v11, 0, v11 :: v_dual_lshlrev_b32 v14, 3, v14
	s_delay_alu instid0(VALU_DEP_1) | instskip(NEXT) | instid1(VALU_DEP_2)
	v_and_b32_e32 v14, 0xf8, v14
	v_cmp_eq_u64_e32 vcc_lo, 0, v[10:11]
	s_delay_alu instid0(VALU_DEP_2)
	v_and_or_b32 v3, v10, 7, v14
	s_and_b32 s10, s10, vcc_lo
	s_delay_alu instid0(VALU_DEP_1) | instid1(SALU_CYCLE_1)
	v_cndmask_b32_e64 v3, v3, 0, s10
	s_delay_alu instid0(VALU_DEP_1)
	v_or_b32_e32 v43, v3, v2
.LBB4_8260:                             ;   in Loop: Header=BB4_7930 Depth=2
	s_or_b32 exec_lo, exec_lo, s29
                                        ; implicit-def: $vgpr2
.LBB4_8261:                             ;   in Loop: Header=BB4_7930 Depth=2
	s_and_not1_saveexec_b32 s10, s28
; %bb.8262:                             ;   in Loop: Header=BB4_7930 Depth=2
	v_or_b32_e32 v43, 0x7e, v2
; %bb.8263:                             ;   in Loop: Header=BB4_7930 Depth=2
	s_or_b32 exec_lo, exec_lo, s10
                                        ; implicit-def: $vgpr2
.LBB4_8264:                             ;   in Loop: Header=BB4_7930 Depth=2
	s_and_not1_saveexec_b32 s10, s27
; %bb.8265:                             ;   in Loop: Header=BB4_7930 Depth=2
	v_or_b32_e32 v43, 0x7f, v2
; %bb.8266:                             ;   in Loop: Header=BB4_7930 Depth=2
	s_or_b32 exec_lo, exec_lo, s10
	v_dual_mov_b32 v3, 0 :: v_dual_lshrrev_b32 v2, 16, v13
	s_mov_b32 s10, exec_lo
	s_delay_alu instid0(VALU_DEP_1) | instskip(NEXT) | instid1(VALU_DEP_1)
	v_and_b32_e32 v10, 0xff, v2
	v_cmpx_ne_u16_e32 0, v10
	s_cbranch_execz .LBB4_8274
; %bb.8267:                             ;   in Loop: Header=BB4_7930 Depth=2
	v_bfrev_b32_e32 v3, 1
	s_mov_b32 s27, exec_lo
	v_cmpx_ne_u16_e32 0x80, v10
	s_cbranch_execz .LBB4_8273
; %bb.8268:                             ;   in Loop: Header=BB4_7930 Depth=2
	v_bfe_u32 v10, v13, 16, 7
	v_mov_b32_e32 v3, 0x7f800001
	s_mov_b32 s28, exec_lo
	s_delay_alu instid0(VALU_DEP_2)
	v_cmpx_ne_u32_e32 0x7f, v10
	s_cbranch_execz .LBB4_8272
; %bb.8269:                             ;   in Loop: Header=BB4_7930 Depth=2
	v_and_b32_e32 v14, 7, v2
	v_lshrrev_b32_e32 v3, 3, v10
	s_mov_b32 s29, exec_lo
	v_cmpx_gt_u32_e32 8, v10
; %bb.8270:                             ;   in Loop: Header=BB4_7930 Depth=2
	s_delay_alu instid0(VALU_DEP_3) | instskip(NEXT) | instid1(VALU_DEP_1)
	v_clz_i32_u32_e32 v3, v14
	v_min_u32_e32 v3, 32, v3
	s_delay_alu instid0(VALU_DEP_1) | instskip(NEXT) | instid1(VALU_DEP_1)
	v_subrev_nc_u32_e32 v10, 28, v3
	v_lshlrev_b64_e32 v[10:11], v10, v[14:15]
	s_delay_alu instid0(VALU_DEP_1)
	v_dual_sub_nc_u32 v3, 29, v3 :: v_dual_bitop2_b32 v14, 7, v10 bitop3:0x40
; %bb.8271:                             ;   in Loop: Header=BB4_7930 Depth=2
	s_or_b32 exec_lo, exec_lo, s29
	v_lshlrev_b32_e32 v2, 24, v2
	s_delay_alu instid0(VALU_DEP_2) | instskip(NEXT) | instid1(VALU_DEP_3)
	v_lshlrev_b32_e32 v10, 20, v14
	v_lshl_add_u32 v3, v3, 23, 0x3c000000
	s_delay_alu instid0(VALU_DEP_3) | instskip(NEXT) | instid1(VALU_DEP_1)
	v_and_b32_e32 v2, 0x80000000, v2
	v_or3_b32 v3, v10, v2, v3
.LBB4_8272:                             ;   in Loop: Header=BB4_7930 Depth=2
	s_or_b32 exec_lo, exec_lo, s28
.LBB4_8273:                             ;   in Loop: Header=BB4_7930 Depth=2
	s_delay_alu instid0(SALU_CYCLE_1)
	s_or_b32 exec_lo, exec_lo, s27
.LBB4_8274:                             ;   in Loop: Header=BB4_7930 Depth=2
	s_delay_alu instid0(SALU_CYCLE_1) | instskip(NEXT) | instid1(VALU_DEP_1)
	s_or_b32 exec_lo, exec_lo, s10
	v_mul_f32_e32 v3, s26, v3
                                        ; implicit-def: $vgpr44
	s_mov_b32 s10, exec_lo
	s_delay_alu instid0(VALU_DEP_1) | instskip(SKIP_1) | instid1(VALU_DEP_2)
	v_and_b32_e32 v14, 0x7f800000, v3
	v_lshrrev_b32_e32 v2, 24, v3
	v_cmpx_ne_u64_e32 0x7f800000, v[14:15]
	s_xor_b32 s27, exec_lo, s10
	s_cbranch_execz .LBB4_8288
; %bb.8275:                             ;   in Loop: Header=BB4_7930 Depth=2
	v_and_b32_e32 v14, 0x7fffffff, v3
	v_and_b32_e32 v2, 0x80, v2
                                        ; implicit-def: $vgpr44
	s_mov_b32 s10, exec_lo
	s_delay_alu instid0(VALU_DEP_2)
	v_cmpx_gt_u64_e32 0x43e00001, v[14:15]
	s_xor_b32 s28, exec_lo, s10
	s_cbranch_execz .LBB4_8285
; %bb.8276:                             ;   in Loop: Header=BB4_7930 Depth=2
	v_mov_b32_e32 v44, 0
	s_mov_b32 s29, exec_lo
	v_cmpx_ne_u32_e32 0, v3
	s_cbranch_execz .LBB4_8284
; %bb.8277:                             ;   in Loop: Header=BB4_7930 Depth=2
	v_bfe_u32 v96, v3, 23, 8
	v_and_b32_e32 v3, 0x7fffff, v3
	s_delay_alu instid0(VALU_DEP_2) | instskip(SKIP_1) | instid1(VALU_DEP_3)
	v_sub_nc_u32_e32 v10, 0x79, v96
	v_cmp_gt_u32_e32 vcc_lo, 0x7a, v96
	v_or_b32_e32 v14, 0x800000, v3
	s_delay_alu instid0(VALU_DEP_3) | instskip(SKIP_1) | instid1(VALU_DEP_2)
	v_cndmask_b32_e32 v10, 0, v10, vcc_lo
	v_cmp_eq_u32_e32 vcc_lo, 0, v96
	v_cndmask_b32_e64 v97, v10, 0x78, vcc_lo
	s_delay_alu instid0(VALU_DEP_1) | instskip(SKIP_1) | instid1(VALU_DEP_2)
	v_dual_cndmask_b32 v14, v14, v3, vcc_lo :: v_dual_add_nc_u32 v10, 20, v97
	v_add_nc_u32_e32 v20, 19, v97
	v_lshlrev_b64_e64 v[10:11], v10, -1
	s_delay_alu instid0(VALU_DEP_2) | instskip(NEXT) | instid1(VALU_DEP_2)
	v_lshlrev_b64_e64 v[86:87], v20, 1
	v_bfi_b32 v45, v11, 0, 0
	s_delay_alu instid0(VALU_DEP_3) | instskip(SKIP_1) | instid1(VALU_DEP_2)
	v_bfi_b32 v44, v10, 0, v14
	v_lshrrev_b64 v[10:11], v97, v[14:15]
	v_cmp_eq_u64_e64 s10, v[44:45], v[86:87]
	s_delay_alu instid0(VALU_DEP_2)
	v_mov_b64_e32 v[86:87], v[10:11]
	s_and_saveexec_b32 s40, s10
; %bb.8278:                             ;   in Loop: Header=BB4_7930 Depth=2
	v_bfe_u32 v14, v10, 20, 1
	s_delay_alu instid0(VALU_DEP_1) | instskip(NEXT) | instid1(VALU_DEP_1)
	v_add_nc_u64_e32 v[86:87], v[10:11], v[14:15]
	v_add_nc_u64_e32 v[86:87], -1, v[86:87]
; %bb.8279:                             ;   in Loop: Header=BB4_7930 Depth=2
	s_or_b32 exec_lo, exec_lo, s40
	v_add_nc_u32_e32 v3, 0xffffff81, v96
	v_lshrrev_b32_e32 v11, 23, v10
	s_mov_b32 s10, exec_lo
	s_delay_alu instid0(VALU_DEP_2) | instskip(NEXT) | instid1(VALU_DEP_1)
	v_cndmask_b32_e64 v3, v3, 0xffffff82, vcc_lo
	v_add3_u32 v87, v97, v3, v11
	v_and_b32_e32 v3, 0xfffff, v86
	s_delay_alu instid0(VALU_DEP_1) | instskip(NEXT) | instid1(VALU_DEP_1)
	v_dual_add_nc_u32 v86, 6, v87 :: v_dual_add_nc_u32 v14, v3, v10
                                        ; implicit-def: $vgpr10_vgpr11
                                        ; implicit-def: $vgpr3
	v_cmpx_ne_u32_e32 0, v86
	s_xor_b32 s10, exec_lo, s10
; %bb.8280:                             ;   in Loop: Header=BB4_7930 Depth=2
	s_delay_alu instid0(VALU_DEP_2) | instskip(SKIP_2) | instid1(VALU_DEP_2)
	v_cmp_lt_u64_e32 vcc_lo, 0xffffff, v[14:15]
	v_add_nc_u32_e32 v3, 7, v87
	v_cndmask_b32_e64 v10, 0, 1, vcc_lo
	v_cndmask_b32_e32 v3, v86, v3, vcc_lo
	s_delay_alu instid0(VALU_DEP_2)
	v_lshrrev_b64 v[10:11], v10, v[14:15]
; %bb.8281:                             ;   in Loop: Header=BB4_7930 Depth=2
	s_and_not1_saveexec_b32 s10, s10
; %bb.8282:                             ;   in Loop: Header=BB4_7930 Depth=2
	v_mov_b64_e32 v[10:11], v[14:15]
	v_bfe_u32 v3, v14, 23, 1
; %bb.8283:                             ;   in Loop: Header=BB4_7930 Depth=2
	s_or_b32 exec_lo, exec_lo, s10
	s_delay_alu instid0(VALU_DEP_2) | instskip(NEXT) | instid1(VALU_DEP_2)
	v_lshrrev_b64 v[10:11], 20, v[10:11]
	v_cmp_gt_i32_e32 vcc_lo, 16, v3
	v_min_i32_e32 v14, 15, v3
	v_cmp_eq_u32_e64 s10, 0, v3
	s_delay_alu instid0(VALU_DEP_4) | instskip(NEXT) | instid1(VALU_DEP_3)
	v_cndmask_b32_e32 v10, 7, v10, vcc_lo
	v_dual_cndmask_b32 v11, 0, v11 :: v_dual_lshlrev_b32 v14, 3, v14
	s_delay_alu instid0(VALU_DEP_1) | instskip(NEXT) | instid1(VALU_DEP_2)
	v_and_b32_e32 v14, 0xf8, v14
	v_cmp_eq_u64_e32 vcc_lo, 0, v[10:11]
	s_delay_alu instid0(VALU_DEP_2)
	v_and_or_b32 v3, v10, 7, v14
	s_and_b32 s10, s10, vcc_lo
	s_delay_alu instid0(VALU_DEP_1) | instid1(SALU_CYCLE_1)
	v_cndmask_b32_e64 v3, v3, 0, s10
	s_delay_alu instid0(VALU_DEP_1)
	v_or_b32_e32 v44, v3, v2
.LBB4_8284:                             ;   in Loop: Header=BB4_7930 Depth=2
	s_or_b32 exec_lo, exec_lo, s29
                                        ; implicit-def: $vgpr2
.LBB4_8285:                             ;   in Loop: Header=BB4_7930 Depth=2
	s_and_not1_saveexec_b32 s10, s28
; %bb.8286:                             ;   in Loop: Header=BB4_7930 Depth=2
	v_or_b32_e32 v44, 0x7e, v2
; %bb.8287:                             ;   in Loop: Header=BB4_7930 Depth=2
	s_or_b32 exec_lo, exec_lo, s10
                                        ; implicit-def: $vgpr2
.LBB4_8288:                             ;   in Loop: Header=BB4_7930 Depth=2
	s_and_not1_saveexec_b32 s10, s27
; %bb.8289:                             ;   in Loop: Header=BB4_7930 Depth=2
	v_or_b32_e32 v44, 0x7f, v2
; %bb.8290:                             ;   in Loop: Header=BB4_7930 Depth=2
	s_or_b32 exec_lo, exec_lo, s10
	v_mov_b32_e32 v3, 0
	s_mov_b32 s10, exec_lo
	v_cmpx_lt_u64_e64 s[12:13], v[12:13]
	s_cbranch_execz .LBB4_8298
; %bb.8291:                             ;   in Loop: Header=BB4_7930 Depth=2
	v_lshrrev_b32_e32 v2, 24, v13
	v_bfrev_b32_e32 v3, 1
	s_mov_b32 s27, exec_lo
	s_delay_alu instid0(VALU_DEP_2)
	v_cmpx_ne_u32_e32 0x80, v2
	s_cbranch_execz .LBB4_8297
; %bb.8292:                             ;   in Loop: Header=BB4_7930 Depth=2
	v_bfe_u32 v10, v13, 24, 7
	v_mov_b32_e32 v3, 0x7f800001
	s_mov_b32 s28, exec_lo
	s_delay_alu instid0(VALU_DEP_2)
	v_cmpx_ne_u32_e32 0x7f, v10
	s_cbranch_execz .LBB4_8296
; %bb.8293:                             ;   in Loop: Header=BB4_7930 Depth=2
	v_and_b32_e32 v14, 7, v2
	v_lshrrev_b32_e32 v3, 3, v10
	s_mov_b32 s29, exec_lo
	v_cmpx_gt_u32_e32 8, v10
; %bb.8294:                             ;   in Loop: Header=BB4_7930 Depth=2
	s_delay_alu instid0(VALU_DEP_3) | instskip(NEXT) | instid1(VALU_DEP_1)
	v_clz_i32_u32_e32 v3, v14
	v_min_u32_e32 v3, 32, v3
	s_delay_alu instid0(VALU_DEP_1) | instskip(NEXT) | instid1(VALU_DEP_1)
	v_subrev_nc_u32_e32 v10, 28, v3
	v_lshlrev_b64_e32 v[10:11], v10, v[14:15]
	s_delay_alu instid0(VALU_DEP_1)
	v_dual_sub_nc_u32 v3, 29, v3 :: v_dual_bitop2_b32 v14, 7, v10 bitop3:0x40
; %bb.8295:                             ;   in Loop: Header=BB4_7930 Depth=2
	s_or_b32 exec_lo, exec_lo, s29
	v_lshlrev_b32_e32 v2, 24, v2
	s_delay_alu instid0(VALU_DEP_2) | instskip(NEXT) | instid1(VALU_DEP_3)
	v_lshlrev_b32_e32 v10, 20, v14
	v_lshl_add_u32 v3, v3, 23, 0x3c000000
	s_delay_alu instid0(VALU_DEP_3) | instskip(NEXT) | instid1(VALU_DEP_1)
	v_and_b32_e32 v2, 0x80000000, v2
	v_or3_b32 v3, v10, v2, v3
.LBB4_8296:                             ;   in Loop: Header=BB4_7930 Depth=2
	s_or_b32 exec_lo, exec_lo, s28
.LBB4_8297:                             ;   in Loop: Header=BB4_7930 Depth=2
	s_delay_alu instid0(SALU_CYCLE_1)
	s_or_b32 exec_lo, exec_lo, s27
.LBB4_8298:                             ;   in Loop: Header=BB4_7930 Depth=2
	s_delay_alu instid0(SALU_CYCLE_1) | instskip(NEXT) | instid1(VALU_DEP_1)
	s_or_b32 exec_lo, exec_lo, s10
	v_mul_f32_e32 v3, s26, v3
                                        ; implicit-def: $vgpr45
	s_mov_b32 s10, exec_lo
	s_delay_alu instid0(VALU_DEP_1) | instskip(SKIP_1) | instid1(VALU_DEP_2)
	v_and_b32_e32 v14, 0x7f800000, v3
	v_lshrrev_b32_e32 v2, 24, v3
	v_cmpx_ne_u64_e32 0x7f800000, v[14:15]
	s_xor_b32 s27, exec_lo, s10
	s_cbranch_execz .LBB4_8312
; %bb.8299:                             ;   in Loop: Header=BB4_7930 Depth=2
	v_and_b32_e32 v14, 0x7fffffff, v3
	v_and_b32_e32 v2, 0x80, v2
                                        ; implicit-def: $vgpr45
	s_mov_b32 s10, exec_lo
	s_delay_alu instid0(VALU_DEP_2)
	v_cmpx_gt_u64_e32 0x43e00001, v[14:15]
	s_xor_b32 s28, exec_lo, s10
	s_cbranch_execz .LBB4_8309
; %bb.8300:                             ;   in Loop: Header=BB4_7930 Depth=2
	v_mov_b32_e32 v45, 0
	s_mov_b32 s29, exec_lo
	v_cmpx_ne_u32_e32 0, v3
	s_cbranch_execz .LBB4_8308
; %bb.8301:                             ;   in Loop: Header=BB4_7930 Depth=2
	v_bfe_u32 v86, v3, 23, 8
	v_and_b32_e32 v3, 0x7fffff, v3
	s_delay_alu instid0(VALU_DEP_2) | instskip(SKIP_1) | instid1(VALU_DEP_3)
	v_sub_nc_u32_e32 v10, 0x79, v86
	v_cmp_gt_u32_e32 vcc_lo, 0x7a, v86
	v_or_b32_e32 v12, 0x800000, v3
	s_delay_alu instid0(VALU_DEP_3) | instskip(SKIP_1) | instid1(VALU_DEP_2)
	v_cndmask_b32_e32 v10, 0, v10, vcc_lo
	v_cmp_eq_u32_e32 vcc_lo, 0, v86
	v_cndmask_b32_e64 v87, v10, 0x78, vcc_lo
	s_delay_alu instid0(VALU_DEP_4) | instskip(NEXT) | instid1(VALU_DEP_2)
	v_cndmask_b32_e32 v14, v12, v3, vcc_lo
	v_dual_add_nc_u32 v10, 20, v87 :: v_dual_add_nc_u32 v13, 19, v87
	s_delay_alu instid0(VALU_DEP_1) | instskip(NEXT) | instid1(VALU_DEP_2)
	v_lshlrev_b64_e64 v[10:11], v10, -1
	v_lshlrev_b64_e64 v[12:13], v13, 1
	s_delay_alu instid0(VALU_DEP_2) | instskip(NEXT) | instid1(VALU_DEP_3)
	v_bfi_b32 v97, v11, 0, 0
	v_bfi_b32 v96, v10, 0, v14
	v_lshrrev_b64 v[10:11], v87, v[14:15]
	s_delay_alu instid0(VALU_DEP_2) | instskip(NEXT) | instid1(VALU_DEP_2)
	v_cmp_eq_u64_e64 s10, v[96:97], v[12:13]
	v_mov_b64_e32 v[12:13], v[10:11]
	s_and_saveexec_b32 s40, s10
; %bb.8302:                             ;   in Loop: Header=BB4_7930 Depth=2
	v_bfe_u32 v14, v10, 20, 1
	s_delay_alu instid0(VALU_DEP_1) | instskip(NEXT) | instid1(VALU_DEP_1)
	v_add_nc_u64_e32 v[12:13], v[10:11], v[14:15]
	v_add_nc_u64_e32 v[12:13], -1, v[12:13]
; %bb.8303:                             ;   in Loop: Header=BB4_7930 Depth=2
	s_or_b32 exec_lo, exec_lo, s40
	v_add_nc_u32_e32 v3, 0xffffff81, v86
	v_lshrrev_b32_e32 v11, 23, v10
	s_mov_b32 s10, exec_lo
	s_delay_alu instid0(VALU_DEP_2) | instskip(NEXT) | instid1(VALU_DEP_1)
	v_cndmask_b32_e64 v3, v3, 0xffffff82, vcc_lo
	v_add3_u32 v13, v87, v3, v11
	v_and_b32_e32 v3, 0xfffff, v12
	s_delay_alu instid0(VALU_DEP_1) | instskip(NEXT) | instid1(VALU_DEP_1)
	v_dual_add_nc_u32 v12, 6, v13 :: v_dual_add_nc_u32 v14, v3, v10
                                        ; implicit-def: $vgpr10_vgpr11
                                        ; implicit-def: $vgpr3
	v_cmpx_ne_u32_e32 0, v12
	s_xor_b32 s10, exec_lo, s10
; %bb.8304:                             ;   in Loop: Header=BB4_7930 Depth=2
	s_delay_alu instid0(VALU_DEP_2) | instskip(SKIP_2) | instid1(VALU_DEP_2)
	v_cmp_lt_u64_e32 vcc_lo, 0xffffff, v[14:15]
	v_add_nc_u32_e32 v3, 7, v13
	v_cndmask_b32_e64 v10, 0, 1, vcc_lo
	v_cndmask_b32_e32 v3, v12, v3, vcc_lo
	s_delay_alu instid0(VALU_DEP_2)
	v_lshrrev_b64 v[10:11], v10, v[14:15]
; %bb.8305:                             ;   in Loop: Header=BB4_7930 Depth=2
	s_and_not1_saveexec_b32 s10, s10
; %bb.8306:                             ;   in Loop: Header=BB4_7930 Depth=2
	v_mov_b64_e32 v[10:11], v[14:15]
	v_bfe_u32 v3, v14, 23, 1
; %bb.8307:                             ;   in Loop: Header=BB4_7930 Depth=2
	s_or_b32 exec_lo, exec_lo, s10
	s_delay_alu instid0(VALU_DEP_2) | instskip(NEXT) | instid1(VALU_DEP_2)
	v_lshrrev_b64 v[10:11], 20, v[10:11]
	v_cmp_gt_i32_e32 vcc_lo, 16, v3
	v_min_i32_e32 v12, 15, v3
	v_cmp_eq_u32_e64 s10, 0, v3
	s_delay_alu instid0(VALU_DEP_2) | instskip(SKIP_1) | instid1(VALU_DEP_2)
	v_dual_cndmask_b32 v10, 7, v10, vcc_lo :: v_dual_lshlrev_b32 v12, 3, v12
	v_cndmask_b32_e32 v11, 0, v11, vcc_lo
	v_and_b32_e32 v12, 0xf8, v12
	s_delay_alu instid0(VALU_DEP_2) | instskip(NEXT) | instid1(VALU_DEP_2)
	v_cmp_eq_u64_e32 vcc_lo, 0, v[10:11]
	v_and_or_b32 v3, v10, 7, v12
	s_and_b32 s10, s10, vcc_lo
	s_delay_alu instid0(VALU_DEP_1) | instid1(SALU_CYCLE_1)
	v_cndmask_b32_e64 v3, v3, 0, s10
	s_delay_alu instid0(VALU_DEP_1)
	v_or_b32_e32 v45, v3, v2
.LBB4_8308:                             ;   in Loop: Header=BB4_7930 Depth=2
	s_or_b32 exec_lo, exec_lo, s29
                                        ; implicit-def: $vgpr2
.LBB4_8309:                             ;   in Loop: Header=BB4_7930 Depth=2
	s_and_not1_saveexec_b32 s10, s28
; %bb.8310:                             ;   in Loop: Header=BB4_7930 Depth=2
	v_or_b32_e32 v45, 0x7e, v2
; %bb.8311:                             ;   in Loop: Header=BB4_7930 Depth=2
	s_or_b32 exec_lo, exec_lo, s10
                                        ; implicit-def: $vgpr2
.LBB4_8312:                             ;   in Loop: Header=BB4_7930 Depth=2
	s_and_not1_saveexec_b32 s10, s27
; %bb.8313:                             ;   in Loop: Header=BB4_7930 Depth=2
	v_or_b32_e32 v45, 0x7f, v2
; %bb.8314:                             ;   in Loop: Header=BB4_7930 Depth=2
	s_or_b32 exec_lo, exec_lo, s10
	global_load_b128 v[10:13], v[84:85], off offset:512 th:TH_LOAD_NT
	v_mov_b32_e32 v2, 0
	s_mov_b32 s10, exec_lo
	s_wait_loadcnt 0x0
	v_and_b32_e32 v3, 0xff, v10
	s_wait_xcnt 0x0
	s_delay_alu instid0(VALU_DEP_1)
	v_cmpx_ne_u16_e32 0, v3
	s_cbranch_execz .LBB4_8320
; %bb.8315:                             ;   in Loop: Header=BB4_7930 Depth=2
	v_bfrev_b32_e32 v2, 1
	s_mov_b32 s27, exec_lo
	v_cmpx_ne_u16_e32 0x80, v3
	s_cbranch_execz .LBB4_8319
; %bb.8316:                             ;   in Loop: Header=BB4_7930 Depth=2
	v_and_b32_e32 v3, 0x7f, v10
	v_mov_b32_e32 v2, 0x7f800001
	s_mov_b32 s28, exec_lo
	s_delay_alu instid0(VALU_DEP_2)
	v_cmpx_ne_u32_e32 0x7f, v3
	s_cbranch_execz .LBB4_8318
; %bb.8317:                             ;   in Loop: Header=BB4_7930 Depth=2
	v_dual_lshrrev_b32 v14, 3, v3 :: v_dual_bitop2_b32 v2, 7, v10 bitop3:0x40
	v_cmp_gt_u32_e32 vcc_lo, 8, v3
	s_delay_alu instid0(VALU_DEP_2) | instskip(NEXT) | instid1(VALU_DEP_1)
	v_clz_i32_u32_e32 v2, v2
	v_min_u32_e32 v2, 32, v2
	s_delay_alu instid0(VALU_DEP_1) | instskip(SKIP_1) | instid1(VALU_DEP_1)
	v_subrev_nc_u32_e32 v20, 28, v2
	v_sub_nc_u32_e32 v2, 29, v2
	v_dual_cndmask_b32 v14, v14, v2, vcc_lo :: v_dual_cndmask_b32 v2, 0, v20, vcc_lo
	s_delay_alu instid0(VALU_DEP_1) | instskip(NEXT) | instid1(VALU_DEP_2)
	v_lshl_add_u32 v14, v14, 23, 0x3c000000
	v_lshlrev_b64_e32 v[2:3], v2, v[10:11]
	v_lshlrev_b32_e32 v3, 24, v10
	s_delay_alu instid0(VALU_DEP_1) | instskip(NEXT) | instid1(VALU_DEP_3)
	v_and_b32_e32 v3, 0x80000000, v3
	v_lshlrev_b32_e32 v2, 20, v2
	s_delay_alu instid0(VALU_DEP_1) | instskip(NEXT) | instid1(VALU_DEP_1)
	v_and_b32_e32 v2, 0x700000, v2
	v_or3_b32 v2, v2, v3, v14
.LBB4_8318:                             ;   in Loop: Header=BB4_7930 Depth=2
	s_or_b32 exec_lo, exec_lo, s28
.LBB4_8319:                             ;   in Loop: Header=BB4_7930 Depth=2
	s_delay_alu instid0(SALU_CYCLE_1)
	s_or_b32 exec_lo, exec_lo, s27
.LBB4_8320:                             ;   in Loop: Header=BB4_7930 Depth=2
	s_delay_alu instid0(SALU_CYCLE_1) | instskip(NEXT) | instid1(VALU_DEP_1)
	s_or_b32 exec_lo, exec_lo, s10
	v_mul_f32_e32 v3, s26, v2
                                        ; implicit-def: $vgpr46
	s_mov_b32 s10, exec_lo
	s_delay_alu instid0(VALU_DEP_1) | instskip(SKIP_1) | instid1(VALU_DEP_2)
	v_and_b32_e32 v14, 0x7f800000, v3
	v_lshrrev_b32_e32 v2, 24, v3
	v_cmpx_ne_u64_e32 0x7f800000, v[14:15]
	s_xor_b32 s27, exec_lo, s10
	s_cbranch_execz .LBB4_8334
; %bb.8321:                             ;   in Loop: Header=BB4_7930 Depth=2
	v_and_b32_e32 v14, 0x7fffffff, v3
	v_and_b32_e32 v2, 0x80, v2
                                        ; implicit-def: $vgpr46
	s_mov_b32 s10, exec_lo
	s_delay_alu instid0(VALU_DEP_2)
	v_cmpx_gt_u64_e32 0x43e00001, v[14:15]
	s_xor_b32 s28, exec_lo, s10
	s_cbranch_execz .LBB4_8331
; %bb.8322:                             ;   in Loop: Header=BB4_7930 Depth=2
	v_mov_b32_e32 v46, 0
	s_mov_b32 s29, exec_lo
	v_cmpx_ne_u32_e32 0, v3
	s_cbranch_execz .LBB4_8330
; %bb.8323:                             ;   in Loop: Header=BB4_7930 Depth=2
	v_bfe_u32 v98, v3, 23, 8
	v_and_b32_e32 v3, 0x7fffff, v3
	s_delay_alu instid0(VALU_DEP_2) | instskip(SKIP_1) | instid1(VALU_DEP_3)
	v_sub_nc_u32_e32 v14, 0x79, v98
	v_cmp_gt_u32_e32 vcc_lo, 0x7a, v98
	v_or_b32_e32 v20, 0x800000, v3
	s_delay_alu instid0(VALU_DEP_3) | instskip(SKIP_1) | instid1(VALU_DEP_2)
	v_cndmask_b32_e32 v14, 0, v14, vcc_lo
	v_cmp_eq_u32_e32 vcc_lo, 0, v98
	v_cndmask_b32_e64 v113, v14, 0x78, vcc_lo
	s_delay_alu instid0(VALU_DEP_1) | instskip(NEXT) | instid1(VALU_DEP_1)
	v_dual_add_nc_u32 v14, 20, v113 :: v_dual_add_nc_u32 v21, 19, v113
	v_lshlrev_b64_e64 v[86:87], v14, -1
	v_cndmask_b32_e32 v14, v20, v3, vcc_lo
	s_delay_alu instid0(VALU_DEP_3) | instskip(NEXT) | instid1(VALU_DEP_3)
	v_lshlrev_b64_e64 v[96:97], v21, 1
	v_bfi_b32 v47, v87, 0, 0
	s_delay_alu instid0(VALU_DEP_3) | instskip(SKIP_1) | instid1(VALU_DEP_2)
	v_bfi_b32 v46, v86, 0, v14
	v_lshrrev_b64 v[86:87], v113, v[14:15]
	v_cmp_eq_u64_e64 s10, v[46:47], v[96:97]
	s_delay_alu instid0(VALU_DEP_2)
	v_mov_b64_e32 v[96:97], v[86:87]
	s_and_saveexec_b32 s40, s10
; %bb.8324:                             ;   in Loop: Header=BB4_7930 Depth=2
	v_bfe_u32 v14, v86, 20, 1
	s_delay_alu instid0(VALU_DEP_1) | instskip(NEXT) | instid1(VALU_DEP_1)
	v_add_nc_u64_e32 v[96:97], v[86:87], v[14:15]
	v_add_nc_u64_e32 v[96:97], -1, v[96:97]
; %bb.8325:                             ;   in Loop: Header=BB4_7930 Depth=2
	s_or_b32 exec_lo, exec_lo, s40
	v_add_nc_u32_e32 v3, 0xffffff81, v98
	v_lshrrev_b32_e32 v14, 23, v86
	s_mov_b32 s10, exec_lo
	s_delay_alu instid0(VALU_DEP_2) | instskip(NEXT) | instid1(VALU_DEP_1)
	v_cndmask_b32_e64 v3, v3, 0xffffff82, vcc_lo
	v_add3_u32 v97, v113, v3, v14
	v_and_b32_e32 v3, 0xfffff, v96
	s_delay_alu instid0(VALU_DEP_1) | instskip(NEXT) | instid1(VALU_DEP_1)
	v_dual_add_nc_u32 v96, 6, v97 :: v_dual_add_nc_u32 v14, v3, v86
                                        ; implicit-def: $vgpr86_vgpr87
                                        ; implicit-def: $vgpr3
	v_cmpx_ne_u32_e32 0, v96
	s_xor_b32 s10, exec_lo, s10
; %bb.8326:                             ;   in Loop: Header=BB4_7930 Depth=2
	s_delay_alu instid0(VALU_DEP_2) | instskip(SKIP_2) | instid1(VALU_DEP_2)
	v_cmp_lt_u64_e32 vcc_lo, 0xffffff, v[14:15]
	v_add_nc_u32_e32 v3, 7, v97
	v_cndmask_b32_e64 v20, 0, 1, vcc_lo
	v_cndmask_b32_e32 v3, v96, v3, vcc_lo
	s_delay_alu instid0(VALU_DEP_2)
	v_lshrrev_b64 v[86:87], v20, v[14:15]
; %bb.8327:                             ;   in Loop: Header=BB4_7930 Depth=2
	s_and_not1_saveexec_b32 s10, s10
; %bb.8328:                             ;   in Loop: Header=BB4_7930 Depth=2
	v_mov_b64_e32 v[86:87], v[14:15]
	v_bfe_u32 v3, v14, 23, 1
; %bb.8329:                             ;   in Loop: Header=BB4_7930 Depth=2
	s_or_b32 exec_lo, exec_lo, s10
	s_delay_alu instid0(VALU_DEP_2) | instskip(NEXT) | instid1(VALU_DEP_2)
	v_lshrrev_b64 v[86:87], 20, v[86:87]
	v_cmp_gt_i32_e32 vcc_lo, 16, v3
	v_min_i32_e32 v14, 15, v3
	v_cmp_eq_u32_e64 s10, 0, v3
	s_delay_alu instid0(VALU_DEP_4) | instskip(NEXT) | instid1(VALU_DEP_3)
	v_cndmask_b32_e32 v86, 7, v86, vcc_lo
	v_dual_cndmask_b32 v87, 0, v87 :: v_dual_lshlrev_b32 v14, 3, v14
	s_delay_alu instid0(VALU_DEP_1) | instskip(NEXT) | instid1(VALU_DEP_2)
	v_and_b32_e32 v14, 0xf8, v14
	v_cmp_eq_u64_e32 vcc_lo, 0, v[86:87]
	s_delay_alu instid0(VALU_DEP_2)
	v_and_or_b32 v3, v86, 7, v14
	s_and_b32 s10, s10, vcc_lo
	s_delay_alu instid0(VALU_DEP_1) | instid1(SALU_CYCLE_1)
	v_cndmask_b32_e64 v3, v3, 0, s10
	s_delay_alu instid0(VALU_DEP_1)
	v_or_b32_e32 v46, v3, v2
.LBB4_8330:                             ;   in Loop: Header=BB4_7930 Depth=2
	s_or_b32 exec_lo, exec_lo, s29
                                        ; implicit-def: $vgpr2
.LBB4_8331:                             ;   in Loop: Header=BB4_7930 Depth=2
	s_and_not1_saveexec_b32 s10, s28
; %bb.8332:                             ;   in Loop: Header=BB4_7930 Depth=2
	v_or_b32_e32 v46, 0x7e, v2
; %bb.8333:                             ;   in Loop: Header=BB4_7930 Depth=2
	s_or_b32 exec_lo, exec_lo, s10
                                        ; implicit-def: $vgpr2
.LBB4_8334:                             ;   in Loop: Header=BB4_7930 Depth=2
	s_and_not1_saveexec_b32 s10, s27
; %bb.8335:                             ;   in Loop: Header=BB4_7930 Depth=2
	v_or_b32_e32 v46, 0x7f, v2
; %bb.8336:                             ;   in Loop: Header=BB4_7930 Depth=2
	s_or_b32 exec_lo, exec_lo, s10
	v_lshrrev_b16 v3, 8, v10
	v_mov_b32_e32 v2, 0
	s_mov_b32 s10, exec_lo
	s_delay_alu instid0(VALU_DEP_2)
	v_cmpx_ne_u16_e32 0, v3
	s_cbranch_execz .LBB4_8344
; %bb.8337:                             ;   in Loop: Header=BB4_7930 Depth=2
	v_bfrev_b32_e32 v2, 1
	s_mov_b32 s27, exec_lo
	v_cmpx_ne_u16_e32 0x80, v3
	s_cbranch_execz .LBB4_8343
; %bb.8338:                             ;   in Loop: Header=BB4_7930 Depth=2
	v_and_b32_e32 v14, 0xffff, v3
	v_mov_b32_e32 v2, 0x7f800001
	s_mov_b32 s28, exec_lo
	s_delay_alu instid0(VALU_DEP_2) | instskip(NEXT) | instid1(VALU_DEP_1)
	v_and_b32_e32 v3, 0x7f, v14
	v_cmpx_ne_u32_e32 0x7f, v3
	s_cbranch_execz .LBB4_8342
; %bb.8339:                             ;   in Loop: Header=BB4_7930 Depth=2
	v_dual_lshrrev_b32 v2, 3, v3 :: v_dual_bitop2_b32 v14, 7, v14 bitop3:0x40
	s_mov_b32 s29, exec_lo
	v_cmpx_gt_u32_e32 8, v3
; %bb.8340:                             ;   in Loop: Header=BB4_7930 Depth=2
	s_delay_alu instid0(VALU_DEP_2) | instskip(NEXT) | instid1(VALU_DEP_1)
	v_clz_i32_u32_e32 v2, v14
	v_min_u32_e32 v2, 32, v2
	s_delay_alu instid0(VALU_DEP_1) | instskip(SKIP_1) | instid1(VALU_DEP_2)
	v_subrev_nc_u32_e32 v3, 28, v2
	v_sub_nc_u32_e32 v2, 29, v2
	v_lshlrev_b64_e32 v[86:87], v3, v[14:15]
	s_delay_alu instid0(VALU_DEP_1)
	v_and_b32_e32 v14, 7, v86
; %bb.8341:                             ;   in Loop: Header=BB4_7930 Depth=2
	s_or_b32 exec_lo, exec_lo, s29
	v_lshlrev_b32_e32 v3, 16, v10
	s_delay_alu instid0(VALU_DEP_2) | instskip(SKIP_1) | instid1(VALU_DEP_3)
	v_lshlrev_b32_e32 v14, 20, v14
	v_lshl_add_u32 v2, v2, 23, 0x3c000000
	v_and_b32_e32 v3, 0x80000000, v3
	s_delay_alu instid0(VALU_DEP_1)
	v_or3_b32 v2, v14, v3, v2
.LBB4_8342:                             ;   in Loop: Header=BB4_7930 Depth=2
	s_or_b32 exec_lo, exec_lo, s28
.LBB4_8343:                             ;   in Loop: Header=BB4_7930 Depth=2
	s_delay_alu instid0(SALU_CYCLE_1)
	s_or_b32 exec_lo, exec_lo, s27
.LBB4_8344:                             ;   in Loop: Header=BB4_7930 Depth=2
	s_delay_alu instid0(SALU_CYCLE_1) | instskip(NEXT) | instid1(VALU_DEP_1)
	s_or_b32 exec_lo, exec_lo, s10
	v_mul_f32_e32 v3, s26, v2
                                        ; implicit-def: $vgpr47
	s_mov_b32 s10, exec_lo
	s_delay_alu instid0(VALU_DEP_1) | instskip(SKIP_1) | instid1(VALU_DEP_2)
	v_and_b32_e32 v14, 0x7f800000, v3
	v_lshrrev_b32_e32 v2, 24, v3
	v_cmpx_ne_u64_e32 0x7f800000, v[14:15]
	s_xor_b32 s27, exec_lo, s10
	s_cbranch_execz .LBB4_8358
; %bb.8345:                             ;   in Loop: Header=BB4_7930 Depth=2
	v_and_b32_e32 v14, 0x7fffffff, v3
	v_and_b32_e32 v2, 0x80, v2
                                        ; implicit-def: $vgpr47
	s_mov_b32 s10, exec_lo
	s_delay_alu instid0(VALU_DEP_2)
	v_cmpx_gt_u64_e32 0x43e00001, v[14:15]
	s_xor_b32 s28, exec_lo, s10
	s_cbranch_execz .LBB4_8355
; %bb.8346:                             ;   in Loop: Header=BB4_7930 Depth=2
	v_mov_b32_e32 v47, 0
	s_mov_b32 s29, exec_lo
	v_cmpx_ne_u32_e32 0, v3
	s_cbranch_execz .LBB4_8354
; %bb.8347:                             ;   in Loop: Header=BB4_7930 Depth=2
	v_bfe_u32 v98, v3, 23, 8
	v_and_b32_e32 v3, 0x7fffff, v3
	s_delay_alu instid0(VALU_DEP_2) | instskip(SKIP_1) | instid1(VALU_DEP_3)
	v_sub_nc_u32_e32 v14, 0x79, v98
	v_cmp_gt_u32_e32 vcc_lo, 0x7a, v98
	v_or_b32_e32 v20, 0x800000, v3
	s_delay_alu instid0(VALU_DEP_3) | instskip(SKIP_1) | instid1(VALU_DEP_2)
	v_cndmask_b32_e32 v14, 0, v14, vcc_lo
	v_cmp_eq_u32_e32 vcc_lo, 0, v98
	v_cndmask_b32_e64 v113, v14, 0x78, vcc_lo
	s_delay_alu instid0(VALU_DEP_1) | instskip(NEXT) | instid1(VALU_DEP_1)
	v_dual_add_nc_u32 v14, 20, v113 :: v_dual_add_nc_u32 v21, 19, v113
	v_lshlrev_b64_e64 v[86:87], v14, -1
	v_cndmask_b32_e32 v14, v20, v3, vcc_lo
	s_delay_alu instid0(VALU_DEP_3) | instskip(NEXT) | instid1(VALU_DEP_3)
	v_lshlrev_b64_e64 v[96:97], v21, 1
	v_bfi_b32 v57, v87, 0, 0
	s_delay_alu instid0(VALU_DEP_3) | instskip(SKIP_1) | instid1(VALU_DEP_2)
	v_bfi_b32 v56, v86, 0, v14
	v_lshrrev_b64 v[86:87], v113, v[14:15]
	v_cmp_eq_u64_e64 s10, v[56:57], v[96:97]
	s_delay_alu instid0(VALU_DEP_2)
	v_mov_b64_e32 v[96:97], v[86:87]
	s_and_saveexec_b32 s40, s10
; %bb.8348:                             ;   in Loop: Header=BB4_7930 Depth=2
	v_bfe_u32 v14, v86, 20, 1
	s_delay_alu instid0(VALU_DEP_1) | instskip(NEXT) | instid1(VALU_DEP_1)
	v_add_nc_u64_e32 v[96:97], v[86:87], v[14:15]
	v_add_nc_u64_e32 v[96:97], -1, v[96:97]
; %bb.8349:                             ;   in Loop: Header=BB4_7930 Depth=2
	s_or_b32 exec_lo, exec_lo, s40
	v_add_nc_u32_e32 v3, 0xffffff81, v98
	v_lshrrev_b32_e32 v14, 23, v86
	s_mov_b32 s10, exec_lo
	s_delay_alu instid0(VALU_DEP_2) | instskip(NEXT) | instid1(VALU_DEP_1)
	v_cndmask_b32_e64 v3, v3, 0xffffff82, vcc_lo
	v_add3_u32 v97, v113, v3, v14
	v_and_b32_e32 v3, 0xfffff, v96
	s_delay_alu instid0(VALU_DEP_1) | instskip(NEXT) | instid1(VALU_DEP_1)
	v_dual_add_nc_u32 v96, 6, v97 :: v_dual_add_nc_u32 v14, v3, v86
                                        ; implicit-def: $vgpr86_vgpr87
                                        ; implicit-def: $vgpr3
	v_cmpx_ne_u32_e32 0, v96
	s_xor_b32 s10, exec_lo, s10
; %bb.8350:                             ;   in Loop: Header=BB4_7930 Depth=2
	s_delay_alu instid0(VALU_DEP_2) | instskip(SKIP_2) | instid1(VALU_DEP_2)
	v_cmp_lt_u64_e32 vcc_lo, 0xffffff, v[14:15]
	v_add_nc_u32_e32 v3, 7, v97
	v_cndmask_b32_e64 v20, 0, 1, vcc_lo
	v_cndmask_b32_e32 v3, v96, v3, vcc_lo
	s_delay_alu instid0(VALU_DEP_2)
	v_lshrrev_b64 v[86:87], v20, v[14:15]
; %bb.8351:                             ;   in Loop: Header=BB4_7930 Depth=2
	s_and_not1_saveexec_b32 s10, s10
; %bb.8352:                             ;   in Loop: Header=BB4_7930 Depth=2
	v_mov_b64_e32 v[86:87], v[14:15]
	v_bfe_u32 v3, v14, 23, 1
; %bb.8353:                             ;   in Loop: Header=BB4_7930 Depth=2
	s_or_b32 exec_lo, exec_lo, s10
	s_delay_alu instid0(VALU_DEP_2) | instskip(NEXT) | instid1(VALU_DEP_2)
	v_lshrrev_b64 v[86:87], 20, v[86:87]
	v_cmp_gt_i32_e32 vcc_lo, 16, v3
	v_min_i32_e32 v14, 15, v3
	v_cmp_eq_u32_e64 s10, 0, v3
	s_delay_alu instid0(VALU_DEP_4) | instskip(NEXT) | instid1(VALU_DEP_3)
	v_cndmask_b32_e32 v86, 7, v86, vcc_lo
	v_dual_cndmask_b32 v87, 0, v87 :: v_dual_lshlrev_b32 v14, 3, v14
	s_delay_alu instid0(VALU_DEP_1) | instskip(NEXT) | instid1(VALU_DEP_2)
	v_and_b32_e32 v14, 0xf8, v14
	v_cmp_eq_u64_e32 vcc_lo, 0, v[86:87]
	s_delay_alu instid0(VALU_DEP_2)
	v_and_or_b32 v3, v86, 7, v14
	s_and_b32 s10, s10, vcc_lo
	s_delay_alu instid0(VALU_DEP_1) | instid1(SALU_CYCLE_1)
	v_cndmask_b32_e64 v3, v3, 0, s10
	s_delay_alu instid0(VALU_DEP_1)
	v_or_b32_e32 v47, v3, v2
.LBB4_8354:                             ;   in Loop: Header=BB4_7930 Depth=2
	s_or_b32 exec_lo, exec_lo, s29
                                        ; implicit-def: $vgpr2
.LBB4_8355:                             ;   in Loop: Header=BB4_7930 Depth=2
	s_and_not1_saveexec_b32 s10, s28
; %bb.8356:                             ;   in Loop: Header=BB4_7930 Depth=2
	v_or_b32_e32 v47, 0x7e, v2
; %bb.8357:                             ;   in Loop: Header=BB4_7930 Depth=2
	s_or_b32 exec_lo, exec_lo, s10
                                        ; implicit-def: $vgpr2
.LBB4_8358:                             ;   in Loop: Header=BB4_7930 Depth=2
	s_and_not1_saveexec_b32 s10, s27
; %bb.8359:                             ;   in Loop: Header=BB4_7930 Depth=2
	v_or_b32_e32 v47, 0x7f, v2
; %bb.8360:                             ;   in Loop: Header=BB4_7930 Depth=2
	s_or_b32 exec_lo, exec_lo, s10
	v_dual_mov_b32 v3, 0 :: v_dual_lshrrev_b32 v2, 16, v10
	s_mov_b32 s10, exec_lo
	s_delay_alu instid0(VALU_DEP_1) | instskip(NEXT) | instid1(VALU_DEP_1)
	v_and_b32_e32 v14, 0xff, v2
	v_cmpx_ne_u16_e32 0, v14
	s_cbranch_execz .LBB4_8368
; %bb.8361:                             ;   in Loop: Header=BB4_7930 Depth=2
	v_bfrev_b32_e32 v3, 1
	s_mov_b32 s27, exec_lo
	v_cmpx_ne_u16_e32 0x80, v14
	s_cbranch_execz .LBB4_8367
; %bb.8362:                             ;   in Loop: Header=BB4_7930 Depth=2
	v_bfe_u32 v86, v10, 16, 7
	v_mov_b32_e32 v3, 0x7f800001
	s_mov_b32 s28, exec_lo
	s_delay_alu instid0(VALU_DEP_2)
	v_cmpx_ne_u32_e32 0x7f, v86
	s_cbranch_execz .LBB4_8366
; %bb.8363:                             ;   in Loop: Header=BB4_7930 Depth=2
	v_and_b32_e32 v14, 7, v2
	v_lshrrev_b32_e32 v3, 3, v86
	s_mov_b32 s29, exec_lo
	v_cmpx_gt_u32_e32 8, v86
; %bb.8364:                             ;   in Loop: Header=BB4_7930 Depth=2
	s_delay_alu instid0(VALU_DEP_3) | instskip(NEXT) | instid1(VALU_DEP_1)
	v_clz_i32_u32_e32 v3, v14
	v_min_u32_e32 v3, 32, v3
	s_delay_alu instid0(VALU_DEP_1) | instskip(NEXT) | instid1(VALU_DEP_1)
	v_subrev_nc_u32_e32 v20, 28, v3
	v_lshlrev_b64_e32 v[86:87], v20, v[14:15]
	s_delay_alu instid0(VALU_DEP_1)
	v_dual_sub_nc_u32 v3, 29, v3 :: v_dual_bitop2_b32 v14, 7, v86 bitop3:0x40
; %bb.8365:                             ;   in Loop: Header=BB4_7930 Depth=2
	s_or_b32 exec_lo, exec_lo, s29
	v_lshlrev_b32_e32 v2, 24, v2
	s_delay_alu instid0(VALU_DEP_2) | instskip(NEXT) | instid1(VALU_DEP_3)
	v_lshlrev_b32_e32 v14, 20, v14
	v_lshl_add_u32 v3, v3, 23, 0x3c000000
	s_delay_alu instid0(VALU_DEP_3) | instskip(NEXT) | instid1(VALU_DEP_1)
	v_and_b32_e32 v2, 0x80000000, v2
	v_or3_b32 v3, v14, v2, v3
.LBB4_8366:                             ;   in Loop: Header=BB4_7930 Depth=2
	s_or_b32 exec_lo, exec_lo, s28
.LBB4_8367:                             ;   in Loop: Header=BB4_7930 Depth=2
	s_delay_alu instid0(SALU_CYCLE_1)
	s_or_b32 exec_lo, exec_lo, s27
.LBB4_8368:                             ;   in Loop: Header=BB4_7930 Depth=2
	s_delay_alu instid0(SALU_CYCLE_1) | instskip(NEXT) | instid1(VALU_DEP_1)
	s_or_b32 exec_lo, exec_lo, s10
	v_mul_f32_e32 v3, s26, v3
                                        ; implicit-def: $vgpr56
	s_mov_b32 s10, exec_lo
	s_delay_alu instid0(VALU_DEP_1) | instskip(SKIP_1) | instid1(VALU_DEP_2)
	v_and_b32_e32 v14, 0x7f800000, v3
	v_lshrrev_b32_e32 v2, 24, v3
	v_cmpx_ne_u64_e32 0x7f800000, v[14:15]
	s_xor_b32 s27, exec_lo, s10
	s_cbranch_execz .LBB4_8382
; %bb.8369:                             ;   in Loop: Header=BB4_7930 Depth=2
	v_and_b32_e32 v14, 0x7fffffff, v3
	v_and_b32_e32 v2, 0x80, v2
                                        ; implicit-def: $vgpr56
	s_mov_b32 s10, exec_lo
	s_delay_alu instid0(VALU_DEP_2)
	v_cmpx_gt_u64_e32 0x43e00001, v[14:15]
	s_xor_b32 s28, exec_lo, s10
	s_cbranch_execz .LBB4_8379
; %bb.8370:                             ;   in Loop: Header=BB4_7930 Depth=2
	v_mov_b32_e32 v56, 0
	s_mov_b32 s29, exec_lo
	v_cmpx_ne_u32_e32 0, v3
	s_cbranch_execz .LBB4_8378
; %bb.8371:                             ;   in Loop: Header=BB4_7930 Depth=2
	v_bfe_u32 v98, v3, 23, 8
	v_and_b32_e32 v3, 0x7fffff, v3
	s_delay_alu instid0(VALU_DEP_2) | instskip(SKIP_1) | instid1(VALU_DEP_3)
	v_sub_nc_u32_e32 v14, 0x79, v98
	v_cmp_gt_u32_e32 vcc_lo, 0x7a, v98
	v_or_b32_e32 v20, 0x800000, v3
	s_delay_alu instid0(VALU_DEP_3) | instskip(SKIP_1) | instid1(VALU_DEP_2)
	v_cndmask_b32_e32 v14, 0, v14, vcc_lo
	v_cmp_eq_u32_e32 vcc_lo, 0, v98
	v_cndmask_b32_e64 v113, v14, 0x78, vcc_lo
	s_delay_alu instid0(VALU_DEP_1) | instskip(NEXT) | instid1(VALU_DEP_1)
	v_dual_add_nc_u32 v14, 20, v113 :: v_dual_add_nc_u32 v21, 19, v113
	v_lshlrev_b64_e64 v[86:87], v14, -1
	v_cndmask_b32_e32 v14, v20, v3, vcc_lo
	s_delay_alu instid0(VALU_DEP_3) | instskip(NEXT) | instid1(VALU_DEP_3)
	v_lshlrev_b64_e64 v[96:97], v21, 1
	v_bfi_b32 v57, v87, 0, 0
	s_delay_alu instid0(VALU_DEP_3) | instskip(SKIP_1) | instid1(VALU_DEP_2)
	v_bfi_b32 v56, v86, 0, v14
	v_lshrrev_b64 v[86:87], v113, v[14:15]
	v_cmp_eq_u64_e64 s10, v[56:57], v[96:97]
	s_delay_alu instid0(VALU_DEP_2)
	v_mov_b64_e32 v[96:97], v[86:87]
	s_and_saveexec_b32 s40, s10
; %bb.8372:                             ;   in Loop: Header=BB4_7930 Depth=2
	v_bfe_u32 v14, v86, 20, 1
	s_delay_alu instid0(VALU_DEP_1) | instskip(NEXT) | instid1(VALU_DEP_1)
	v_add_nc_u64_e32 v[96:97], v[86:87], v[14:15]
	v_add_nc_u64_e32 v[96:97], -1, v[96:97]
; %bb.8373:                             ;   in Loop: Header=BB4_7930 Depth=2
	s_or_b32 exec_lo, exec_lo, s40
	v_add_nc_u32_e32 v3, 0xffffff81, v98
	v_lshrrev_b32_e32 v14, 23, v86
	s_mov_b32 s10, exec_lo
	s_delay_alu instid0(VALU_DEP_2) | instskip(NEXT) | instid1(VALU_DEP_1)
	v_cndmask_b32_e64 v3, v3, 0xffffff82, vcc_lo
	v_add3_u32 v97, v113, v3, v14
	v_and_b32_e32 v3, 0xfffff, v96
	s_delay_alu instid0(VALU_DEP_1) | instskip(NEXT) | instid1(VALU_DEP_1)
	v_dual_add_nc_u32 v96, 6, v97 :: v_dual_add_nc_u32 v14, v3, v86
                                        ; implicit-def: $vgpr86_vgpr87
                                        ; implicit-def: $vgpr3
	v_cmpx_ne_u32_e32 0, v96
	s_xor_b32 s10, exec_lo, s10
; %bb.8374:                             ;   in Loop: Header=BB4_7930 Depth=2
	s_delay_alu instid0(VALU_DEP_2) | instskip(SKIP_2) | instid1(VALU_DEP_2)
	v_cmp_lt_u64_e32 vcc_lo, 0xffffff, v[14:15]
	v_add_nc_u32_e32 v3, 7, v97
	v_cndmask_b32_e64 v20, 0, 1, vcc_lo
	v_cndmask_b32_e32 v3, v96, v3, vcc_lo
	s_delay_alu instid0(VALU_DEP_2)
	v_lshrrev_b64 v[86:87], v20, v[14:15]
; %bb.8375:                             ;   in Loop: Header=BB4_7930 Depth=2
	s_and_not1_saveexec_b32 s10, s10
; %bb.8376:                             ;   in Loop: Header=BB4_7930 Depth=2
	v_mov_b64_e32 v[86:87], v[14:15]
	v_bfe_u32 v3, v14, 23, 1
; %bb.8377:                             ;   in Loop: Header=BB4_7930 Depth=2
	s_or_b32 exec_lo, exec_lo, s10
	s_delay_alu instid0(VALU_DEP_2) | instskip(NEXT) | instid1(VALU_DEP_2)
	v_lshrrev_b64 v[86:87], 20, v[86:87]
	v_cmp_gt_i32_e32 vcc_lo, 16, v3
	v_min_i32_e32 v14, 15, v3
	v_cmp_eq_u32_e64 s10, 0, v3
	s_delay_alu instid0(VALU_DEP_4) | instskip(NEXT) | instid1(VALU_DEP_3)
	v_cndmask_b32_e32 v86, 7, v86, vcc_lo
	v_dual_cndmask_b32 v87, 0, v87 :: v_dual_lshlrev_b32 v14, 3, v14
	s_delay_alu instid0(VALU_DEP_1) | instskip(NEXT) | instid1(VALU_DEP_2)
	v_and_b32_e32 v14, 0xf8, v14
	v_cmp_eq_u64_e32 vcc_lo, 0, v[86:87]
	s_delay_alu instid0(VALU_DEP_2)
	v_and_or_b32 v3, v86, 7, v14
	s_and_b32 s10, s10, vcc_lo
	s_delay_alu instid0(VALU_DEP_1) | instid1(SALU_CYCLE_1)
	v_cndmask_b32_e64 v3, v3, 0, s10
	s_delay_alu instid0(VALU_DEP_1)
	v_or_b32_e32 v56, v3, v2
.LBB4_8378:                             ;   in Loop: Header=BB4_7930 Depth=2
	s_or_b32 exec_lo, exec_lo, s29
                                        ; implicit-def: $vgpr2
.LBB4_8379:                             ;   in Loop: Header=BB4_7930 Depth=2
	s_and_not1_saveexec_b32 s10, s28
; %bb.8380:                             ;   in Loop: Header=BB4_7930 Depth=2
	v_or_b32_e32 v56, 0x7e, v2
; %bb.8381:                             ;   in Loop: Header=BB4_7930 Depth=2
	s_or_b32 exec_lo, exec_lo, s10
                                        ; implicit-def: $vgpr2
.LBB4_8382:                             ;   in Loop: Header=BB4_7930 Depth=2
	s_and_not1_saveexec_b32 s10, s27
; %bb.8383:                             ;   in Loop: Header=BB4_7930 Depth=2
	v_or_b32_e32 v56, 0x7f, v2
; %bb.8384:                             ;   in Loop: Header=BB4_7930 Depth=2
	s_or_b32 exec_lo, exec_lo, s10
	v_mov_b32_e32 v3, 0
	s_mov_b32 s10, exec_lo
	v_cmpx_lt_u32_e32 0xffffff, v10
	s_cbranch_execz .LBB4_8392
; %bb.8385:                             ;   in Loop: Header=BB4_7930 Depth=2
	v_lshrrev_b32_e32 v2, 24, v10
	v_bfrev_b32_e32 v3, 1
	s_mov_b32 s27, exec_lo
	s_delay_alu instid0(VALU_DEP_2)
	v_cmpx_ne_u32_e32 0x80, v2
	s_cbranch_execz .LBB4_8391
; %bb.8386:                             ;   in Loop: Header=BB4_7930 Depth=2
	v_bfe_u32 v86, v10, 24, 7
	v_mov_b32_e32 v3, 0x7f800001
	s_mov_b32 s28, exec_lo
	s_delay_alu instid0(VALU_DEP_2)
	v_cmpx_ne_u32_e32 0x7f, v86
	s_cbranch_execz .LBB4_8390
; %bb.8387:                             ;   in Loop: Header=BB4_7930 Depth=2
	v_and_b32_e32 v14, 7, v2
	v_lshrrev_b32_e32 v3, 3, v86
	s_mov_b32 s29, exec_lo
	v_cmpx_gt_u32_e32 8, v86
; %bb.8388:                             ;   in Loop: Header=BB4_7930 Depth=2
	s_delay_alu instid0(VALU_DEP_3) | instskip(NEXT) | instid1(VALU_DEP_1)
	v_clz_i32_u32_e32 v3, v14
	v_min_u32_e32 v3, 32, v3
	s_delay_alu instid0(VALU_DEP_1) | instskip(NEXT) | instid1(VALU_DEP_1)
	v_subrev_nc_u32_e32 v20, 28, v3
	v_lshlrev_b64_e32 v[86:87], v20, v[14:15]
	s_delay_alu instid0(VALU_DEP_1)
	v_dual_sub_nc_u32 v3, 29, v3 :: v_dual_bitop2_b32 v14, 7, v86 bitop3:0x40
; %bb.8389:                             ;   in Loop: Header=BB4_7930 Depth=2
	s_or_b32 exec_lo, exec_lo, s29
	v_lshlrev_b32_e32 v2, 24, v2
	s_delay_alu instid0(VALU_DEP_2) | instskip(NEXT) | instid1(VALU_DEP_3)
	v_lshlrev_b32_e32 v14, 20, v14
	v_lshl_add_u32 v3, v3, 23, 0x3c000000
	s_delay_alu instid0(VALU_DEP_3) | instskip(NEXT) | instid1(VALU_DEP_1)
	v_and_b32_e32 v2, 0x80000000, v2
	v_or3_b32 v3, v14, v2, v3
.LBB4_8390:                             ;   in Loop: Header=BB4_7930 Depth=2
	s_or_b32 exec_lo, exec_lo, s28
.LBB4_8391:                             ;   in Loop: Header=BB4_7930 Depth=2
	s_delay_alu instid0(SALU_CYCLE_1)
	s_or_b32 exec_lo, exec_lo, s27
.LBB4_8392:                             ;   in Loop: Header=BB4_7930 Depth=2
	s_delay_alu instid0(SALU_CYCLE_1) | instskip(NEXT) | instid1(VALU_DEP_1)
	s_or_b32 exec_lo, exec_lo, s10
	v_mul_f32_e32 v3, s26, v3
                                        ; implicit-def: $vgpr57
	s_mov_b32 s10, exec_lo
	s_delay_alu instid0(VALU_DEP_1) | instskip(SKIP_1) | instid1(VALU_DEP_2)
	v_and_b32_e32 v14, 0x7f800000, v3
	v_lshrrev_b32_e32 v2, 24, v3
	v_cmpx_ne_u64_e32 0x7f800000, v[14:15]
	s_xor_b32 s27, exec_lo, s10
	s_cbranch_execz .LBB4_8406
; %bb.8393:                             ;   in Loop: Header=BB4_7930 Depth=2
	v_and_b32_e32 v14, 0x7fffffff, v3
	v_and_b32_e32 v2, 0x80, v2
                                        ; implicit-def: $vgpr57
	s_mov_b32 s10, exec_lo
	s_delay_alu instid0(VALU_DEP_2)
	v_cmpx_gt_u64_e32 0x43e00001, v[14:15]
	s_xor_b32 s28, exec_lo, s10
	s_cbranch_execz .LBB4_8403
; %bb.8394:                             ;   in Loop: Header=BB4_7930 Depth=2
	v_mov_b32_e32 v57, 0
	s_mov_b32 s29, exec_lo
	v_cmpx_ne_u32_e32 0, v3
	s_cbranch_execz .LBB4_8402
; %bb.8395:                             ;   in Loop: Header=BB4_7930 Depth=2
	v_bfe_u32 v98, v3, 23, 8
	v_and_b32_e32 v3, 0x7fffff, v3
	s_delay_alu instid0(VALU_DEP_2) | instskip(SKIP_1) | instid1(VALU_DEP_3)
	v_sub_nc_u32_e32 v14, 0x79, v98
	v_cmp_gt_u32_e32 vcc_lo, 0x7a, v98
	v_or_b32_e32 v20, 0x800000, v3
	s_delay_alu instid0(VALU_DEP_3) | instskip(SKIP_1) | instid1(VALU_DEP_2)
	v_cndmask_b32_e32 v14, 0, v14, vcc_lo
	v_cmp_eq_u32_e32 vcc_lo, 0, v98
	v_cndmask_b32_e64 v113, v14, 0x78, vcc_lo
	s_delay_alu instid0(VALU_DEP_1) | instskip(NEXT) | instid1(VALU_DEP_1)
	v_dual_add_nc_u32 v14, 20, v113 :: v_dual_add_nc_u32 v21, 19, v113
	v_lshlrev_b64_e64 v[86:87], v14, -1
	v_cndmask_b32_e32 v14, v20, v3, vcc_lo
	s_delay_alu instid0(VALU_DEP_3) | instskip(NEXT) | instid1(VALU_DEP_3)
	v_lshlrev_b64_e64 v[96:97], v21, 1
	v_bfi_b32 v59, v87, 0, 0
	s_delay_alu instid0(VALU_DEP_3) | instskip(SKIP_1) | instid1(VALU_DEP_2)
	v_bfi_b32 v58, v86, 0, v14
	v_lshrrev_b64 v[86:87], v113, v[14:15]
	v_cmp_eq_u64_e64 s10, v[58:59], v[96:97]
	s_delay_alu instid0(VALU_DEP_2)
	v_mov_b64_e32 v[96:97], v[86:87]
	s_and_saveexec_b32 s40, s10
; %bb.8396:                             ;   in Loop: Header=BB4_7930 Depth=2
	v_bfe_u32 v14, v86, 20, 1
	s_delay_alu instid0(VALU_DEP_1) | instskip(NEXT) | instid1(VALU_DEP_1)
	v_add_nc_u64_e32 v[96:97], v[86:87], v[14:15]
	v_add_nc_u64_e32 v[96:97], -1, v[96:97]
; %bb.8397:                             ;   in Loop: Header=BB4_7930 Depth=2
	s_or_b32 exec_lo, exec_lo, s40
	v_add_nc_u32_e32 v3, 0xffffff81, v98
	v_lshrrev_b32_e32 v14, 23, v86
	s_mov_b32 s10, exec_lo
	s_delay_alu instid0(VALU_DEP_2) | instskip(NEXT) | instid1(VALU_DEP_1)
	v_cndmask_b32_e64 v3, v3, 0xffffff82, vcc_lo
	v_add3_u32 v97, v113, v3, v14
	v_and_b32_e32 v3, 0xfffff, v96
	s_delay_alu instid0(VALU_DEP_1) | instskip(NEXT) | instid1(VALU_DEP_1)
	v_dual_add_nc_u32 v96, 6, v97 :: v_dual_add_nc_u32 v14, v3, v86
                                        ; implicit-def: $vgpr86_vgpr87
                                        ; implicit-def: $vgpr3
	v_cmpx_ne_u32_e32 0, v96
	s_xor_b32 s10, exec_lo, s10
; %bb.8398:                             ;   in Loop: Header=BB4_7930 Depth=2
	s_delay_alu instid0(VALU_DEP_2) | instskip(SKIP_2) | instid1(VALU_DEP_2)
	v_cmp_lt_u64_e32 vcc_lo, 0xffffff, v[14:15]
	v_add_nc_u32_e32 v3, 7, v97
	v_cndmask_b32_e64 v20, 0, 1, vcc_lo
	v_cndmask_b32_e32 v3, v96, v3, vcc_lo
	s_delay_alu instid0(VALU_DEP_2)
	v_lshrrev_b64 v[86:87], v20, v[14:15]
; %bb.8399:                             ;   in Loop: Header=BB4_7930 Depth=2
	s_and_not1_saveexec_b32 s10, s10
; %bb.8400:                             ;   in Loop: Header=BB4_7930 Depth=2
	v_mov_b64_e32 v[86:87], v[14:15]
	v_bfe_u32 v3, v14, 23, 1
; %bb.8401:                             ;   in Loop: Header=BB4_7930 Depth=2
	s_or_b32 exec_lo, exec_lo, s10
	s_delay_alu instid0(VALU_DEP_2) | instskip(NEXT) | instid1(VALU_DEP_2)
	v_lshrrev_b64 v[86:87], 20, v[86:87]
	v_cmp_gt_i32_e32 vcc_lo, 16, v3
	v_min_i32_e32 v14, 15, v3
	v_cmp_eq_u32_e64 s10, 0, v3
	s_delay_alu instid0(VALU_DEP_4) | instskip(NEXT) | instid1(VALU_DEP_3)
	v_cndmask_b32_e32 v86, 7, v86, vcc_lo
	v_dual_cndmask_b32 v87, 0, v87 :: v_dual_lshlrev_b32 v14, 3, v14
	s_delay_alu instid0(VALU_DEP_1) | instskip(NEXT) | instid1(VALU_DEP_2)
	v_and_b32_e32 v14, 0xf8, v14
	v_cmp_eq_u64_e32 vcc_lo, 0, v[86:87]
	s_delay_alu instid0(VALU_DEP_2)
	v_and_or_b32 v3, v86, 7, v14
	s_and_b32 s10, s10, vcc_lo
	s_delay_alu instid0(VALU_DEP_1) | instid1(SALU_CYCLE_1)
	v_cndmask_b32_e64 v3, v3, 0, s10
	s_delay_alu instid0(VALU_DEP_1)
	v_or_b32_e32 v57, v3, v2
.LBB4_8402:                             ;   in Loop: Header=BB4_7930 Depth=2
	s_or_b32 exec_lo, exec_lo, s29
                                        ; implicit-def: $vgpr2
.LBB4_8403:                             ;   in Loop: Header=BB4_7930 Depth=2
	s_and_not1_saveexec_b32 s10, s28
; %bb.8404:                             ;   in Loop: Header=BB4_7930 Depth=2
	v_or_b32_e32 v57, 0x7e, v2
; %bb.8405:                             ;   in Loop: Header=BB4_7930 Depth=2
	s_or_b32 exec_lo, exec_lo, s10
                                        ; implicit-def: $vgpr2
.LBB4_8406:                             ;   in Loop: Header=BB4_7930 Depth=2
	s_and_not1_saveexec_b32 s10, s27
; %bb.8407:                             ;   in Loop: Header=BB4_7930 Depth=2
	v_or_b32_e32 v57, 0x7f, v2
; %bb.8408:                             ;   in Loop: Header=BB4_7930 Depth=2
	s_or_b32 exec_lo, exec_lo, s10
	v_and_b32_e32 v3, 0xff, v11
	v_dual_mov_b32 v14, v11 :: v_dual_mov_b32 v2, 0
	s_mov_b32 s10, exec_lo
	s_delay_alu instid0(VALU_DEP_2)
	v_cmpx_ne_u16_e32 0, v3
	s_cbranch_execz .LBB4_8414
; %bb.8409:                             ;   in Loop: Header=BB4_7930 Depth=2
	v_bfrev_b32_e32 v2, 1
	s_mov_b32 s27, exec_lo
	v_cmpx_ne_u16_e32 0x80, v3
	s_cbranch_execz .LBB4_8413
; %bb.8410:                             ;   in Loop: Header=BB4_7930 Depth=2
	v_and_b32_e32 v3, 0x7f, v11
	v_mov_b32_e32 v2, 0x7f800001
	s_mov_b32 s28, exec_lo
	s_delay_alu instid0(VALU_DEP_2)
	v_cmpx_ne_u32_e32 0x7f, v3
	s_cbranch_execz .LBB4_8412
; %bb.8411:                             ;   in Loop: Header=BB4_7930 Depth=2
	v_and_b32_e32 v2, 7, v11
	v_cmp_gt_u32_e32 vcc_lo, 8, v3
	s_delay_alu instid0(VALU_DEP_2) | instskip(NEXT) | instid1(VALU_DEP_1)
	v_clz_i32_u32_e32 v2, v2
	v_min_u32_e32 v2, 32, v2
	v_lshrrev_b32_e32 v20, 3, v3
	s_delay_alu instid0(VALU_DEP_2) | instskip(SKIP_1) | instid1(VALU_DEP_1)
	v_subrev_nc_u32_e32 v21, 28, v2
	v_sub_nc_u32_e32 v2, 29, v2
	v_dual_cndmask_b32 v20, v20, v2, vcc_lo :: v_dual_cndmask_b32 v2, 0, v21, vcc_lo
	s_delay_alu instid0(VALU_DEP_1) | instskip(NEXT) | instid1(VALU_DEP_2)
	v_lshl_add_u32 v20, v20, 23, 0x3c000000
	v_lshlrev_b64_e32 v[2:3], v2, v[14:15]
	v_lshlrev_b32_e32 v3, 24, v14
	s_delay_alu instid0(VALU_DEP_1) | instskip(NEXT) | instid1(VALU_DEP_3)
	v_and_b32_e32 v3, 0x80000000, v3
	v_lshlrev_b32_e32 v2, 20, v2
	s_delay_alu instid0(VALU_DEP_1) | instskip(NEXT) | instid1(VALU_DEP_1)
	v_and_b32_e32 v2, 0x700000, v2
	v_or3_b32 v2, v2, v3, v20
.LBB4_8412:                             ;   in Loop: Header=BB4_7930 Depth=2
	s_or_b32 exec_lo, exec_lo, s28
.LBB4_8413:                             ;   in Loop: Header=BB4_7930 Depth=2
	s_delay_alu instid0(SALU_CYCLE_1)
	s_or_b32 exec_lo, exec_lo, s27
.LBB4_8414:                             ;   in Loop: Header=BB4_7930 Depth=2
	s_delay_alu instid0(SALU_CYCLE_1) | instskip(NEXT) | instid1(VALU_DEP_1)
	s_or_b32 exec_lo, exec_lo, s10
	v_dual_mul_f32 v3, s26, v2 :: v_dual_mov_b32 v87, v15
                                        ; implicit-def: $vgpr58
	s_mov_b32 s10, exec_lo
	s_delay_alu instid0(VALU_DEP_1) | instskip(SKIP_1) | instid1(VALU_DEP_2)
	v_and_b32_e32 v86, 0x7f800000, v3
	v_lshrrev_b32_e32 v2, 24, v3
	v_cmpx_ne_u64_e32 0x7f800000, v[86:87]
	s_xor_b32 s27, exec_lo, s10
	s_cbranch_execz .LBB4_8428
; %bb.8415:                             ;   in Loop: Header=BB4_7930 Depth=2
	v_and_b32_e32 v86, 0x7fffffff, v3
	v_mov_b32_e32 v87, v15
	v_and_b32_e32 v2, 0x80, v2
                                        ; implicit-def: $vgpr58
	s_mov_b32 s10, exec_lo
	s_delay_alu instid0(VALU_DEP_2)
	v_cmpx_gt_u64_e32 0x43e00001, v[86:87]
	s_xor_b32 s28, exec_lo, s10
	s_cbranch_execz .LBB4_8425
; %bb.8416:                             ;   in Loop: Header=BB4_7930 Depth=2
	v_mov_b32_e32 v58, 0
	s_mov_b32 s29, exec_lo
	v_cmpx_ne_u32_e32 0, v3
	s_cbranch_execz .LBB4_8424
; %bb.8417:                             ;   in Loop: Header=BB4_7930 Depth=2
	v_bfe_u32 v98, v3, 23, 8
	v_and_b32_e32 v3, 0x7fffff, v3
	s_mov_b32 s40, exec_lo
	s_delay_alu instid0(VALU_DEP_2) | instskip(SKIP_1) | instid1(VALU_DEP_3)
	v_dual_mov_b32 v97, v15 :: v_dual_sub_nc_u32 v20, 0x79, v98
	v_cmp_gt_u32_e32 vcc_lo, 0x7a, v98
	v_or_b32_e32 v21, 0x800000, v3
	s_delay_alu instid0(VALU_DEP_3) | instskip(SKIP_1) | instid1(VALU_DEP_3)
	v_cndmask_b32_e32 v20, 0, v20, vcc_lo
	v_cmp_eq_u32_e32 vcc_lo, 0, v98
	v_cndmask_b32_e32 v96, v21, v3, vcc_lo
	s_delay_alu instid0(VALU_DEP_3) | instskip(NEXT) | instid1(VALU_DEP_1)
	v_cndmask_b32_e64 v113, v20, 0x78, vcc_lo
	v_add_nc_u32_e32 v20, 20, v113
	s_delay_alu instid0(VALU_DEP_1) | instskip(SKIP_1) | instid1(VALU_DEP_1)
	v_lshlrev_b64_e64 v[86:87], v20, -1
	v_add_nc_u32_e32 v20, 19, v113
	v_lshlrev_b64_e64 v[58:59], v20, 1
	s_delay_alu instid0(VALU_DEP_3) | instskip(NEXT) | instid1(VALU_DEP_4)
	v_bfi_b32 v61, v87, 0, 0
	v_bfi_b32 v60, v86, 0, v96
	v_lshrrev_b64 v[86:87], v113, v[96:97]
	s_delay_alu instid0(VALU_DEP_1) | instskip(NEXT) | instid1(VALU_DEP_3)
	v_mov_b64_e32 v[96:97], v[86:87]
	v_cmpx_eq_u64_e64 v[60:61], v[58:59]
; %bb.8418:                             ;   in Loop: Header=BB4_7930 Depth=2
	v_bfe_u32 v96, v86, 20, 1
	v_mov_b32_e32 v97, v15
	s_delay_alu instid0(VALU_DEP_1) | instskip(NEXT) | instid1(VALU_DEP_1)
	v_add_nc_u64_e32 v[96:97], v[86:87], v[96:97]
	v_add_nc_u64_e32 v[96:97], -1, v[96:97]
; %bb.8419:                             ;   in Loop: Header=BB4_7930 Depth=2
	s_or_b32 exec_lo, exec_lo, s40
	v_add_nc_u32_e32 v3, 0xffffff81, v98
	v_dual_mov_b32 v87, v15 :: v_dual_lshrrev_b32 v20, 23, v86
	s_mov_b32 s10, exec_lo
	s_delay_alu instid0(VALU_DEP_2) | instskip(NEXT) | instid1(VALU_DEP_1)
	v_cndmask_b32_e64 v3, v3, 0xffffff82, vcc_lo
	v_add3_u32 v97, v113, v3, v20
	v_and_b32_e32 v3, 0xfffff, v96
	s_delay_alu instid0(VALU_DEP_1) | instskip(NEXT) | instid1(VALU_DEP_1)
	v_dual_add_nc_u32 v96, 6, v97 :: v_dual_add_nc_u32 v86, v3, v86
                                        ; implicit-def: $vgpr3
	v_cmpx_ne_u32_e32 0, v96
	s_xor_b32 s10, exec_lo, s10
; %bb.8420:                             ;   in Loop: Header=BB4_7930 Depth=2
	s_delay_alu instid0(VALU_DEP_2) | instskip(SKIP_2) | instid1(VALU_DEP_2)
	v_cmp_lt_u64_e32 vcc_lo, 0xffffff, v[86:87]
	v_add_nc_u32_e32 v3, 7, v97
	v_cndmask_b32_e64 v20, 0, 1, vcc_lo
	v_cndmask_b32_e32 v3, v96, v3, vcc_lo
	s_delay_alu instid0(VALU_DEP_2)
	v_lshrrev_b64 v[86:87], v20, v[86:87]
; %bb.8421:                             ;   in Loop: Header=BB4_7930 Depth=2
	s_and_not1_saveexec_b32 s10, s10
; %bb.8422:                             ;   in Loop: Header=BB4_7930 Depth=2
	s_delay_alu instid0(VALU_DEP_1)
	v_bfe_u32 v3, v86, 23, 1
; %bb.8423:                             ;   in Loop: Header=BB4_7930 Depth=2
	s_or_b32 exec_lo, exec_lo, s10
	s_delay_alu instid0(VALU_DEP_2) | instskip(NEXT) | instid1(VALU_DEP_2)
	v_lshrrev_b64 v[86:87], 20, v[86:87]
	v_cmp_gt_i32_e32 vcc_lo, 16, v3
	v_min_i32_e32 v20, 15, v3
	v_cmp_eq_u32_e64 s10, 0, v3
	s_delay_alu instid0(VALU_DEP_2) | instskip(SKIP_1) | instid1(VALU_DEP_2)
	v_dual_cndmask_b32 v86, 7, v86, vcc_lo :: v_dual_lshlrev_b32 v20, 3, v20
	v_cndmask_b32_e32 v87, 0, v87, vcc_lo
	v_and_b32_e32 v20, 0xf8, v20
	s_delay_alu instid0(VALU_DEP_2) | instskip(NEXT) | instid1(VALU_DEP_2)
	v_cmp_eq_u64_e32 vcc_lo, 0, v[86:87]
	v_and_or_b32 v3, v86, 7, v20
	s_and_b32 s10, s10, vcc_lo
	s_delay_alu instid0(VALU_DEP_1) | instid1(SALU_CYCLE_1)
	v_cndmask_b32_e64 v3, v3, 0, s10
	s_delay_alu instid0(VALU_DEP_1)
	v_or_b32_e32 v58, v3, v2
.LBB4_8424:                             ;   in Loop: Header=BB4_7930 Depth=2
	s_or_b32 exec_lo, exec_lo, s29
                                        ; implicit-def: $vgpr2
.LBB4_8425:                             ;   in Loop: Header=BB4_7930 Depth=2
	s_and_not1_saveexec_b32 s10, s28
; %bb.8426:                             ;   in Loop: Header=BB4_7930 Depth=2
	v_or_b32_e32 v58, 0x7e, v2
; %bb.8427:                             ;   in Loop: Header=BB4_7930 Depth=2
	s_or_b32 exec_lo, exec_lo, s10
                                        ; implicit-def: $vgpr2
.LBB4_8428:                             ;   in Loop: Header=BB4_7930 Depth=2
	s_and_not1_saveexec_b32 s10, s27
; %bb.8429:                             ;   in Loop: Header=BB4_7930 Depth=2
	v_or_b32_e32 v58, 0x7f, v2
; %bb.8430:                             ;   in Loop: Header=BB4_7930 Depth=2
	s_or_b32 exec_lo, exec_lo, s10
	v_lshrrev_b16 v3, 8, v14
	v_mov_b32_e32 v2, 0
	s_mov_b32 s10, exec_lo
	s_delay_alu instid0(VALU_DEP_2)
	v_cmpx_ne_u16_e32 0, v3
	s_cbranch_execz .LBB4_8438
; %bb.8431:                             ;   in Loop: Header=BB4_7930 Depth=2
	v_bfrev_b32_e32 v2, 1
	s_mov_b32 s27, exec_lo
	v_cmpx_ne_u16_e32 0x80, v3
	s_cbranch_execz .LBB4_8437
; %bb.8432:                             ;   in Loop: Header=BB4_7930 Depth=2
	v_and_b32_e32 v86, 0xffff, v3
	v_mov_b32_e32 v2, 0x7f800001
	s_mov_b32 s28, exec_lo
	s_delay_alu instid0(VALU_DEP_2) | instskip(NEXT) | instid1(VALU_DEP_1)
	v_and_b32_e32 v3, 0x7f, v86
	v_cmpx_ne_u32_e32 0x7f, v3
	s_cbranch_execz .LBB4_8436
; %bb.8433:                             ;   in Loop: Header=BB4_7930 Depth=2
	v_dual_mov_b32 v87, v15 :: v_dual_bitop2_b32 v86, 7, v86 bitop3:0x40
	v_lshrrev_b32_e32 v2, 3, v3
	s_mov_b32 s29, exec_lo
	v_cmpx_gt_u32_e32 8, v3
; %bb.8434:                             ;   in Loop: Header=BB4_7930 Depth=2
	s_delay_alu instid0(VALU_DEP_3) | instskip(NEXT) | instid1(VALU_DEP_1)
	v_clz_i32_u32_e32 v2, v86
	v_min_u32_e32 v2, 32, v2
	s_delay_alu instid0(VALU_DEP_1) | instskip(SKIP_1) | instid1(VALU_DEP_2)
	v_subrev_nc_u32_e32 v3, 28, v2
	v_sub_nc_u32_e32 v2, 29, v2
	v_lshlrev_b64_e32 v[86:87], v3, v[86:87]
	s_delay_alu instid0(VALU_DEP_1)
	v_and_b32_e32 v86, 7, v86
; %bb.8435:                             ;   in Loop: Header=BB4_7930 Depth=2
	s_or_b32 exec_lo, exec_lo, s29
	v_lshlrev_b32_e32 v3, 16, v14
	s_delay_alu instid0(VALU_DEP_2) | instskip(SKIP_1) | instid1(VALU_DEP_3)
	v_lshlrev_b32_e32 v14, 20, v86
	v_lshl_add_u32 v2, v2, 23, 0x3c000000
	v_and_b32_e32 v3, 0x80000000, v3
	s_delay_alu instid0(VALU_DEP_1)
	v_or3_b32 v2, v14, v3, v2
.LBB4_8436:                             ;   in Loop: Header=BB4_7930 Depth=2
	s_or_b32 exec_lo, exec_lo, s28
.LBB4_8437:                             ;   in Loop: Header=BB4_7930 Depth=2
	s_delay_alu instid0(SALU_CYCLE_1)
	s_or_b32 exec_lo, exec_lo, s27
.LBB4_8438:                             ;   in Loop: Header=BB4_7930 Depth=2
	s_delay_alu instid0(SALU_CYCLE_1) | instskip(NEXT) | instid1(VALU_DEP_1)
	s_or_b32 exec_lo, exec_lo, s10
	v_mul_f32_e32 v3, s26, v2
                                        ; implicit-def: $vgpr59
	s_mov_b32 s10, exec_lo
	s_delay_alu instid0(VALU_DEP_1) | instskip(SKIP_1) | instid1(VALU_DEP_2)
	v_and_b32_e32 v14, 0x7f800000, v3
	v_lshrrev_b32_e32 v2, 24, v3
	v_cmpx_ne_u64_e32 0x7f800000, v[14:15]
	s_xor_b32 s27, exec_lo, s10
	s_cbranch_execz .LBB4_8452
; %bb.8439:                             ;   in Loop: Header=BB4_7930 Depth=2
	v_and_b32_e32 v14, 0x7fffffff, v3
	v_and_b32_e32 v2, 0x80, v2
                                        ; implicit-def: $vgpr59
	s_mov_b32 s10, exec_lo
	s_delay_alu instid0(VALU_DEP_2)
	v_cmpx_gt_u64_e32 0x43e00001, v[14:15]
	s_xor_b32 s28, exec_lo, s10
	s_cbranch_execz .LBB4_8449
; %bb.8440:                             ;   in Loop: Header=BB4_7930 Depth=2
	v_mov_b32_e32 v59, 0
	s_mov_b32 s29, exec_lo
	v_cmpx_ne_u32_e32 0, v3
	s_cbranch_execz .LBB4_8448
; %bb.8441:                             ;   in Loop: Header=BB4_7930 Depth=2
	v_bfe_u32 v98, v3, 23, 8
	v_and_b32_e32 v3, 0x7fffff, v3
	s_delay_alu instid0(VALU_DEP_2) | instskip(SKIP_1) | instid1(VALU_DEP_3)
	v_sub_nc_u32_e32 v14, 0x79, v98
	v_cmp_gt_u32_e32 vcc_lo, 0x7a, v98
	v_or_b32_e32 v20, 0x800000, v3
	s_delay_alu instid0(VALU_DEP_3) | instskip(SKIP_1) | instid1(VALU_DEP_2)
	v_cndmask_b32_e32 v14, 0, v14, vcc_lo
	v_cmp_eq_u32_e32 vcc_lo, 0, v98
	v_cndmask_b32_e64 v113, v14, 0x78, vcc_lo
	s_delay_alu instid0(VALU_DEP_1) | instskip(NEXT) | instid1(VALU_DEP_1)
	v_dual_add_nc_u32 v14, 20, v113 :: v_dual_add_nc_u32 v21, 19, v113
	v_lshlrev_b64_e64 v[86:87], v14, -1
	v_cndmask_b32_e32 v14, v20, v3, vcc_lo
	s_delay_alu instid0(VALU_DEP_3) | instskip(NEXT) | instid1(VALU_DEP_3)
	v_lshlrev_b64_e64 v[96:97], v21, 1
	v_bfi_b32 v61, v87, 0, 0
	s_delay_alu instid0(VALU_DEP_3) | instskip(SKIP_1) | instid1(VALU_DEP_2)
	v_bfi_b32 v60, v86, 0, v14
	v_lshrrev_b64 v[86:87], v113, v[14:15]
	v_cmp_eq_u64_e64 s10, v[60:61], v[96:97]
	s_delay_alu instid0(VALU_DEP_2)
	v_mov_b64_e32 v[96:97], v[86:87]
	s_and_saveexec_b32 s40, s10
; %bb.8442:                             ;   in Loop: Header=BB4_7930 Depth=2
	v_bfe_u32 v14, v86, 20, 1
	s_delay_alu instid0(VALU_DEP_1) | instskip(NEXT) | instid1(VALU_DEP_1)
	v_add_nc_u64_e32 v[96:97], v[86:87], v[14:15]
	v_add_nc_u64_e32 v[96:97], -1, v[96:97]
; %bb.8443:                             ;   in Loop: Header=BB4_7930 Depth=2
	s_or_b32 exec_lo, exec_lo, s40
	v_add_nc_u32_e32 v3, 0xffffff81, v98
	v_lshrrev_b32_e32 v14, 23, v86
	s_mov_b32 s10, exec_lo
	s_delay_alu instid0(VALU_DEP_2) | instskip(NEXT) | instid1(VALU_DEP_1)
	v_cndmask_b32_e64 v3, v3, 0xffffff82, vcc_lo
	v_add3_u32 v97, v113, v3, v14
	v_and_b32_e32 v3, 0xfffff, v96
	s_delay_alu instid0(VALU_DEP_1) | instskip(NEXT) | instid1(VALU_DEP_1)
	v_dual_add_nc_u32 v96, 6, v97 :: v_dual_add_nc_u32 v14, v3, v86
                                        ; implicit-def: $vgpr86_vgpr87
                                        ; implicit-def: $vgpr3
	v_cmpx_ne_u32_e32 0, v96
	s_xor_b32 s10, exec_lo, s10
; %bb.8444:                             ;   in Loop: Header=BB4_7930 Depth=2
	s_delay_alu instid0(VALU_DEP_2) | instskip(SKIP_2) | instid1(VALU_DEP_2)
	v_cmp_lt_u64_e32 vcc_lo, 0xffffff, v[14:15]
	v_add_nc_u32_e32 v3, 7, v97
	v_cndmask_b32_e64 v20, 0, 1, vcc_lo
	v_cndmask_b32_e32 v3, v96, v3, vcc_lo
	s_delay_alu instid0(VALU_DEP_2)
	v_lshrrev_b64 v[86:87], v20, v[14:15]
; %bb.8445:                             ;   in Loop: Header=BB4_7930 Depth=2
	s_and_not1_saveexec_b32 s10, s10
; %bb.8446:                             ;   in Loop: Header=BB4_7930 Depth=2
	v_mov_b64_e32 v[86:87], v[14:15]
	v_bfe_u32 v3, v14, 23, 1
; %bb.8447:                             ;   in Loop: Header=BB4_7930 Depth=2
	s_or_b32 exec_lo, exec_lo, s10
	s_delay_alu instid0(VALU_DEP_2) | instskip(NEXT) | instid1(VALU_DEP_2)
	v_lshrrev_b64 v[86:87], 20, v[86:87]
	v_cmp_gt_i32_e32 vcc_lo, 16, v3
	v_min_i32_e32 v14, 15, v3
	v_cmp_eq_u32_e64 s10, 0, v3
	s_delay_alu instid0(VALU_DEP_4) | instskip(NEXT) | instid1(VALU_DEP_3)
	v_cndmask_b32_e32 v86, 7, v86, vcc_lo
	v_dual_cndmask_b32 v87, 0, v87 :: v_dual_lshlrev_b32 v14, 3, v14
	s_delay_alu instid0(VALU_DEP_1) | instskip(NEXT) | instid1(VALU_DEP_2)
	v_and_b32_e32 v14, 0xf8, v14
	v_cmp_eq_u64_e32 vcc_lo, 0, v[86:87]
	s_delay_alu instid0(VALU_DEP_2)
	v_and_or_b32 v3, v86, 7, v14
	s_and_b32 s10, s10, vcc_lo
	s_delay_alu instid0(VALU_DEP_1) | instid1(SALU_CYCLE_1)
	v_cndmask_b32_e64 v3, v3, 0, s10
	s_delay_alu instid0(VALU_DEP_1)
	v_or_b32_e32 v59, v3, v2
.LBB4_8448:                             ;   in Loop: Header=BB4_7930 Depth=2
	s_or_b32 exec_lo, exec_lo, s29
                                        ; implicit-def: $vgpr2
.LBB4_8449:                             ;   in Loop: Header=BB4_7930 Depth=2
	s_and_not1_saveexec_b32 s10, s28
; %bb.8450:                             ;   in Loop: Header=BB4_7930 Depth=2
	v_or_b32_e32 v59, 0x7e, v2
; %bb.8451:                             ;   in Loop: Header=BB4_7930 Depth=2
	s_or_b32 exec_lo, exec_lo, s10
                                        ; implicit-def: $vgpr2
.LBB4_8452:                             ;   in Loop: Header=BB4_7930 Depth=2
	s_and_not1_saveexec_b32 s10, s27
; %bb.8453:                             ;   in Loop: Header=BB4_7930 Depth=2
	v_or_b32_e32 v59, 0x7f, v2
; %bb.8454:                             ;   in Loop: Header=BB4_7930 Depth=2
	s_or_b32 exec_lo, exec_lo, s10
	v_dual_mov_b32 v3, 0 :: v_dual_lshrrev_b32 v2, 16, v11
	s_mov_b32 s10, exec_lo
	s_delay_alu instid0(VALU_DEP_1) | instskip(NEXT) | instid1(VALU_DEP_1)
	v_and_b32_e32 v14, 0xff, v2
	v_cmpx_ne_u16_e32 0, v14
	s_cbranch_execz .LBB4_8462
; %bb.8455:                             ;   in Loop: Header=BB4_7930 Depth=2
	v_bfrev_b32_e32 v3, 1
	s_mov_b32 s27, exec_lo
	v_cmpx_ne_u16_e32 0x80, v14
	s_cbranch_execz .LBB4_8461
; %bb.8456:                             ;   in Loop: Header=BB4_7930 Depth=2
	v_bfe_u32 v86, v11, 16, 7
	v_mov_b32_e32 v3, 0x7f800001
	s_mov_b32 s28, exec_lo
	s_delay_alu instid0(VALU_DEP_2)
	v_cmpx_ne_u32_e32 0x7f, v86
	s_cbranch_execz .LBB4_8460
; %bb.8457:                             ;   in Loop: Header=BB4_7930 Depth=2
	v_and_b32_e32 v14, 7, v2
	v_lshrrev_b32_e32 v3, 3, v86
	s_mov_b32 s29, exec_lo
	v_cmpx_gt_u32_e32 8, v86
; %bb.8458:                             ;   in Loop: Header=BB4_7930 Depth=2
	s_delay_alu instid0(VALU_DEP_3) | instskip(NEXT) | instid1(VALU_DEP_1)
	v_clz_i32_u32_e32 v3, v14
	v_min_u32_e32 v3, 32, v3
	s_delay_alu instid0(VALU_DEP_1) | instskip(NEXT) | instid1(VALU_DEP_1)
	v_subrev_nc_u32_e32 v20, 28, v3
	v_lshlrev_b64_e32 v[86:87], v20, v[14:15]
	s_delay_alu instid0(VALU_DEP_1)
	v_dual_sub_nc_u32 v3, 29, v3 :: v_dual_bitop2_b32 v14, 7, v86 bitop3:0x40
; %bb.8459:                             ;   in Loop: Header=BB4_7930 Depth=2
	s_or_b32 exec_lo, exec_lo, s29
	v_lshlrev_b32_e32 v2, 24, v2
	s_delay_alu instid0(VALU_DEP_2) | instskip(NEXT) | instid1(VALU_DEP_3)
	v_lshlrev_b32_e32 v14, 20, v14
	v_lshl_add_u32 v3, v3, 23, 0x3c000000
	s_delay_alu instid0(VALU_DEP_3) | instskip(NEXT) | instid1(VALU_DEP_1)
	v_and_b32_e32 v2, 0x80000000, v2
	v_or3_b32 v3, v14, v2, v3
.LBB4_8460:                             ;   in Loop: Header=BB4_7930 Depth=2
	s_or_b32 exec_lo, exec_lo, s28
.LBB4_8461:                             ;   in Loop: Header=BB4_7930 Depth=2
	s_delay_alu instid0(SALU_CYCLE_1)
	s_or_b32 exec_lo, exec_lo, s27
.LBB4_8462:                             ;   in Loop: Header=BB4_7930 Depth=2
	s_delay_alu instid0(SALU_CYCLE_1) | instskip(NEXT) | instid1(VALU_DEP_1)
	s_or_b32 exec_lo, exec_lo, s10
	v_mul_f32_e32 v3, s26, v3
                                        ; implicit-def: $vgpr60
	s_mov_b32 s10, exec_lo
	s_delay_alu instid0(VALU_DEP_1) | instskip(SKIP_1) | instid1(VALU_DEP_2)
	v_and_b32_e32 v14, 0x7f800000, v3
	v_lshrrev_b32_e32 v2, 24, v3
	v_cmpx_ne_u64_e32 0x7f800000, v[14:15]
	s_xor_b32 s27, exec_lo, s10
	s_cbranch_execz .LBB4_8476
; %bb.8463:                             ;   in Loop: Header=BB4_7930 Depth=2
	v_and_b32_e32 v14, 0x7fffffff, v3
	v_and_b32_e32 v2, 0x80, v2
                                        ; implicit-def: $vgpr60
	s_mov_b32 s10, exec_lo
	s_delay_alu instid0(VALU_DEP_2)
	v_cmpx_gt_u64_e32 0x43e00001, v[14:15]
	s_xor_b32 s28, exec_lo, s10
	s_cbranch_execz .LBB4_8473
; %bb.8464:                             ;   in Loop: Header=BB4_7930 Depth=2
	v_mov_b32_e32 v60, 0
	s_mov_b32 s29, exec_lo
	v_cmpx_ne_u32_e32 0, v3
	s_cbranch_execz .LBB4_8472
; %bb.8465:                             ;   in Loop: Header=BB4_7930 Depth=2
	v_bfe_u32 v98, v3, 23, 8
	v_and_b32_e32 v3, 0x7fffff, v3
	s_delay_alu instid0(VALU_DEP_2) | instskip(SKIP_1) | instid1(VALU_DEP_3)
	v_sub_nc_u32_e32 v14, 0x79, v98
	v_cmp_gt_u32_e32 vcc_lo, 0x7a, v98
	v_or_b32_e32 v20, 0x800000, v3
	s_delay_alu instid0(VALU_DEP_3) | instskip(SKIP_1) | instid1(VALU_DEP_2)
	v_cndmask_b32_e32 v14, 0, v14, vcc_lo
	v_cmp_eq_u32_e32 vcc_lo, 0, v98
	v_cndmask_b32_e64 v113, v14, 0x78, vcc_lo
	s_delay_alu instid0(VALU_DEP_1) | instskip(NEXT) | instid1(VALU_DEP_1)
	v_dual_add_nc_u32 v14, 20, v113 :: v_dual_add_nc_u32 v21, 19, v113
	v_lshlrev_b64_e64 v[86:87], v14, -1
	v_cndmask_b32_e32 v14, v20, v3, vcc_lo
	s_delay_alu instid0(VALU_DEP_3) | instskip(NEXT) | instid1(VALU_DEP_3)
	v_lshlrev_b64_e64 v[96:97], v21, 1
	v_bfi_b32 v61, v87, 0, 0
	s_delay_alu instid0(VALU_DEP_3) | instskip(SKIP_1) | instid1(VALU_DEP_2)
	v_bfi_b32 v60, v86, 0, v14
	v_lshrrev_b64 v[86:87], v113, v[14:15]
	v_cmp_eq_u64_e64 s10, v[60:61], v[96:97]
	s_delay_alu instid0(VALU_DEP_2)
	v_mov_b64_e32 v[96:97], v[86:87]
	s_and_saveexec_b32 s40, s10
; %bb.8466:                             ;   in Loop: Header=BB4_7930 Depth=2
	v_bfe_u32 v14, v86, 20, 1
	s_delay_alu instid0(VALU_DEP_1) | instskip(NEXT) | instid1(VALU_DEP_1)
	v_add_nc_u64_e32 v[96:97], v[86:87], v[14:15]
	v_add_nc_u64_e32 v[96:97], -1, v[96:97]
; %bb.8467:                             ;   in Loop: Header=BB4_7930 Depth=2
	s_or_b32 exec_lo, exec_lo, s40
	v_add_nc_u32_e32 v3, 0xffffff81, v98
	v_lshrrev_b32_e32 v14, 23, v86
	s_mov_b32 s10, exec_lo
	s_delay_alu instid0(VALU_DEP_2) | instskip(NEXT) | instid1(VALU_DEP_1)
	v_cndmask_b32_e64 v3, v3, 0xffffff82, vcc_lo
	v_add3_u32 v97, v113, v3, v14
	v_and_b32_e32 v3, 0xfffff, v96
	s_delay_alu instid0(VALU_DEP_1) | instskip(NEXT) | instid1(VALU_DEP_1)
	v_dual_add_nc_u32 v96, 6, v97 :: v_dual_add_nc_u32 v14, v3, v86
                                        ; implicit-def: $vgpr86_vgpr87
                                        ; implicit-def: $vgpr3
	v_cmpx_ne_u32_e32 0, v96
	s_xor_b32 s10, exec_lo, s10
; %bb.8468:                             ;   in Loop: Header=BB4_7930 Depth=2
	s_delay_alu instid0(VALU_DEP_2) | instskip(SKIP_2) | instid1(VALU_DEP_2)
	v_cmp_lt_u64_e32 vcc_lo, 0xffffff, v[14:15]
	v_add_nc_u32_e32 v3, 7, v97
	v_cndmask_b32_e64 v20, 0, 1, vcc_lo
	v_cndmask_b32_e32 v3, v96, v3, vcc_lo
	s_delay_alu instid0(VALU_DEP_2)
	v_lshrrev_b64 v[86:87], v20, v[14:15]
; %bb.8469:                             ;   in Loop: Header=BB4_7930 Depth=2
	s_and_not1_saveexec_b32 s10, s10
; %bb.8470:                             ;   in Loop: Header=BB4_7930 Depth=2
	v_mov_b64_e32 v[86:87], v[14:15]
	v_bfe_u32 v3, v14, 23, 1
; %bb.8471:                             ;   in Loop: Header=BB4_7930 Depth=2
	s_or_b32 exec_lo, exec_lo, s10
	s_delay_alu instid0(VALU_DEP_2) | instskip(NEXT) | instid1(VALU_DEP_2)
	v_lshrrev_b64 v[86:87], 20, v[86:87]
	v_cmp_gt_i32_e32 vcc_lo, 16, v3
	v_min_i32_e32 v14, 15, v3
	v_cmp_eq_u32_e64 s10, 0, v3
	s_delay_alu instid0(VALU_DEP_4) | instskip(NEXT) | instid1(VALU_DEP_3)
	v_cndmask_b32_e32 v86, 7, v86, vcc_lo
	v_dual_cndmask_b32 v87, 0, v87 :: v_dual_lshlrev_b32 v14, 3, v14
	s_delay_alu instid0(VALU_DEP_1) | instskip(NEXT) | instid1(VALU_DEP_2)
	v_and_b32_e32 v14, 0xf8, v14
	v_cmp_eq_u64_e32 vcc_lo, 0, v[86:87]
	s_delay_alu instid0(VALU_DEP_2)
	v_and_or_b32 v3, v86, 7, v14
	s_and_b32 s10, s10, vcc_lo
	s_delay_alu instid0(VALU_DEP_1) | instid1(SALU_CYCLE_1)
	v_cndmask_b32_e64 v3, v3, 0, s10
	s_delay_alu instid0(VALU_DEP_1)
	v_or_b32_e32 v60, v3, v2
.LBB4_8472:                             ;   in Loop: Header=BB4_7930 Depth=2
	s_or_b32 exec_lo, exec_lo, s29
                                        ; implicit-def: $vgpr2
.LBB4_8473:                             ;   in Loop: Header=BB4_7930 Depth=2
	s_and_not1_saveexec_b32 s10, s28
; %bb.8474:                             ;   in Loop: Header=BB4_7930 Depth=2
	v_or_b32_e32 v60, 0x7e, v2
; %bb.8475:                             ;   in Loop: Header=BB4_7930 Depth=2
	s_or_b32 exec_lo, exec_lo, s10
                                        ; implicit-def: $vgpr2
.LBB4_8476:                             ;   in Loop: Header=BB4_7930 Depth=2
	s_and_not1_saveexec_b32 s10, s27
; %bb.8477:                             ;   in Loop: Header=BB4_7930 Depth=2
	v_or_b32_e32 v60, 0x7f, v2
; %bb.8478:                             ;   in Loop: Header=BB4_7930 Depth=2
	s_or_b32 exec_lo, exec_lo, s10
	v_mov_b32_e32 v3, 0
	s_mov_b32 s10, exec_lo
	v_cmpx_lt_u64_e64 s[12:13], v[10:11]
	s_cbranch_execz .LBB4_8486
; %bb.8479:                             ;   in Loop: Header=BB4_7930 Depth=2
	v_lshrrev_b32_e32 v2, 24, v11
	v_bfrev_b32_e32 v3, 1
	s_mov_b32 s27, exec_lo
	s_delay_alu instid0(VALU_DEP_2)
	v_cmpx_ne_u32_e32 0x80, v2
	s_cbranch_execz .LBB4_8485
; %bb.8480:                             ;   in Loop: Header=BB4_7930 Depth=2
	v_bfe_u32 v10, v11, 24, 7
	v_mov_b32_e32 v3, 0x7f800001
	s_mov_b32 s28, exec_lo
	s_delay_alu instid0(VALU_DEP_2)
	v_cmpx_ne_u32_e32 0x7f, v10
	s_cbranch_execz .LBB4_8484
; %bb.8481:                             ;   in Loop: Header=BB4_7930 Depth=2
	v_and_b32_e32 v14, 7, v2
	v_lshrrev_b32_e32 v3, 3, v10
	s_mov_b32 s29, exec_lo
	v_cmpx_gt_u32_e32 8, v10
; %bb.8482:                             ;   in Loop: Header=BB4_7930 Depth=2
	s_delay_alu instid0(VALU_DEP_3) | instskip(NEXT) | instid1(VALU_DEP_1)
	v_clz_i32_u32_e32 v3, v14
	v_min_u32_e32 v3, 32, v3
	s_delay_alu instid0(VALU_DEP_1) | instskip(NEXT) | instid1(VALU_DEP_1)
	v_subrev_nc_u32_e32 v10, 28, v3
	v_lshlrev_b64_e32 v[10:11], v10, v[14:15]
	s_delay_alu instid0(VALU_DEP_1)
	v_dual_sub_nc_u32 v3, 29, v3 :: v_dual_bitop2_b32 v14, 7, v10 bitop3:0x40
; %bb.8483:                             ;   in Loop: Header=BB4_7930 Depth=2
	s_or_b32 exec_lo, exec_lo, s29
	v_lshlrev_b32_e32 v2, 24, v2
	s_delay_alu instid0(VALU_DEP_2) | instskip(NEXT) | instid1(VALU_DEP_3)
	v_lshlrev_b32_e32 v10, 20, v14
	v_lshl_add_u32 v3, v3, 23, 0x3c000000
	s_delay_alu instid0(VALU_DEP_3) | instskip(NEXT) | instid1(VALU_DEP_1)
	v_and_b32_e32 v2, 0x80000000, v2
	v_or3_b32 v3, v10, v2, v3
.LBB4_8484:                             ;   in Loop: Header=BB4_7930 Depth=2
	s_or_b32 exec_lo, exec_lo, s28
.LBB4_8485:                             ;   in Loop: Header=BB4_7930 Depth=2
	s_delay_alu instid0(SALU_CYCLE_1)
	s_or_b32 exec_lo, exec_lo, s27
.LBB4_8486:                             ;   in Loop: Header=BB4_7930 Depth=2
	s_delay_alu instid0(SALU_CYCLE_1) | instskip(NEXT) | instid1(VALU_DEP_1)
	s_or_b32 exec_lo, exec_lo, s10
	v_mul_f32_e32 v3, s26, v3
                                        ; implicit-def: $vgpr61
	s_mov_b32 s10, exec_lo
	s_delay_alu instid0(VALU_DEP_1) | instskip(SKIP_1) | instid1(VALU_DEP_2)
	v_and_b32_e32 v14, 0x7f800000, v3
	v_lshrrev_b32_e32 v2, 24, v3
	v_cmpx_ne_u64_e32 0x7f800000, v[14:15]
	s_xor_b32 s27, exec_lo, s10
	s_cbranch_execz .LBB4_8500
; %bb.8487:                             ;   in Loop: Header=BB4_7930 Depth=2
	v_and_b32_e32 v14, 0x7fffffff, v3
	v_and_b32_e32 v2, 0x80, v2
                                        ; implicit-def: $vgpr61
	s_mov_b32 s10, exec_lo
	s_delay_alu instid0(VALU_DEP_2)
	v_cmpx_gt_u64_e32 0x43e00001, v[14:15]
	s_xor_b32 s28, exec_lo, s10
	s_cbranch_execz .LBB4_8497
; %bb.8488:                             ;   in Loop: Header=BB4_7930 Depth=2
	v_mov_b32_e32 v61, 0
	s_mov_b32 s29, exec_lo
	v_cmpx_ne_u32_e32 0, v3
	s_cbranch_execz .LBB4_8496
; %bb.8489:                             ;   in Loop: Header=BB4_7930 Depth=2
	v_bfe_u32 v96, v3, 23, 8
	v_and_b32_e32 v3, 0x7fffff, v3
	s_delay_alu instid0(VALU_DEP_2) | instskip(SKIP_1) | instid1(VALU_DEP_3)
	v_sub_nc_u32_e32 v10, 0x79, v96
	v_cmp_gt_u32_e32 vcc_lo, 0x7a, v96
	v_or_b32_e32 v14, 0x800000, v3
	s_delay_alu instid0(VALU_DEP_3) | instskip(SKIP_1) | instid1(VALU_DEP_2)
	v_cndmask_b32_e32 v10, 0, v10, vcc_lo
	v_cmp_eq_u32_e32 vcc_lo, 0, v96
	v_cndmask_b32_e64 v97, v10, 0x78, vcc_lo
	s_delay_alu instid0(VALU_DEP_1) | instskip(SKIP_1) | instid1(VALU_DEP_2)
	v_dual_cndmask_b32 v14, v14, v3, vcc_lo :: v_dual_add_nc_u32 v10, 20, v97
	v_add_nc_u32_e32 v20, 19, v97
	v_lshlrev_b64_e64 v[10:11], v10, -1
	s_delay_alu instid0(VALU_DEP_2) | instskip(NEXT) | instid1(VALU_DEP_2)
	v_lshlrev_b64_e64 v[86:87], v20, 1
	v_bfi_b32 v63, v11, 0, 0
	s_delay_alu instid0(VALU_DEP_3) | instskip(SKIP_1) | instid1(VALU_DEP_2)
	v_bfi_b32 v62, v10, 0, v14
	v_lshrrev_b64 v[10:11], v97, v[14:15]
	v_cmp_eq_u64_e64 s10, v[62:63], v[86:87]
	s_delay_alu instid0(VALU_DEP_2)
	v_mov_b64_e32 v[86:87], v[10:11]
	s_and_saveexec_b32 s40, s10
; %bb.8490:                             ;   in Loop: Header=BB4_7930 Depth=2
	v_bfe_u32 v14, v10, 20, 1
	s_delay_alu instid0(VALU_DEP_1) | instskip(NEXT) | instid1(VALU_DEP_1)
	v_add_nc_u64_e32 v[86:87], v[10:11], v[14:15]
	v_add_nc_u64_e32 v[86:87], -1, v[86:87]
; %bb.8491:                             ;   in Loop: Header=BB4_7930 Depth=2
	s_or_b32 exec_lo, exec_lo, s40
	v_add_nc_u32_e32 v3, 0xffffff81, v96
	v_lshrrev_b32_e32 v11, 23, v10
	s_mov_b32 s10, exec_lo
	s_delay_alu instid0(VALU_DEP_2) | instskip(NEXT) | instid1(VALU_DEP_1)
	v_cndmask_b32_e64 v3, v3, 0xffffff82, vcc_lo
	v_add3_u32 v87, v97, v3, v11
	v_and_b32_e32 v3, 0xfffff, v86
	s_delay_alu instid0(VALU_DEP_1) | instskip(NEXT) | instid1(VALU_DEP_1)
	v_dual_add_nc_u32 v86, 6, v87 :: v_dual_add_nc_u32 v14, v3, v10
                                        ; implicit-def: $vgpr10_vgpr11
                                        ; implicit-def: $vgpr3
	v_cmpx_ne_u32_e32 0, v86
	s_xor_b32 s10, exec_lo, s10
; %bb.8492:                             ;   in Loop: Header=BB4_7930 Depth=2
	s_delay_alu instid0(VALU_DEP_2) | instskip(SKIP_2) | instid1(VALU_DEP_2)
	v_cmp_lt_u64_e32 vcc_lo, 0xffffff, v[14:15]
	v_add_nc_u32_e32 v3, 7, v87
	v_cndmask_b32_e64 v10, 0, 1, vcc_lo
	v_cndmask_b32_e32 v3, v86, v3, vcc_lo
	s_delay_alu instid0(VALU_DEP_2)
	v_lshrrev_b64 v[10:11], v10, v[14:15]
; %bb.8493:                             ;   in Loop: Header=BB4_7930 Depth=2
	s_and_not1_saveexec_b32 s10, s10
; %bb.8494:                             ;   in Loop: Header=BB4_7930 Depth=2
	v_mov_b64_e32 v[10:11], v[14:15]
	v_bfe_u32 v3, v14, 23, 1
; %bb.8495:                             ;   in Loop: Header=BB4_7930 Depth=2
	s_or_b32 exec_lo, exec_lo, s10
	s_delay_alu instid0(VALU_DEP_2) | instskip(NEXT) | instid1(VALU_DEP_2)
	v_lshrrev_b64 v[10:11], 20, v[10:11]
	v_cmp_gt_i32_e32 vcc_lo, 16, v3
	v_min_i32_e32 v14, 15, v3
	v_cmp_eq_u32_e64 s10, 0, v3
	s_delay_alu instid0(VALU_DEP_4) | instskip(NEXT) | instid1(VALU_DEP_3)
	v_cndmask_b32_e32 v10, 7, v10, vcc_lo
	v_dual_cndmask_b32 v11, 0, v11 :: v_dual_lshlrev_b32 v14, 3, v14
	s_delay_alu instid0(VALU_DEP_1) | instskip(NEXT) | instid1(VALU_DEP_2)
	v_and_b32_e32 v14, 0xf8, v14
	v_cmp_eq_u64_e32 vcc_lo, 0, v[10:11]
	s_delay_alu instid0(VALU_DEP_2)
	v_and_or_b32 v3, v10, 7, v14
	s_and_b32 s10, s10, vcc_lo
	s_delay_alu instid0(VALU_DEP_1) | instid1(SALU_CYCLE_1)
	v_cndmask_b32_e64 v3, v3, 0, s10
	s_delay_alu instid0(VALU_DEP_1)
	v_or_b32_e32 v61, v3, v2
.LBB4_8496:                             ;   in Loop: Header=BB4_7930 Depth=2
	s_or_b32 exec_lo, exec_lo, s29
                                        ; implicit-def: $vgpr2
.LBB4_8497:                             ;   in Loop: Header=BB4_7930 Depth=2
	s_and_not1_saveexec_b32 s10, s28
; %bb.8498:                             ;   in Loop: Header=BB4_7930 Depth=2
	v_or_b32_e32 v61, 0x7e, v2
; %bb.8499:                             ;   in Loop: Header=BB4_7930 Depth=2
	s_or_b32 exec_lo, exec_lo, s10
                                        ; implicit-def: $vgpr2
.LBB4_8500:                             ;   in Loop: Header=BB4_7930 Depth=2
	s_and_not1_saveexec_b32 s10, s27
; %bb.8501:                             ;   in Loop: Header=BB4_7930 Depth=2
	v_or_b32_e32 v61, 0x7f, v2
; %bb.8502:                             ;   in Loop: Header=BB4_7930 Depth=2
	s_or_b32 exec_lo, exec_lo, s10
	v_and_b32_e32 v3, 0xff, v12
	v_mov_b32_e32 v2, 0
	s_mov_b32 s10, exec_lo
	s_delay_alu instid0(VALU_DEP_2)
	v_cmpx_ne_u16_e32 0, v3
	s_cbranch_execz .LBB4_8508
; %bb.8503:                             ;   in Loop: Header=BB4_7930 Depth=2
	v_bfrev_b32_e32 v2, 1
	s_mov_b32 s27, exec_lo
	v_cmpx_ne_u16_e32 0x80, v3
	s_cbranch_execz .LBB4_8507
; %bb.8504:                             ;   in Loop: Header=BB4_7930 Depth=2
	v_and_b32_e32 v3, 0x7f, v12
	v_mov_b32_e32 v2, 0x7f800001
	s_mov_b32 s28, exec_lo
	s_delay_alu instid0(VALU_DEP_2)
	v_cmpx_ne_u32_e32 0x7f, v3
	s_cbranch_execz .LBB4_8506
; %bb.8505:                             ;   in Loop: Header=BB4_7930 Depth=2
	v_dual_lshrrev_b32 v10, 3, v3 :: v_dual_bitop2_b32 v2, 7, v12 bitop3:0x40
	v_cmp_gt_u32_e32 vcc_lo, 8, v3
	s_delay_alu instid0(VALU_DEP_2) | instskip(NEXT) | instid1(VALU_DEP_1)
	v_clz_i32_u32_e32 v2, v2
	v_min_u32_e32 v2, 32, v2
	s_delay_alu instid0(VALU_DEP_1) | instskip(SKIP_1) | instid1(VALU_DEP_1)
	v_subrev_nc_u32_e32 v11, 28, v2
	v_sub_nc_u32_e32 v2, 29, v2
	v_dual_cndmask_b32 v10, v10, v2, vcc_lo :: v_dual_cndmask_b32 v2, 0, v11, vcc_lo
	s_delay_alu instid0(VALU_DEP_1) | instskip(NEXT) | instid1(VALU_DEP_2)
	v_lshl_add_u32 v10, v10, 23, 0x3c000000
	v_lshlrev_b64_e32 v[2:3], v2, v[12:13]
	v_lshlrev_b32_e32 v3, 24, v12
	s_delay_alu instid0(VALU_DEP_1) | instskip(NEXT) | instid1(VALU_DEP_3)
	v_and_b32_e32 v3, 0x80000000, v3
	v_lshlrev_b32_e32 v2, 20, v2
	s_delay_alu instid0(VALU_DEP_1) | instskip(NEXT) | instid1(VALU_DEP_1)
	v_and_b32_e32 v2, 0x700000, v2
	v_or3_b32 v2, v2, v3, v10
.LBB4_8506:                             ;   in Loop: Header=BB4_7930 Depth=2
	s_or_b32 exec_lo, exec_lo, s28
.LBB4_8507:                             ;   in Loop: Header=BB4_7930 Depth=2
	s_delay_alu instid0(SALU_CYCLE_1)
	s_or_b32 exec_lo, exec_lo, s27
.LBB4_8508:                             ;   in Loop: Header=BB4_7930 Depth=2
	s_delay_alu instid0(SALU_CYCLE_1) | instskip(NEXT) | instid1(VALU_DEP_1)
	s_or_b32 exec_lo, exec_lo, s10
	v_mul_f32_e32 v3, s26, v2
                                        ; implicit-def: $vgpr62
	s_mov_b32 s10, exec_lo
	s_delay_alu instid0(VALU_DEP_1) | instskip(SKIP_1) | instid1(VALU_DEP_2)
	v_and_b32_e32 v14, 0x7f800000, v3
	v_lshrrev_b32_e32 v2, 24, v3
	v_cmpx_ne_u64_e32 0x7f800000, v[14:15]
	s_xor_b32 s27, exec_lo, s10
	s_cbranch_execz .LBB4_8522
; %bb.8509:                             ;   in Loop: Header=BB4_7930 Depth=2
	v_and_b32_e32 v14, 0x7fffffff, v3
	v_and_b32_e32 v2, 0x80, v2
                                        ; implicit-def: $vgpr62
	s_mov_b32 s10, exec_lo
	s_delay_alu instid0(VALU_DEP_2)
	v_cmpx_gt_u64_e32 0x43e00001, v[14:15]
	s_xor_b32 s28, exec_lo, s10
	s_cbranch_execz .LBB4_8519
; %bb.8510:                             ;   in Loop: Header=BB4_7930 Depth=2
	v_mov_b32_e32 v62, 0
	s_mov_b32 s29, exec_lo
	v_cmpx_ne_u32_e32 0, v3
	s_cbranch_execz .LBB4_8518
; %bb.8511:                             ;   in Loop: Header=BB4_7930 Depth=2
	v_bfe_u32 v96, v3, 23, 8
	v_and_b32_e32 v3, 0x7fffff, v3
	s_delay_alu instid0(VALU_DEP_2) | instskip(SKIP_1) | instid1(VALU_DEP_3)
	v_sub_nc_u32_e32 v10, 0x79, v96
	v_cmp_gt_u32_e32 vcc_lo, 0x7a, v96
	v_or_b32_e32 v14, 0x800000, v3
	s_delay_alu instid0(VALU_DEP_3) | instskip(SKIP_1) | instid1(VALU_DEP_2)
	v_cndmask_b32_e32 v10, 0, v10, vcc_lo
	v_cmp_eq_u32_e32 vcc_lo, 0, v96
	v_cndmask_b32_e64 v97, v10, 0x78, vcc_lo
	s_delay_alu instid0(VALU_DEP_1) | instskip(SKIP_1) | instid1(VALU_DEP_2)
	v_dual_cndmask_b32 v14, v14, v3, vcc_lo :: v_dual_add_nc_u32 v10, 20, v97
	v_add_nc_u32_e32 v20, 19, v97
	v_lshlrev_b64_e64 v[10:11], v10, -1
	s_delay_alu instid0(VALU_DEP_2) | instskip(NEXT) | instid1(VALU_DEP_2)
	v_lshlrev_b64_e64 v[86:87], v20, 1
	v_bfi_b32 v63, v11, 0, 0
	s_delay_alu instid0(VALU_DEP_3) | instskip(SKIP_1) | instid1(VALU_DEP_2)
	v_bfi_b32 v62, v10, 0, v14
	v_lshrrev_b64 v[10:11], v97, v[14:15]
	v_cmp_eq_u64_e64 s10, v[62:63], v[86:87]
	s_delay_alu instid0(VALU_DEP_2)
	v_mov_b64_e32 v[86:87], v[10:11]
	s_and_saveexec_b32 s40, s10
; %bb.8512:                             ;   in Loop: Header=BB4_7930 Depth=2
	v_bfe_u32 v14, v10, 20, 1
	s_delay_alu instid0(VALU_DEP_1) | instskip(NEXT) | instid1(VALU_DEP_1)
	v_add_nc_u64_e32 v[86:87], v[10:11], v[14:15]
	v_add_nc_u64_e32 v[86:87], -1, v[86:87]
; %bb.8513:                             ;   in Loop: Header=BB4_7930 Depth=2
	s_or_b32 exec_lo, exec_lo, s40
	v_add_nc_u32_e32 v3, 0xffffff81, v96
	v_lshrrev_b32_e32 v11, 23, v10
	s_mov_b32 s10, exec_lo
	s_delay_alu instid0(VALU_DEP_2) | instskip(NEXT) | instid1(VALU_DEP_1)
	v_cndmask_b32_e64 v3, v3, 0xffffff82, vcc_lo
	v_add3_u32 v87, v97, v3, v11
	v_and_b32_e32 v3, 0xfffff, v86
	s_delay_alu instid0(VALU_DEP_1) | instskip(NEXT) | instid1(VALU_DEP_1)
	v_dual_add_nc_u32 v86, 6, v87 :: v_dual_add_nc_u32 v14, v3, v10
                                        ; implicit-def: $vgpr10_vgpr11
                                        ; implicit-def: $vgpr3
	v_cmpx_ne_u32_e32 0, v86
	s_xor_b32 s10, exec_lo, s10
; %bb.8514:                             ;   in Loop: Header=BB4_7930 Depth=2
	s_delay_alu instid0(VALU_DEP_2) | instskip(SKIP_2) | instid1(VALU_DEP_2)
	v_cmp_lt_u64_e32 vcc_lo, 0xffffff, v[14:15]
	v_add_nc_u32_e32 v3, 7, v87
	v_cndmask_b32_e64 v10, 0, 1, vcc_lo
	v_cndmask_b32_e32 v3, v86, v3, vcc_lo
	s_delay_alu instid0(VALU_DEP_2)
	v_lshrrev_b64 v[10:11], v10, v[14:15]
; %bb.8515:                             ;   in Loop: Header=BB4_7930 Depth=2
	s_and_not1_saveexec_b32 s10, s10
; %bb.8516:                             ;   in Loop: Header=BB4_7930 Depth=2
	v_mov_b64_e32 v[10:11], v[14:15]
	v_bfe_u32 v3, v14, 23, 1
; %bb.8517:                             ;   in Loop: Header=BB4_7930 Depth=2
	s_or_b32 exec_lo, exec_lo, s10
	s_delay_alu instid0(VALU_DEP_2) | instskip(NEXT) | instid1(VALU_DEP_2)
	v_lshrrev_b64 v[10:11], 20, v[10:11]
	v_cmp_gt_i32_e32 vcc_lo, 16, v3
	v_min_i32_e32 v14, 15, v3
	v_cmp_eq_u32_e64 s10, 0, v3
	s_delay_alu instid0(VALU_DEP_4) | instskip(NEXT) | instid1(VALU_DEP_3)
	v_cndmask_b32_e32 v10, 7, v10, vcc_lo
	v_dual_cndmask_b32 v11, 0, v11 :: v_dual_lshlrev_b32 v14, 3, v14
	s_delay_alu instid0(VALU_DEP_1) | instskip(NEXT) | instid1(VALU_DEP_2)
	v_and_b32_e32 v14, 0xf8, v14
	v_cmp_eq_u64_e32 vcc_lo, 0, v[10:11]
	s_delay_alu instid0(VALU_DEP_2)
	v_and_or_b32 v3, v10, 7, v14
	s_and_b32 s10, s10, vcc_lo
	s_delay_alu instid0(VALU_DEP_1) | instid1(SALU_CYCLE_1)
	v_cndmask_b32_e64 v3, v3, 0, s10
	s_delay_alu instid0(VALU_DEP_1)
	v_or_b32_e32 v62, v3, v2
.LBB4_8518:                             ;   in Loop: Header=BB4_7930 Depth=2
	s_or_b32 exec_lo, exec_lo, s29
                                        ; implicit-def: $vgpr2
.LBB4_8519:                             ;   in Loop: Header=BB4_7930 Depth=2
	s_and_not1_saveexec_b32 s10, s28
; %bb.8520:                             ;   in Loop: Header=BB4_7930 Depth=2
	v_or_b32_e32 v62, 0x7e, v2
; %bb.8521:                             ;   in Loop: Header=BB4_7930 Depth=2
	s_or_b32 exec_lo, exec_lo, s10
                                        ; implicit-def: $vgpr2
.LBB4_8522:                             ;   in Loop: Header=BB4_7930 Depth=2
	s_and_not1_saveexec_b32 s10, s27
; %bb.8523:                             ;   in Loop: Header=BB4_7930 Depth=2
	v_or_b32_e32 v62, 0x7f, v2
; %bb.8524:                             ;   in Loop: Header=BB4_7930 Depth=2
	s_or_b32 exec_lo, exec_lo, s10
	v_lshrrev_b16 v3, 8, v12
	v_mov_b32_e32 v2, 0
	s_mov_b32 s10, exec_lo
	s_delay_alu instid0(VALU_DEP_2)
	v_cmpx_ne_u16_e32 0, v3
	s_cbranch_execz .LBB4_8532
; %bb.8525:                             ;   in Loop: Header=BB4_7930 Depth=2
	v_bfrev_b32_e32 v2, 1
	s_mov_b32 s27, exec_lo
	v_cmpx_ne_u16_e32 0x80, v3
	s_cbranch_execz .LBB4_8531
; %bb.8526:                             ;   in Loop: Header=BB4_7930 Depth=2
	v_and_b32_e32 v10, 0xffff, v3
	v_mov_b32_e32 v2, 0x7f800001
	s_mov_b32 s28, exec_lo
	s_delay_alu instid0(VALU_DEP_2) | instskip(NEXT) | instid1(VALU_DEP_1)
	v_and_b32_e32 v3, 0x7f, v10
	v_cmpx_ne_u32_e32 0x7f, v3
	s_cbranch_execz .LBB4_8530
; %bb.8527:                             ;   in Loop: Header=BB4_7930 Depth=2
	v_dual_lshrrev_b32 v2, 3, v3 :: v_dual_bitop2_b32 v14, 7, v10 bitop3:0x40
	s_mov_b32 s29, exec_lo
	v_cmpx_gt_u32_e32 8, v3
; %bb.8528:                             ;   in Loop: Header=BB4_7930 Depth=2
	s_delay_alu instid0(VALU_DEP_2) | instskip(NEXT) | instid1(VALU_DEP_1)
	v_clz_i32_u32_e32 v2, v14
	v_min_u32_e32 v2, 32, v2
	s_delay_alu instid0(VALU_DEP_1) | instskip(SKIP_1) | instid1(VALU_DEP_2)
	v_subrev_nc_u32_e32 v3, 28, v2
	v_sub_nc_u32_e32 v2, 29, v2
	v_lshlrev_b64_e32 v[10:11], v3, v[14:15]
	s_delay_alu instid0(VALU_DEP_1)
	v_and_b32_e32 v14, 7, v10
; %bb.8529:                             ;   in Loop: Header=BB4_7930 Depth=2
	s_or_b32 exec_lo, exec_lo, s29
	s_delay_alu instid0(VALU_DEP_1) | instskip(SKIP_1) | instid1(VALU_DEP_2)
	v_dual_lshlrev_b32 v3, 16, v12 :: v_dual_lshlrev_b32 v10, 20, v14
	v_lshl_add_u32 v2, v2, 23, 0x3c000000
	v_and_b32_e32 v3, 0x80000000, v3
	s_delay_alu instid0(VALU_DEP_1)
	v_or3_b32 v2, v10, v3, v2
.LBB4_8530:                             ;   in Loop: Header=BB4_7930 Depth=2
	s_or_b32 exec_lo, exec_lo, s28
.LBB4_8531:                             ;   in Loop: Header=BB4_7930 Depth=2
	s_delay_alu instid0(SALU_CYCLE_1)
	s_or_b32 exec_lo, exec_lo, s27
.LBB4_8532:                             ;   in Loop: Header=BB4_7930 Depth=2
	s_delay_alu instid0(SALU_CYCLE_1) | instskip(NEXT) | instid1(VALU_DEP_1)
	s_or_b32 exec_lo, exec_lo, s10
	v_mul_f32_e32 v3, s26, v2
                                        ; implicit-def: $vgpr63
	s_mov_b32 s10, exec_lo
	s_delay_alu instid0(VALU_DEP_1) | instskip(SKIP_1) | instid1(VALU_DEP_2)
	v_and_b32_e32 v14, 0x7f800000, v3
	v_lshrrev_b32_e32 v2, 24, v3
	v_cmpx_ne_u64_e32 0x7f800000, v[14:15]
	s_xor_b32 s27, exec_lo, s10
	s_cbranch_execz .LBB4_8546
; %bb.8533:                             ;   in Loop: Header=BB4_7930 Depth=2
	v_and_b32_e32 v14, 0x7fffffff, v3
	v_and_b32_e32 v2, 0x80, v2
                                        ; implicit-def: $vgpr63
	s_mov_b32 s10, exec_lo
	s_delay_alu instid0(VALU_DEP_2)
	v_cmpx_gt_u64_e32 0x43e00001, v[14:15]
	s_xor_b32 s28, exec_lo, s10
	s_cbranch_execz .LBB4_8543
; %bb.8534:                             ;   in Loop: Header=BB4_7930 Depth=2
	v_mov_b32_e32 v63, 0
	s_mov_b32 s29, exec_lo
	v_cmpx_ne_u32_e32 0, v3
	s_cbranch_execz .LBB4_8542
; %bb.8535:                             ;   in Loop: Header=BB4_7930 Depth=2
	v_bfe_u32 v96, v3, 23, 8
	v_and_b32_e32 v3, 0x7fffff, v3
	s_delay_alu instid0(VALU_DEP_2) | instskip(SKIP_1) | instid1(VALU_DEP_3)
	v_sub_nc_u32_e32 v10, 0x79, v96
	v_cmp_gt_u32_e32 vcc_lo, 0x7a, v96
	v_or_b32_e32 v14, 0x800000, v3
	s_delay_alu instid0(VALU_DEP_3) | instskip(SKIP_1) | instid1(VALU_DEP_2)
	v_cndmask_b32_e32 v10, 0, v10, vcc_lo
	v_cmp_eq_u32_e32 vcc_lo, 0, v96
	v_cndmask_b32_e64 v97, v10, 0x78, vcc_lo
	s_delay_alu instid0(VALU_DEP_1) | instskip(SKIP_1) | instid1(VALU_DEP_2)
	v_dual_cndmask_b32 v14, v14, v3, vcc_lo :: v_dual_add_nc_u32 v10, 20, v97
	v_add_nc_u32_e32 v20, 19, v97
	v_lshlrev_b64_e64 v[10:11], v10, -1
	s_delay_alu instid0(VALU_DEP_2) | instskip(NEXT) | instid1(VALU_DEP_2)
	v_lshlrev_b64_e64 v[86:87], v20, 1
	v_bfi_b32 v73, v11, 0, 0
	s_delay_alu instid0(VALU_DEP_3) | instskip(SKIP_1) | instid1(VALU_DEP_2)
	v_bfi_b32 v72, v10, 0, v14
	v_lshrrev_b64 v[10:11], v97, v[14:15]
	v_cmp_eq_u64_e64 s10, v[72:73], v[86:87]
	s_delay_alu instid0(VALU_DEP_2)
	v_mov_b64_e32 v[86:87], v[10:11]
	s_and_saveexec_b32 s40, s10
; %bb.8536:                             ;   in Loop: Header=BB4_7930 Depth=2
	v_bfe_u32 v14, v10, 20, 1
	s_delay_alu instid0(VALU_DEP_1) | instskip(NEXT) | instid1(VALU_DEP_1)
	v_add_nc_u64_e32 v[86:87], v[10:11], v[14:15]
	v_add_nc_u64_e32 v[86:87], -1, v[86:87]
; %bb.8537:                             ;   in Loop: Header=BB4_7930 Depth=2
	s_or_b32 exec_lo, exec_lo, s40
	v_add_nc_u32_e32 v3, 0xffffff81, v96
	v_lshrrev_b32_e32 v11, 23, v10
	s_mov_b32 s10, exec_lo
	s_delay_alu instid0(VALU_DEP_2) | instskip(NEXT) | instid1(VALU_DEP_1)
	v_cndmask_b32_e64 v3, v3, 0xffffff82, vcc_lo
	v_add3_u32 v87, v97, v3, v11
	v_and_b32_e32 v3, 0xfffff, v86
	s_delay_alu instid0(VALU_DEP_1) | instskip(NEXT) | instid1(VALU_DEP_1)
	v_dual_add_nc_u32 v86, 6, v87 :: v_dual_add_nc_u32 v14, v3, v10
                                        ; implicit-def: $vgpr10_vgpr11
                                        ; implicit-def: $vgpr3
	v_cmpx_ne_u32_e32 0, v86
	s_xor_b32 s10, exec_lo, s10
; %bb.8538:                             ;   in Loop: Header=BB4_7930 Depth=2
	s_delay_alu instid0(VALU_DEP_2) | instskip(SKIP_2) | instid1(VALU_DEP_2)
	v_cmp_lt_u64_e32 vcc_lo, 0xffffff, v[14:15]
	v_add_nc_u32_e32 v3, 7, v87
	v_cndmask_b32_e64 v10, 0, 1, vcc_lo
	v_cndmask_b32_e32 v3, v86, v3, vcc_lo
	s_delay_alu instid0(VALU_DEP_2)
	v_lshrrev_b64 v[10:11], v10, v[14:15]
; %bb.8539:                             ;   in Loop: Header=BB4_7930 Depth=2
	s_and_not1_saveexec_b32 s10, s10
; %bb.8540:                             ;   in Loop: Header=BB4_7930 Depth=2
	v_mov_b64_e32 v[10:11], v[14:15]
	v_bfe_u32 v3, v14, 23, 1
; %bb.8541:                             ;   in Loop: Header=BB4_7930 Depth=2
	s_or_b32 exec_lo, exec_lo, s10
	s_delay_alu instid0(VALU_DEP_2) | instskip(NEXT) | instid1(VALU_DEP_2)
	v_lshrrev_b64 v[10:11], 20, v[10:11]
	v_cmp_gt_i32_e32 vcc_lo, 16, v3
	v_min_i32_e32 v14, 15, v3
	v_cmp_eq_u32_e64 s10, 0, v3
	s_delay_alu instid0(VALU_DEP_4) | instskip(NEXT) | instid1(VALU_DEP_3)
	v_cndmask_b32_e32 v10, 7, v10, vcc_lo
	v_dual_cndmask_b32 v11, 0, v11 :: v_dual_lshlrev_b32 v14, 3, v14
	s_delay_alu instid0(VALU_DEP_1) | instskip(NEXT) | instid1(VALU_DEP_2)
	v_and_b32_e32 v14, 0xf8, v14
	v_cmp_eq_u64_e32 vcc_lo, 0, v[10:11]
	s_delay_alu instid0(VALU_DEP_2)
	v_and_or_b32 v3, v10, 7, v14
	s_and_b32 s10, s10, vcc_lo
	s_delay_alu instid0(VALU_DEP_1) | instid1(SALU_CYCLE_1)
	v_cndmask_b32_e64 v3, v3, 0, s10
	s_delay_alu instid0(VALU_DEP_1)
	v_or_b32_e32 v63, v3, v2
.LBB4_8542:                             ;   in Loop: Header=BB4_7930 Depth=2
	s_or_b32 exec_lo, exec_lo, s29
                                        ; implicit-def: $vgpr2
.LBB4_8543:                             ;   in Loop: Header=BB4_7930 Depth=2
	s_and_not1_saveexec_b32 s10, s28
; %bb.8544:                             ;   in Loop: Header=BB4_7930 Depth=2
	v_or_b32_e32 v63, 0x7e, v2
; %bb.8545:                             ;   in Loop: Header=BB4_7930 Depth=2
	s_or_b32 exec_lo, exec_lo, s10
                                        ; implicit-def: $vgpr2
.LBB4_8546:                             ;   in Loop: Header=BB4_7930 Depth=2
	s_and_not1_saveexec_b32 s10, s27
; %bb.8547:                             ;   in Loop: Header=BB4_7930 Depth=2
	v_or_b32_e32 v63, 0x7f, v2
; %bb.8548:                             ;   in Loop: Header=BB4_7930 Depth=2
	s_or_b32 exec_lo, exec_lo, s10
	v_dual_mov_b32 v3, 0 :: v_dual_lshrrev_b32 v2, 16, v12
	s_mov_b32 s10, exec_lo
	s_delay_alu instid0(VALU_DEP_1) | instskip(NEXT) | instid1(VALU_DEP_1)
	v_and_b32_e32 v10, 0xff, v2
	v_cmpx_ne_u16_e32 0, v10
	s_cbranch_execz .LBB4_8556
; %bb.8549:                             ;   in Loop: Header=BB4_7930 Depth=2
	v_bfrev_b32_e32 v3, 1
	s_mov_b32 s27, exec_lo
	v_cmpx_ne_u16_e32 0x80, v10
	s_cbranch_execz .LBB4_8555
; %bb.8550:                             ;   in Loop: Header=BB4_7930 Depth=2
	v_bfe_u32 v10, v12, 16, 7
	v_mov_b32_e32 v3, 0x7f800001
	s_mov_b32 s28, exec_lo
	s_delay_alu instid0(VALU_DEP_2)
	v_cmpx_ne_u32_e32 0x7f, v10
	s_cbranch_execz .LBB4_8554
; %bb.8551:                             ;   in Loop: Header=BB4_7930 Depth=2
	v_and_b32_e32 v14, 7, v2
	v_lshrrev_b32_e32 v3, 3, v10
	s_mov_b32 s29, exec_lo
	v_cmpx_gt_u32_e32 8, v10
; %bb.8552:                             ;   in Loop: Header=BB4_7930 Depth=2
	s_delay_alu instid0(VALU_DEP_3) | instskip(NEXT) | instid1(VALU_DEP_1)
	v_clz_i32_u32_e32 v3, v14
	v_min_u32_e32 v3, 32, v3
	s_delay_alu instid0(VALU_DEP_1) | instskip(NEXT) | instid1(VALU_DEP_1)
	v_subrev_nc_u32_e32 v10, 28, v3
	v_lshlrev_b64_e32 v[10:11], v10, v[14:15]
	s_delay_alu instid0(VALU_DEP_1)
	v_dual_sub_nc_u32 v3, 29, v3 :: v_dual_bitop2_b32 v14, 7, v10 bitop3:0x40
; %bb.8553:                             ;   in Loop: Header=BB4_7930 Depth=2
	s_or_b32 exec_lo, exec_lo, s29
	v_lshlrev_b32_e32 v2, 24, v2
	s_delay_alu instid0(VALU_DEP_2) | instskip(NEXT) | instid1(VALU_DEP_3)
	v_lshlrev_b32_e32 v10, 20, v14
	v_lshl_add_u32 v3, v3, 23, 0x3c000000
	s_delay_alu instid0(VALU_DEP_3) | instskip(NEXT) | instid1(VALU_DEP_1)
	v_and_b32_e32 v2, 0x80000000, v2
	v_or3_b32 v3, v10, v2, v3
.LBB4_8554:                             ;   in Loop: Header=BB4_7930 Depth=2
	s_or_b32 exec_lo, exec_lo, s28
.LBB4_8555:                             ;   in Loop: Header=BB4_7930 Depth=2
	s_delay_alu instid0(SALU_CYCLE_1)
	s_or_b32 exec_lo, exec_lo, s27
.LBB4_8556:                             ;   in Loop: Header=BB4_7930 Depth=2
	s_delay_alu instid0(SALU_CYCLE_1) | instskip(NEXT) | instid1(VALU_DEP_1)
	s_or_b32 exec_lo, exec_lo, s10
	v_mul_f32_e32 v3, s26, v3
                                        ; implicit-def: $vgpr72
	s_mov_b32 s10, exec_lo
	s_delay_alu instid0(VALU_DEP_1) | instskip(SKIP_1) | instid1(VALU_DEP_2)
	v_and_b32_e32 v14, 0x7f800000, v3
	v_lshrrev_b32_e32 v2, 24, v3
	v_cmpx_ne_u64_e32 0x7f800000, v[14:15]
	s_xor_b32 s27, exec_lo, s10
	s_cbranch_execz .LBB4_8570
; %bb.8557:                             ;   in Loop: Header=BB4_7930 Depth=2
	v_and_b32_e32 v14, 0x7fffffff, v3
	v_and_b32_e32 v2, 0x80, v2
                                        ; implicit-def: $vgpr72
	s_mov_b32 s10, exec_lo
	s_delay_alu instid0(VALU_DEP_2)
	v_cmpx_gt_u64_e32 0x43e00001, v[14:15]
	s_xor_b32 s28, exec_lo, s10
	s_cbranch_execz .LBB4_8567
; %bb.8558:                             ;   in Loop: Header=BB4_7930 Depth=2
	v_mov_b32_e32 v72, 0
	s_mov_b32 s29, exec_lo
	v_cmpx_ne_u32_e32 0, v3
	s_cbranch_execz .LBB4_8566
; %bb.8559:                             ;   in Loop: Header=BB4_7930 Depth=2
	v_bfe_u32 v96, v3, 23, 8
	v_and_b32_e32 v3, 0x7fffff, v3
	s_delay_alu instid0(VALU_DEP_2) | instskip(SKIP_1) | instid1(VALU_DEP_3)
	v_sub_nc_u32_e32 v10, 0x79, v96
	v_cmp_gt_u32_e32 vcc_lo, 0x7a, v96
	v_or_b32_e32 v14, 0x800000, v3
	s_delay_alu instid0(VALU_DEP_3) | instskip(SKIP_1) | instid1(VALU_DEP_2)
	v_cndmask_b32_e32 v10, 0, v10, vcc_lo
	v_cmp_eq_u32_e32 vcc_lo, 0, v96
	v_cndmask_b32_e64 v97, v10, 0x78, vcc_lo
	s_delay_alu instid0(VALU_DEP_1) | instskip(SKIP_1) | instid1(VALU_DEP_2)
	v_dual_cndmask_b32 v14, v14, v3, vcc_lo :: v_dual_add_nc_u32 v10, 20, v97
	v_add_nc_u32_e32 v20, 19, v97
	v_lshlrev_b64_e64 v[10:11], v10, -1
	s_delay_alu instid0(VALU_DEP_2) | instskip(NEXT) | instid1(VALU_DEP_2)
	v_lshlrev_b64_e64 v[86:87], v20, 1
	v_bfi_b32 v73, v11, 0, 0
	s_delay_alu instid0(VALU_DEP_3) | instskip(SKIP_1) | instid1(VALU_DEP_2)
	v_bfi_b32 v72, v10, 0, v14
	v_lshrrev_b64 v[10:11], v97, v[14:15]
	v_cmp_eq_u64_e64 s10, v[72:73], v[86:87]
	s_delay_alu instid0(VALU_DEP_2)
	v_mov_b64_e32 v[86:87], v[10:11]
	s_and_saveexec_b32 s40, s10
; %bb.8560:                             ;   in Loop: Header=BB4_7930 Depth=2
	v_bfe_u32 v14, v10, 20, 1
	s_delay_alu instid0(VALU_DEP_1) | instskip(NEXT) | instid1(VALU_DEP_1)
	v_add_nc_u64_e32 v[86:87], v[10:11], v[14:15]
	v_add_nc_u64_e32 v[86:87], -1, v[86:87]
; %bb.8561:                             ;   in Loop: Header=BB4_7930 Depth=2
	s_or_b32 exec_lo, exec_lo, s40
	v_add_nc_u32_e32 v3, 0xffffff81, v96
	v_lshrrev_b32_e32 v11, 23, v10
	s_mov_b32 s10, exec_lo
	s_delay_alu instid0(VALU_DEP_2) | instskip(NEXT) | instid1(VALU_DEP_1)
	v_cndmask_b32_e64 v3, v3, 0xffffff82, vcc_lo
	v_add3_u32 v87, v97, v3, v11
	v_and_b32_e32 v3, 0xfffff, v86
	s_delay_alu instid0(VALU_DEP_1) | instskip(NEXT) | instid1(VALU_DEP_1)
	v_dual_add_nc_u32 v86, 6, v87 :: v_dual_add_nc_u32 v14, v3, v10
                                        ; implicit-def: $vgpr10_vgpr11
                                        ; implicit-def: $vgpr3
	v_cmpx_ne_u32_e32 0, v86
	s_xor_b32 s10, exec_lo, s10
; %bb.8562:                             ;   in Loop: Header=BB4_7930 Depth=2
	s_delay_alu instid0(VALU_DEP_2) | instskip(SKIP_2) | instid1(VALU_DEP_2)
	v_cmp_lt_u64_e32 vcc_lo, 0xffffff, v[14:15]
	v_add_nc_u32_e32 v3, 7, v87
	v_cndmask_b32_e64 v10, 0, 1, vcc_lo
	v_cndmask_b32_e32 v3, v86, v3, vcc_lo
	s_delay_alu instid0(VALU_DEP_2)
	v_lshrrev_b64 v[10:11], v10, v[14:15]
; %bb.8563:                             ;   in Loop: Header=BB4_7930 Depth=2
	s_and_not1_saveexec_b32 s10, s10
; %bb.8564:                             ;   in Loop: Header=BB4_7930 Depth=2
	v_mov_b64_e32 v[10:11], v[14:15]
	v_bfe_u32 v3, v14, 23, 1
; %bb.8565:                             ;   in Loop: Header=BB4_7930 Depth=2
	s_or_b32 exec_lo, exec_lo, s10
	s_delay_alu instid0(VALU_DEP_2) | instskip(NEXT) | instid1(VALU_DEP_2)
	v_lshrrev_b64 v[10:11], 20, v[10:11]
	v_cmp_gt_i32_e32 vcc_lo, 16, v3
	v_min_i32_e32 v14, 15, v3
	v_cmp_eq_u32_e64 s10, 0, v3
	s_delay_alu instid0(VALU_DEP_4) | instskip(NEXT) | instid1(VALU_DEP_3)
	v_cndmask_b32_e32 v10, 7, v10, vcc_lo
	v_dual_cndmask_b32 v11, 0, v11 :: v_dual_lshlrev_b32 v14, 3, v14
	s_delay_alu instid0(VALU_DEP_1) | instskip(NEXT) | instid1(VALU_DEP_2)
	v_and_b32_e32 v14, 0xf8, v14
	v_cmp_eq_u64_e32 vcc_lo, 0, v[10:11]
	s_delay_alu instid0(VALU_DEP_2)
	v_and_or_b32 v3, v10, 7, v14
	s_and_b32 s10, s10, vcc_lo
	s_delay_alu instid0(VALU_DEP_1) | instid1(SALU_CYCLE_1)
	v_cndmask_b32_e64 v3, v3, 0, s10
	s_delay_alu instid0(VALU_DEP_1)
	v_or_b32_e32 v72, v3, v2
.LBB4_8566:                             ;   in Loop: Header=BB4_7930 Depth=2
	s_or_b32 exec_lo, exec_lo, s29
                                        ; implicit-def: $vgpr2
.LBB4_8567:                             ;   in Loop: Header=BB4_7930 Depth=2
	s_and_not1_saveexec_b32 s10, s28
; %bb.8568:                             ;   in Loop: Header=BB4_7930 Depth=2
	v_or_b32_e32 v72, 0x7e, v2
; %bb.8569:                             ;   in Loop: Header=BB4_7930 Depth=2
	s_or_b32 exec_lo, exec_lo, s10
                                        ; implicit-def: $vgpr2
.LBB4_8570:                             ;   in Loop: Header=BB4_7930 Depth=2
	s_and_not1_saveexec_b32 s10, s27
; %bb.8571:                             ;   in Loop: Header=BB4_7930 Depth=2
	v_or_b32_e32 v72, 0x7f, v2
; %bb.8572:                             ;   in Loop: Header=BB4_7930 Depth=2
	s_or_b32 exec_lo, exec_lo, s10
	v_mov_b32_e32 v3, 0
	s_mov_b32 s10, exec_lo
	v_cmpx_lt_u32_e32 0xffffff, v12
	s_cbranch_execz .LBB4_8580
; %bb.8573:                             ;   in Loop: Header=BB4_7930 Depth=2
	v_lshrrev_b32_e32 v2, 24, v12
	v_bfrev_b32_e32 v3, 1
	s_mov_b32 s27, exec_lo
	s_delay_alu instid0(VALU_DEP_2)
	v_cmpx_ne_u32_e32 0x80, v2
	s_cbranch_execz .LBB4_8579
; %bb.8574:                             ;   in Loop: Header=BB4_7930 Depth=2
	v_bfe_u32 v10, v12, 24, 7
	v_mov_b32_e32 v3, 0x7f800001
	s_mov_b32 s28, exec_lo
	s_delay_alu instid0(VALU_DEP_2)
	v_cmpx_ne_u32_e32 0x7f, v10
	s_cbranch_execz .LBB4_8578
; %bb.8575:                             ;   in Loop: Header=BB4_7930 Depth=2
	v_and_b32_e32 v14, 7, v2
	v_lshrrev_b32_e32 v3, 3, v10
	s_mov_b32 s29, exec_lo
	v_cmpx_gt_u32_e32 8, v10
; %bb.8576:                             ;   in Loop: Header=BB4_7930 Depth=2
	s_delay_alu instid0(VALU_DEP_3) | instskip(NEXT) | instid1(VALU_DEP_1)
	v_clz_i32_u32_e32 v3, v14
	v_min_u32_e32 v3, 32, v3
	s_delay_alu instid0(VALU_DEP_1) | instskip(NEXT) | instid1(VALU_DEP_1)
	v_subrev_nc_u32_e32 v10, 28, v3
	v_lshlrev_b64_e32 v[10:11], v10, v[14:15]
	s_delay_alu instid0(VALU_DEP_1)
	v_dual_sub_nc_u32 v3, 29, v3 :: v_dual_bitop2_b32 v14, 7, v10 bitop3:0x40
; %bb.8577:                             ;   in Loop: Header=BB4_7930 Depth=2
	s_or_b32 exec_lo, exec_lo, s29
	v_lshlrev_b32_e32 v2, 24, v2
	s_delay_alu instid0(VALU_DEP_2) | instskip(NEXT) | instid1(VALU_DEP_3)
	v_lshlrev_b32_e32 v10, 20, v14
	v_lshl_add_u32 v3, v3, 23, 0x3c000000
	s_delay_alu instid0(VALU_DEP_3) | instskip(NEXT) | instid1(VALU_DEP_1)
	v_and_b32_e32 v2, 0x80000000, v2
	v_or3_b32 v3, v10, v2, v3
.LBB4_8578:                             ;   in Loop: Header=BB4_7930 Depth=2
	s_or_b32 exec_lo, exec_lo, s28
.LBB4_8579:                             ;   in Loop: Header=BB4_7930 Depth=2
	s_delay_alu instid0(SALU_CYCLE_1)
	s_or_b32 exec_lo, exec_lo, s27
.LBB4_8580:                             ;   in Loop: Header=BB4_7930 Depth=2
	s_delay_alu instid0(SALU_CYCLE_1) | instskip(NEXT) | instid1(VALU_DEP_1)
	s_or_b32 exec_lo, exec_lo, s10
	v_mul_f32_e32 v3, s26, v3
                                        ; implicit-def: $vgpr73
	s_mov_b32 s10, exec_lo
	s_delay_alu instid0(VALU_DEP_1) | instskip(SKIP_1) | instid1(VALU_DEP_2)
	v_and_b32_e32 v14, 0x7f800000, v3
	v_lshrrev_b32_e32 v2, 24, v3
	v_cmpx_ne_u64_e32 0x7f800000, v[14:15]
	s_xor_b32 s27, exec_lo, s10
	s_cbranch_execz .LBB4_8594
; %bb.8581:                             ;   in Loop: Header=BB4_7930 Depth=2
	v_and_b32_e32 v14, 0x7fffffff, v3
	v_and_b32_e32 v2, 0x80, v2
                                        ; implicit-def: $vgpr73
	s_mov_b32 s10, exec_lo
	s_delay_alu instid0(VALU_DEP_2)
	v_cmpx_gt_u64_e32 0x43e00001, v[14:15]
	s_xor_b32 s28, exec_lo, s10
	s_cbranch_execz .LBB4_8591
; %bb.8582:                             ;   in Loop: Header=BB4_7930 Depth=2
	v_mov_b32_e32 v73, 0
	s_mov_b32 s29, exec_lo
	v_cmpx_ne_u32_e32 0, v3
	s_cbranch_execz .LBB4_8590
; %bb.8583:                             ;   in Loop: Header=BB4_7930 Depth=2
	v_bfe_u32 v96, v3, 23, 8
	v_and_b32_e32 v3, 0x7fffff, v3
	s_delay_alu instid0(VALU_DEP_2) | instskip(SKIP_1) | instid1(VALU_DEP_3)
	v_sub_nc_u32_e32 v10, 0x79, v96
	v_cmp_gt_u32_e32 vcc_lo, 0x7a, v96
	v_or_b32_e32 v14, 0x800000, v3
	s_delay_alu instid0(VALU_DEP_3) | instskip(SKIP_1) | instid1(VALU_DEP_2)
	v_cndmask_b32_e32 v10, 0, v10, vcc_lo
	v_cmp_eq_u32_e32 vcc_lo, 0, v96
	v_cndmask_b32_e64 v97, v10, 0x78, vcc_lo
	s_delay_alu instid0(VALU_DEP_1) | instskip(SKIP_1) | instid1(VALU_DEP_2)
	v_dual_cndmask_b32 v14, v14, v3, vcc_lo :: v_dual_add_nc_u32 v10, 20, v97
	v_add_nc_u32_e32 v20, 19, v97
	v_lshlrev_b64_e64 v[10:11], v10, -1
	s_delay_alu instid0(VALU_DEP_2) | instskip(NEXT) | instid1(VALU_DEP_2)
	v_lshlrev_b64_e64 v[86:87], v20, 1
	v_bfi_b32 v75, v11, 0, 0
	s_delay_alu instid0(VALU_DEP_3) | instskip(SKIP_1) | instid1(VALU_DEP_2)
	v_bfi_b32 v74, v10, 0, v14
	v_lshrrev_b64 v[10:11], v97, v[14:15]
	v_cmp_eq_u64_e64 s10, v[74:75], v[86:87]
	s_delay_alu instid0(VALU_DEP_2)
	v_mov_b64_e32 v[86:87], v[10:11]
	s_and_saveexec_b32 s40, s10
; %bb.8584:                             ;   in Loop: Header=BB4_7930 Depth=2
	v_bfe_u32 v14, v10, 20, 1
	s_delay_alu instid0(VALU_DEP_1) | instskip(NEXT) | instid1(VALU_DEP_1)
	v_add_nc_u64_e32 v[86:87], v[10:11], v[14:15]
	v_add_nc_u64_e32 v[86:87], -1, v[86:87]
; %bb.8585:                             ;   in Loop: Header=BB4_7930 Depth=2
	s_or_b32 exec_lo, exec_lo, s40
	v_add_nc_u32_e32 v3, 0xffffff81, v96
	v_lshrrev_b32_e32 v11, 23, v10
	s_mov_b32 s10, exec_lo
	s_delay_alu instid0(VALU_DEP_2) | instskip(NEXT) | instid1(VALU_DEP_1)
	v_cndmask_b32_e64 v3, v3, 0xffffff82, vcc_lo
	v_add3_u32 v87, v97, v3, v11
	v_and_b32_e32 v3, 0xfffff, v86
	s_delay_alu instid0(VALU_DEP_1) | instskip(NEXT) | instid1(VALU_DEP_1)
	v_dual_add_nc_u32 v86, 6, v87 :: v_dual_add_nc_u32 v14, v3, v10
                                        ; implicit-def: $vgpr10_vgpr11
                                        ; implicit-def: $vgpr3
	v_cmpx_ne_u32_e32 0, v86
	s_xor_b32 s10, exec_lo, s10
; %bb.8586:                             ;   in Loop: Header=BB4_7930 Depth=2
	s_delay_alu instid0(VALU_DEP_2) | instskip(SKIP_2) | instid1(VALU_DEP_2)
	v_cmp_lt_u64_e32 vcc_lo, 0xffffff, v[14:15]
	v_add_nc_u32_e32 v3, 7, v87
	v_cndmask_b32_e64 v10, 0, 1, vcc_lo
	v_cndmask_b32_e32 v3, v86, v3, vcc_lo
	s_delay_alu instid0(VALU_DEP_2)
	v_lshrrev_b64 v[10:11], v10, v[14:15]
; %bb.8587:                             ;   in Loop: Header=BB4_7930 Depth=2
	s_and_not1_saveexec_b32 s10, s10
; %bb.8588:                             ;   in Loop: Header=BB4_7930 Depth=2
	v_mov_b64_e32 v[10:11], v[14:15]
	v_bfe_u32 v3, v14, 23, 1
; %bb.8589:                             ;   in Loop: Header=BB4_7930 Depth=2
	s_or_b32 exec_lo, exec_lo, s10
	s_delay_alu instid0(VALU_DEP_2) | instskip(NEXT) | instid1(VALU_DEP_2)
	v_lshrrev_b64 v[10:11], 20, v[10:11]
	v_cmp_gt_i32_e32 vcc_lo, 16, v3
	v_min_i32_e32 v14, 15, v3
	v_cmp_eq_u32_e64 s10, 0, v3
	s_delay_alu instid0(VALU_DEP_4) | instskip(NEXT) | instid1(VALU_DEP_3)
	v_cndmask_b32_e32 v10, 7, v10, vcc_lo
	v_dual_cndmask_b32 v11, 0, v11 :: v_dual_lshlrev_b32 v14, 3, v14
	s_delay_alu instid0(VALU_DEP_1) | instskip(NEXT) | instid1(VALU_DEP_2)
	v_and_b32_e32 v14, 0xf8, v14
	v_cmp_eq_u64_e32 vcc_lo, 0, v[10:11]
	s_delay_alu instid0(VALU_DEP_2)
	v_and_or_b32 v3, v10, 7, v14
	s_and_b32 s10, s10, vcc_lo
	s_delay_alu instid0(VALU_DEP_1) | instid1(SALU_CYCLE_1)
	v_cndmask_b32_e64 v3, v3, 0, s10
	s_delay_alu instid0(VALU_DEP_1)
	v_or_b32_e32 v73, v3, v2
.LBB4_8590:                             ;   in Loop: Header=BB4_7930 Depth=2
	s_or_b32 exec_lo, exec_lo, s29
                                        ; implicit-def: $vgpr2
.LBB4_8591:                             ;   in Loop: Header=BB4_7930 Depth=2
	s_and_not1_saveexec_b32 s10, s28
; %bb.8592:                             ;   in Loop: Header=BB4_7930 Depth=2
	v_or_b32_e32 v73, 0x7e, v2
; %bb.8593:                             ;   in Loop: Header=BB4_7930 Depth=2
	s_or_b32 exec_lo, exec_lo, s10
                                        ; implicit-def: $vgpr2
.LBB4_8594:                             ;   in Loop: Header=BB4_7930 Depth=2
	s_and_not1_saveexec_b32 s10, s27
; %bb.8595:                             ;   in Loop: Header=BB4_7930 Depth=2
	v_or_b32_e32 v73, 0x7f, v2
; %bb.8596:                             ;   in Loop: Header=BB4_7930 Depth=2
	s_or_b32 exec_lo, exec_lo, s10
	v_and_b32_e32 v3, 0xff, v13
	v_dual_mov_b32 v14, v13 :: v_dual_mov_b32 v2, 0
	s_mov_b32 s10, exec_lo
	s_delay_alu instid0(VALU_DEP_2)
	v_cmpx_ne_u16_e32 0, v3
	s_cbranch_execz .LBB4_8602
; %bb.8597:                             ;   in Loop: Header=BB4_7930 Depth=2
	v_bfrev_b32_e32 v2, 1
	s_mov_b32 s27, exec_lo
	v_cmpx_ne_u16_e32 0x80, v3
	s_cbranch_execz .LBB4_8601
; %bb.8598:                             ;   in Loop: Header=BB4_7930 Depth=2
	v_and_b32_e32 v3, 0x7f, v13
	v_mov_b32_e32 v2, 0x7f800001
	s_mov_b32 s28, exec_lo
	s_delay_alu instid0(VALU_DEP_2)
	v_cmpx_ne_u32_e32 0x7f, v3
	s_cbranch_execz .LBB4_8600
; %bb.8599:                             ;   in Loop: Header=BB4_7930 Depth=2
	v_dual_lshrrev_b32 v10, 3, v3 :: v_dual_bitop2_b32 v2, 7, v13 bitop3:0x40
	v_cmp_gt_u32_e32 vcc_lo, 8, v3
	s_delay_alu instid0(VALU_DEP_2) | instskip(NEXT) | instid1(VALU_DEP_1)
	v_clz_i32_u32_e32 v2, v2
	v_min_u32_e32 v2, 32, v2
	s_delay_alu instid0(VALU_DEP_1) | instskip(SKIP_1) | instid1(VALU_DEP_1)
	v_subrev_nc_u32_e32 v11, 28, v2
	v_sub_nc_u32_e32 v2, 29, v2
	v_dual_cndmask_b32 v10, v10, v2, vcc_lo :: v_dual_cndmask_b32 v2, 0, v11, vcc_lo
	s_delay_alu instid0(VALU_DEP_1) | instskip(NEXT) | instid1(VALU_DEP_2)
	v_lshl_add_u32 v10, v10, 23, 0x3c000000
	v_lshlrev_b64_e32 v[2:3], v2, v[14:15]
	v_lshlrev_b32_e32 v3, 24, v14
	s_delay_alu instid0(VALU_DEP_1) | instskip(NEXT) | instid1(VALU_DEP_3)
	v_and_b32_e32 v3, 0x80000000, v3
	v_lshlrev_b32_e32 v2, 20, v2
	s_delay_alu instid0(VALU_DEP_1) | instskip(NEXT) | instid1(VALU_DEP_1)
	v_and_b32_e32 v2, 0x700000, v2
	v_or3_b32 v2, v2, v3, v10
.LBB4_8600:                             ;   in Loop: Header=BB4_7930 Depth=2
	s_or_b32 exec_lo, exec_lo, s28
.LBB4_8601:                             ;   in Loop: Header=BB4_7930 Depth=2
	s_delay_alu instid0(SALU_CYCLE_1)
	s_or_b32 exec_lo, exec_lo, s27
.LBB4_8602:                             ;   in Loop: Header=BB4_7930 Depth=2
	s_delay_alu instid0(SALU_CYCLE_1) | instskip(NEXT) | instid1(VALU_DEP_1)
	s_or_b32 exec_lo, exec_lo, s10
	v_dual_mul_f32 v3, s26, v2 :: v_dual_mov_b32 v11, v15
                                        ; implicit-def: $vgpr74
	s_mov_b32 s10, exec_lo
	s_delay_alu instid0(VALU_DEP_1) | instskip(SKIP_1) | instid1(VALU_DEP_2)
	v_and_b32_e32 v10, 0x7f800000, v3
	v_lshrrev_b32_e32 v2, 24, v3
	v_cmpx_ne_u64_e32 0x7f800000, v[10:11]
	s_xor_b32 s27, exec_lo, s10
	s_cbranch_execz .LBB4_8616
; %bb.8603:                             ;   in Loop: Header=BB4_7930 Depth=2
	v_and_b32_e32 v10, 0x7fffffff, v3
	v_mov_b32_e32 v11, v15
	v_and_b32_e32 v2, 0x80, v2
                                        ; implicit-def: $vgpr74
	s_mov_b32 s10, exec_lo
	s_delay_alu instid0(VALU_DEP_2)
	v_cmpx_gt_u64_e32 0x43e00001, v[10:11]
	s_xor_b32 s28, exec_lo, s10
	s_cbranch_execz .LBB4_8613
; %bb.8604:                             ;   in Loop: Header=BB4_7930 Depth=2
	v_mov_b32_e32 v74, 0
	s_mov_b32 s29, exec_lo
	v_cmpx_ne_u32_e32 0, v3
	s_cbranch_execz .LBB4_8612
; %bb.8605:                             ;   in Loop: Header=BB4_7930 Depth=2
	v_bfe_u32 v96, v3, 23, 8
	v_and_b32_e32 v3, 0x7fffff, v3
	s_mov_b32 s40, exec_lo
	s_delay_alu instid0(VALU_DEP_2) | instskip(SKIP_1) | instid1(VALU_DEP_3)
	v_dual_mov_b32 v87, v15 :: v_dual_sub_nc_u32 v10, 0x79, v96
	v_cmp_gt_u32_e32 vcc_lo, 0x7a, v96
	v_or_b32_e32 v20, 0x800000, v3
	s_delay_alu instid0(VALU_DEP_3) | instskip(SKIP_1) | instid1(VALU_DEP_2)
	v_cndmask_b32_e32 v10, 0, v10, vcc_lo
	v_cmp_eq_u32_e32 vcc_lo, 0, v96
	v_cndmask_b32_e64 v97, v10, 0x78, vcc_lo
	s_delay_alu instid0(VALU_DEP_1) | instskip(SKIP_1) | instid1(VALU_DEP_2)
	v_dual_cndmask_b32 v86, v20, v3, vcc_lo :: v_dual_add_nc_u32 v10, 20, v97
	v_add_nc_u32_e32 v21, 19, v97
	v_lshlrev_b64_e64 v[10:11], v10, -1
	s_delay_alu instid0(VALU_DEP_2) | instskip(NEXT) | instid1(VALU_DEP_2)
	v_lshlrev_b64_e64 v[74:75], v21, 1
	v_bfi_b32 v77, v11, 0, 0
	s_delay_alu instid0(VALU_DEP_3) | instskip(SKIP_1) | instid1(VALU_DEP_1)
	v_bfi_b32 v76, v10, 0, v86
	v_lshrrev_b64 v[10:11], v97, v[86:87]
	v_mov_b64_e32 v[86:87], v[10:11]
	s_delay_alu instid0(VALU_DEP_3)
	v_cmpx_eq_u64_e64 v[76:77], v[74:75]
; %bb.8606:                             ;   in Loop: Header=BB4_7930 Depth=2
	v_bfe_u32 v86, v10, 20, 1
	v_mov_b32_e32 v87, v15
	s_delay_alu instid0(VALU_DEP_1) | instskip(NEXT) | instid1(VALU_DEP_1)
	v_add_nc_u64_e32 v[86:87], v[10:11], v[86:87]
	v_add_nc_u64_e32 v[86:87], -1, v[86:87]
; %bb.8607:                             ;   in Loop: Header=BB4_7930 Depth=2
	s_or_b32 exec_lo, exec_lo, s40
	v_add_nc_u32_e32 v3, 0xffffff81, v96
	v_lshrrev_b32_e32 v11, 23, v10
	s_mov_b32 s10, exec_lo
	s_delay_alu instid0(VALU_DEP_2) | instskip(NEXT) | instid1(VALU_DEP_1)
	v_cndmask_b32_e64 v3, v3, 0xffffff82, vcc_lo
	v_add3_u32 v87, v97, v3, v11
	v_and_b32_e32 v3, 0xfffff, v86
	s_delay_alu instid0(VALU_DEP_2) | instskip(NEXT) | instid1(VALU_DEP_2)
	v_dual_mov_b32 v11, v15 :: v_dual_add_nc_u32 v86, 6, v87
	v_add_nc_u32_e32 v10, v3, v10
                                        ; implicit-def: $vgpr3
	s_delay_alu instid0(VALU_DEP_2)
	v_cmpx_ne_u32_e32 0, v86
	s_xor_b32 s10, exec_lo, s10
; %bb.8608:                             ;   in Loop: Header=BB4_7930 Depth=2
	s_delay_alu instid0(VALU_DEP_2) | instskip(SKIP_2) | instid1(VALU_DEP_2)
	v_cmp_lt_u64_e32 vcc_lo, 0xffffff, v[10:11]
	v_add_nc_u32_e32 v3, 7, v87
	v_cndmask_b32_e64 v20, 0, 1, vcc_lo
	v_cndmask_b32_e32 v3, v86, v3, vcc_lo
	s_delay_alu instid0(VALU_DEP_2)
	v_lshrrev_b64 v[10:11], v20, v[10:11]
; %bb.8609:                             ;   in Loop: Header=BB4_7930 Depth=2
	s_and_not1_saveexec_b32 s10, s10
; %bb.8610:                             ;   in Loop: Header=BB4_7930 Depth=2
	s_delay_alu instid0(VALU_DEP_1)
	v_bfe_u32 v3, v10, 23, 1
; %bb.8611:                             ;   in Loop: Header=BB4_7930 Depth=2
	s_or_b32 exec_lo, exec_lo, s10
	s_delay_alu instid0(VALU_DEP_2) | instskip(NEXT) | instid1(VALU_DEP_2)
	v_lshrrev_b64 v[10:11], 20, v[10:11]
	v_cmp_gt_i32_e32 vcc_lo, 16, v3
	v_min_i32_e32 v20, 15, v3
	v_cmp_eq_u32_e64 s10, 0, v3
	s_delay_alu instid0(VALU_DEP_2) | instskip(SKIP_1) | instid1(VALU_DEP_2)
	v_dual_cndmask_b32 v10, 7, v10, vcc_lo :: v_dual_lshlrev_b32 v20, 3, v20
	v_cndmask_b32_e32 v11, 0, v11, vcc_lo
	v_and_b32_e32 v20, 0xf8, v20
	s_delay_alu instid0(VALU_DEP_2) | instskip(NEXT) | instid1(VALU_DEP_2)
	v_cmp_eq_u64_e32 vcc_lo, 0, v[10:11]
	v_and_or_b32 v3, v10, 7, v20
	s_and_b32 s10, s10, vcc_lo
	s_delay_alu instid0(VALU_DEP_1) | instid1(SALU_CYCLE_1)
	v_cndmask_b32_e64 v3, v3, 0, s10
	s_delay_alu instid0(VALU_DEP_1)
	v_or_b32_e32 v74, v3, v2
.LBB4_8612:                             ;   in Loop: Header=BB4_7930 Depth=2
	s_or_b32 exec_lo, exec_lo, s29
                                        ; implicit-def: $vgpr2
.LBB4_8613:                             ;   in Loop: Header=BB4_7930 Depth=2
	s_and_not1_saveexec_b32 s10, s28
; %bb.8614:                             ;   in Loop: Header=BB4_7930 Depth=2
	v_or_b32_e32 v74, 0x7e, v2
; %bb.8615:                             ;   in Loop: Header=BB4_7930 Depth=2
	s_or_b32 exec_lo, exec_lo, s10
                                        ; implicit-def: $vgpr2
.LBB4_8616:                             ;   in Loop: Header=BB4_7930 Depth=2
	s_and_not1_saveexec_b32 s10, s27
; %bb.8617:                             ;   in Loop: Header=BB4_7930 Depth=2
	v_or_b32_e32 v74, 0x7f, v2
; %bb.8618:                             ;   in Loop: Header=BB4_7930 Depth=2
	s_or_b32 exec_lo, exec_lo, s10
	v_lshrrev_b16 v3, 8, v14
	v_mov_b32_e32 v2, 0
	s_mov_b32 s10, exec_lo
	s_delay_alu instid0(VALU_DEP_2)
	v_cmpx_ne_u16_e32 0, v3
	s_cbranch_execz .LBB4_8626
; %bb.8619:                             ;   in Loop: Header=BB4_7930 Depth=2
	v_bfrev_b32_e32 v2, 1
	s_mov_b32 s27, exec_lo
	v_cmpx_ne_u16_e32 0x80, v3
	s_cbranch_execz .LBB4_8625
; %bb.8620:                             ;   in Loop: Header=BB4_7930 Depth=2
	v_and_b32_e32 v10, 0xffff, v3
	v_mov_b32_e32 v2, 0x7f800001
	s_mov_b32 s28, exec_lo
	s_delay_alu instid0(VALU_DEP_2) | instskip(NEXT) | instid1(VALU_DEP_1)
	v_and_b32_e32 v3, 0x7f, v10
	v_cmpx_ne_u32_e32 0x7f, v3
	s_cbranch_execz .LBB4_8624
; %bb.8621:                             ;   in Loop: Header=BB4_7930 Depth=2
	v_dual_mov_b32 v11, v15 :: v_dual_bitop2_b32 v10, 7, v10 bitop3:0x40
	v_lshrrev_b32_e32 v2, 3, v3
	s_mov_b32 s29, exec_lo
	v_cmpx_gt_u32_e32 8, v3
; %bb.8622:                             ;   in Loop: Header=BB4_7930 Depth=2
	s_delay_alu instid0(VALU_DEP_3) | instskip(NEXT) | instid1(VALU_DEP_1)
	v_clz_i32_u32_e32 v2, v10
	v_min_u32_e32 v2, 32, v2
	s_delay_alu instid0(VALU_DEP_1) | instskip(SKIP_1) | instid1(VALU_DEP_2)
	v_subrev_nc_u32_e32 v3, 28, v2
	v_sub_nc_u32_e32 v2, 29, v2
	v_lshlrev_b64_e32 v[10:11], v3, v[10:11]
	s_delay_alu instid0(VALU_DEP_1)
	v_and_b32_e32 v10, 7, v10
; %bb.8623:                             ;   in Loop: Header=BB4_7930 Depth=2
	s_or_b32 exec_lo, exec_lo, s29
	v_lshlrev_b32_e32 v3, 16, v14
	s_delay_alu instid0(VALU_DEP_2) | instskip(SKIP_1) | instid1(VALU_DEP_3)
	v_lshlrev_b32_e32 v10, 20, v10
	v_lshl_add_u32 v2, v2, 23, 0x3c000000
	v_and_b32_e32 v3, 0x80000000, v3
	s_delay_alu instid0(VALU_DEP_1)
	v_or3_b32 v2, v10, v3, v2
.LBB4_8624:                             ;   in Loop: Header=BB4_7930 Depth=2
	s_or_b32 exec_lo, exec_lo, s28
.LBB4_8625:                             ;   in Loop: Header=BB4_7930 Depth=2
	s_delay_alu instid0(SALU_CYCLE_1)
	s_or_b32 exec_lo, exec_lo, s27
.LBB4_8626:                             ;   in Loop: Header=BB4_7930 Depth=2
	s_delay_alu instid0(SALU_CYCLE_1) | instskip(NEXT) | instid1(VALU_DEP_1)
	s_or_b32 exec_lo, exec_lo, s10
	v_mul_f32_e32 v3, s26, v2
                                        ; implicit-def: $vgpr75
	s_mov_b32 s10, exec_lo
	s_delay_alu instid0(VALU_DEP_1) | instskip(SKIP_1) | instid1(VALU_DEP_2)
	v_and_b32_e32 v14, 0x7f800000, v3
	v_lshrrev_b32_e32 v2, 24, v3
	v_cmpx_ne_u64_e32 0x7f800000, v[14:15]
	s_xor_b32 s27, exec_lo, s10
	s_cbranch_execz .LBB4_8640
; %bb.8627:                             ;   in Loop: Header=BB4_7930 Depth=2
	v_and_b32_e32 v14, 0x7fffffff, v3
	v_and_b32_e32 v2, 0x80, v2
                                        ; implicit-def: $vgpr75
	s_mov_b32 s10, exec_lo
	s_delay_alu instid0(VALU_DEP_2)
	v_cmpx_gt_u64_e32 0x43e00001, v[14:15]
	s_xor_b32 s28, exec_lo, s10
	s_cbranch_execz .LBB4_8637
; %bb.8628:                             ;   in Loop: Header=BB4_7930 Depth=2
	v_mov_b32_e32 v75, 0
	s_mov_b32 s29, exec_lo
	v_cmpx_ne_u32_e32 0, v3
	s_cbranch_execz .LBB4_8636
; %bb.8629:                             ;   in Loop: Header=BB4_7930 Depth=2
	v_bfe_u32 v96, v3, 23, 8
	v_and_b32_e32 v3, 0x7fffff, v3
	s_delay_alu instid0(VALU_DEP_2) | instskip(SKIP_1) | instid1(VALU_DEP_3)
	v_sub_nc_u32_e32 v10, 0x79, v96
	v_cmp_gt_u32_e32 vcc_lo, 0x7a, v96
	v_or_b32_e32 v14, 0x800000, v3
	s_delay_alu instid0(VALU_DEP_3) | instskip(SKIP_1) | instid1(VALU_DEP_2)
	v_cndmask_b32_e32 v10, 0, v10, vcc_lo
	v_cmp_eq_u32_e32 vcc_lo, 0, v96
	v_cndmask_b32_e64 v97, v10, 0x78, vcc_lo
	s_delay_alu instid0(VALU_DEP_1) | instskip(SKIP_1) | instid1(VALU_DEP_2)
	v_dual_cndmask_b32 v14, v14, v3, vcc_lo :: v_dual_add_nc_u32 v10, 20, v97
	v_add_nc_u32_e32 v20, 19, v97
	v_lshlrev_b64_e64 v[10:11], v10, -1
	s_delay_alu instid0(VALU_DEP_2) | instskip(NEXT) | instid1(VALU_DEP_2)
	v_lshlrev_b64_e64 v[86:87], v20, 1
	v_bfi_b32 v77, v11, 0, 0
	s_delay_alu instid0(VALU_DEP_3) | instskip(SKIP_1) | instid1(VALU_DEP_2)
	v_bfi_b32 v76, v10, 0, v14
	v_lshrrev_b64 v[10:11], v97, v[14:15]
	v_cmp_eq_u64_e64 s10, v[76:77], v[86:87]
	s_delay_alu instid0(VALU_DEP_2)
	v_mov_b64_e32 v[86:87], v[10:11]
	s_and_saveexec_b32 s40, s10
; %bb.8630:                             ;   in Loop: Header=BB4_7930 Depth=2
	v_bfe_u32 v14, v10, 20, 1
	s_delay_alu instid0(VALU_DEP_1) | instskip(NEXT) | instid1(VALU_DEP_1)
	v_add_nc_u64_e32 v[86:87], v[10:11], v[14:15]
	v_add_nc_u64_e32 v[86:87], -1, v[86:87]
; %bb.8631:                             ;   in Loop: Header=BB4_7930 Depth=2
	s_or_b32 exec_lo, exec_lo, s40
	v_add_nc_u32_e32 v3, 0xffffff81, v96
	v_lshrrev_b32_e32 v11, 23, v10
	s_mov_b32 s10, exec_lo
	s_delay_alu instid0(VALU_DEP_2) | instskip(NEXT) | instid1(VALU_DEP_1)
	v_cndmask_b32_e64 v3, v3, 0xffffff82, vcc_lo
	v_add3_u32 v87, v97, v3, v11
	v_and_b32_e32 v3, 0xfffff, v86
	s_delay_alu instid0(VALU_DEP_1) | instskip(NEXT) | instid1(VALU_DEP_1)
	v_dual_add_nc_u32 v86, 6, v87 :: v_dual_add_nc_u32 v14, v3, v10
                                        ; implicit-def: $vgpr10_vgpr11
                                        ; implicit-def: $vgpr3
	v_cmpx_ne_u32_e32 0, v86
	s_xor_b32 s10, exec_lo, s10
; %bb.8632:                             ;   in Loop: Header=BB4_7930 Depth=2
	s_delay_alu instid0(VALU_DEP_2) | instskip(SKIP_2) | instid1(VALU_DEP_2)
	v_cmp_lt_u64_e32 vcc_lo, 0xffffff, v[14:15]
	v_add_nc_u32_e32 v3, 7, v87
	v_cndmask_b32_e64 v10, 0, 1, vcc_lo
	v_cndmask_b32_e32 v3, v86, v3, vcc_lo
	s_delay_alu instid0(VALU_DEP_2)
	v_lshrrev_b64 v[10:11], v10, v[14:15]
; %bb.8633:                             ;   in Loop: Header=BB4_7930 Depth=2
	s_and_not1_saveexec_b32 s10, s10
; %bb.8634:                             ;   in Loop: Header=BB4_7930 Depth=2
	v_mov_b64_e32 v[10:11], v[14:15]
	v_bfe_u32 v3, v14, 23, 1
; %bb.8635:                             ;   in Loop: Header=BB4_7930 Depth=2
	s_or_b32 exec_lo, exec_lo, s10
	s_delay_alu instid0(VALU_DEP_2) | instskip(NEXT) | instid1(VALU_DEP_2)
	v_lshrrev_b64 v[10:11], 20, v[10:11]
	v_cmp_gt_i32_e32 vcc_lo, 16, v3
	v_min_i32_e32 v14, 15, v3
	v_cmp_eq_u32_e64 s10, 0, v3
	s_delay_alu instid0(VALU_DEP_4) | instskip(NEXT) | instid1(VALU_DEP_3)
	v_cndmask_b32_e32 v10, 7, v10, vcc_lo
	v_dual_cndmask_b32 v11, 0, v11 :: v_dual_lshlrev_b32 v14, 3, v14
	s_delay_alu instid0(VALU_DEP_1) | instskip(NEXT) | instid1(VALU_DEP_2)
	v_and_b32_e32 v14, 0xf8, v14
	v_cmp_eq_u64_e32 vcc_lo, 0, v[10:11]
	s_delay_alu instid0(VALU_DEP_2)
	v_and_or_b32 v3, v10, 7, v14
	s_and_b32 s10, s10, vcc_lo
	s_delay_alu instid0(VALU_DEP_1) | instid1(SALU_CYCLE_1)
	v_cndmask_b32_e64 v3, v3, 0, s10
	s_delay_alu instid0(VALU_DEP_1)
	v_or_b32_e32 v75, v3, v2
.LBB4_8636:                             ;   in Loop: Header=BB4_7930 Depth=2
	s_or_b32 exec_lo, exec_lo, s29
                                        ; implicit-def: $vgpr2
.LBB4_8637:                             ;   in Loop: Header=BB4_7930 Depth=2
	s_and_not1_saveexec_b32 s10, s28
; %bb.8638:                             ;   in Loop: Header=BB4_7930 Depth=2
	v_or_b32_e32 v75, 0x7e, v2
; %bb.8639:                             ;   in Loop: Header=BB4_7930 Depth=2
	s_or_b32 exec_lo, exec_lo, s10
                                        ; implicit-def: $vgpr2
.LBB4_8640:                             ;   in Loop: Header=BB4_7930 Depth=2
	s_and_not1_saveexec_b32 s10, s27
; %bb.8641:                             ;   in Loop: Header=BB4_7930 Depth=2
	v_or_b32_e32 v75, 0x7f, v2
; %bb.8642:                             ;   in Loop: Header=BB4_7930 Depth=2
	s_or_b32 exec_lo, exec_lo, s10
	v_dual_mov_b32 v3, 0 :: v_dual_lshrrev_b32 v2, 16, v13
	s_mov_b32 s10, exec_lo
	s_delay_alu instid0(VALU_DEP_1) | instskip(NEXT) | instid1(VALU_DEP_1)
	v_and_b32_e32 v10, 0xff, v2
	v_cmpx_ne_u16_e32 0, v10
	s_cbranch_execz .LBB4_8650
; %bb.8643:                             ;   in Loop: Header=BB4_7930 Depth=2
	v_bfrev_b32_e32 v3, 1
	s_mov_b32 s27, exec_lo
	v_cmpx_ne_u16_e32 0x80, v10
	s_cbranch_execz .LBB4_8649
; %bb.8644:                             ;   in Loop: Header=BB4_7930 Depth=2
	v_bfe_u32 v10, v13, 16, 7
	v_mov_b32_e32 v3, 0x7f800001
	s_mov_b32 s28, exec_lo
	s_delay_alu instid0(VALU_DEP_2)
	v_cmpx_ne_u32_e32 0x7f, v10
	s_cbranch_execz .LBB4_8648
; %bb.8645:                             ;   in Loop: Header=BB4_7930 Depth=2
	v_and_b32_e32 v14, 7, v2
	v_lshrrev_b32_e32 v3, 3, v10
	s_mov_b32 s29, exec_lo
	v_cmpx_gt_u32_e32 8, v10
; %bb.8646:                             ;   in Loop: Header=BB4_7930 Depth=2
	s_delay_alu instid0(VALU_DEP_3) | instskip(NEXT) | instid1(VALU_DEP_1)
	v_clz_i32_u32_e32 v3, v14
	v_min_u32_e32 v3, 32, v3
	s_delay_alu instid0(VALU_DEP_1) | instskip(NEXT) | instid1(VALU_DEP_1)
	v_subrev_nc_u32_e32 v10, 28, v3
	v_lshlrev_b64_e32 v[10:11], v10, v[14:15]
	s_delay_alu instid0(VALU_DEP_1)
	v_dual_sub_nc_u32 v3, 29, v3 :: v_dual_bitop2_b32 v14, 7, v10 bitop3:0x40
; %bb.8647:                             ;   in Loop: Header=BB4_7930 Depth=2
	s_or_b32 exec_lo, exec_lo, s29
	v_lshlrev_b32_e32 v2, 24, v2
	s_delay_alu instid0(VALU_DEP_2) | instskip(NEXT) | instid1(VALU_DEP_3)
	v_lshlrev_b32_e32 v10, 20, v14
	v_lshl_add_u32 v3, v3, 23, 0x3c000000
	s_delay_alu instid0(VALU_DEP_3) | instskip(NEXT) | instid1(VALU_DEP_1)
	v_and_b32_e32 v2, 0x80000000, v2
	v_or3_b32 v3, v10, v2, v3
.LBB4_8648:                             ;   in Loop: Header=BB4_7930 Depth=2
	s_or_b32 exec_lo, exec_lo, s28
.LBB4_8649:                             ;   in Loop: Header=BB4_7930 Depth=2
	s_delay_alu instid0(SALU_CYCLE_1)
	s_or_b32 exec_lo, exec_lo, s27
.LBB4_8650:                             ;   in Loop: Header=BB4_7930 Depth=2
	s_delay_alu instid0(SALU_CYCLE_1) | instskip(NEXT) | instid1(VALU_DEP_1)
	s_or_b32 exec_lo, exec_lo, s10
	v_mul_f32_e32 v3, s26, v3
                                        ; implicit-def: $vgpr76
	s_mov_b32 s10, exec_lo
	s_delay_alu instid0(VALU_DEP_1) | instskip(SKIP_1) | instid1(VALU_DEP_2)
	v_and_b32_e32 v14, 0x7f800000, v3
	v_lshrrev_b32_e32 v2, 24, v3
	v_cmpx_ne_u64_e32 0x7f800000, v[14:15]
	s_xor_b32 s27, exec_lo, s10
	s_cbranch_execz .LBB4_8664
; %bb.8651:                             ;   in Loop: Header=BB4_7930 Depth=2
	v_and_b32_e32 v14, 0x7fffffff, v3
	v_and_b32_e32 v2, 0x80, v2
                                        ; implicit-def: $vgpr76
	s_mov_b32 s10, exec_lo
	s_delay_alu instid0(VALU_DEP_2)
	v_cmpx_gt_u64_e32 0x43e00001, v[14:15]
	s_xor_b32 s28, exec_lo, s10
	s_cbranch_execz .LBB4_8661
; %bb.8652:                             ;   in Loop: Header=BB4_7930 Depth=2
	v_mov_b32_e32 v76, 0
	s_mov_b32 s29, exec_lo
	v_cmpx_ne_u32_e32 0, v3
	s_cbranch_execz .LBB4_8660
; %bb.8653:                             ;   in Loop: Header=BB4_7930 Depth=2
	v_bfe_u32 v96, v3, 23, 8
	v_and_b32_e32 v3, 0x7fffff, v3
	s_delay_alu instid0(VALU_DEP_2) | instskip(SKIP_1) | instid1(VALU_DEP_3)
	v_sub_nc_u32_e32 v10, 0x79, v96
	v_cmp_gt_u32_e32 vcc_lo, 0x7a, v96
	v_or_b32_e32 v14, 0x800000, v3
	s_delay_alu instid0(VALU_DEP_3) | instskip(SKIP_1) | instid1(VALU_DEP_2)
	v_cndmask_b32_e32 v10, 0, v10, vcc_lo
	v_cmp_eq_u32_e32 vcc_lo, 0, v96
	v_cndmask_b32_e64 v97, v10, 0x78, vcc_lo
	s_delay_alu instid0(VALU_DEP_1) | instskip(SKIP_1) | instid1(VALU_DEP_2)
	v_dual_cndmask_b32 v14, v14, v3, vcc_lo :: v_dual_add_nc_u32 v10, 20, v97
	v_add_nc_u32_e32 v20, 19, v97
	v_lshlrev_b64_e64 v[10:11], v10, -1
	s_delay_alu instid0(VALU_DEP_2) | instskip(NEXT) | instid1(VALU_DEP_2)
	v_lshlrev_b64_e64 v[86:87], v20, 1
	v_bfi_b32 v77, v11, 0, 0
	s_delay_alu instid0(VALU_DEP_3) | instskip(SKIP_1) | instid1(VALU_DEP_2)
	v_bfi_b32 v76, v10, 0, v14
	v_lshrrev_b64 v[10:11], v97, v[14:15]
	v_cmp_eq_u64_e64 s10, v[76:77], v[86:87]
	s_delay_alu instid0(VALU_DEP_2)
	v_mov_b64_e32 v[86:87], v[10:11]
	s_and_saveexec_b32 s40, s10
; %bb.8654:                             ;   in Loop: Header=BB4_7930 Depth=2
	v_bfe_u32 v14, v10, 20, 1
	s_delay_alu instid0(VALU_DEP_1) | instskip(NEXT) | instid1(VALU_DEP_1)
	v_add_nc_u64_e32 v[86:87], v[10:11], v[14:15]
	v_add_nc_u64_e32 v[86:87], -1, v[86:87]
; %bb.8655:                             ;   in Loop: Header=BB4_7930 Depth=2
	s_or_b32 exec_lo, exec_lo, s40
	v_add_nc_u32_e32 v3, 0xffffff81, v96
	v_lshrrev_b32_e32 v11, 23, v10
	s_mov_b32 s10, exec_lo
	s_delay_alu instid0(VALU_DEP_2) | instskip(NEXT) | instid1(VALU_DEP_1)
	v_cndmask_b32_e64 v3, v3, 0xffffff82, vcc_lo
	v_add3_u32 v87, v97, v3, v11
	v_and_b32_e32 v3, 0xfffff, v86
	s_delay_alu instid0(VALU_DEP_1) | instskip(NEXT) | instid1(VALU_DEP_1)
	v_dual_add_nc_u32 v86, 6, v87 :: v_dual_add_nc_u32 v14, v3, v10
                                        ; implicit-def: $vgpr10_vgpr11
                                        ; implicit-def: $vgpr3
	v_cmpx_ne_u32_e32 0, v86
	s_xor_b32 s10, exec_lo, s10
; %bb.8656:                             ;   in Loop: Header=BB4_7930 Depth=2
	s_delay_alu instid0(VALU_DEP_2) | instskip(SKIP_2) | instid1(VALU_DEP_2)
	v_cmp_lt_u64_e32 vcc_lo, 0xffffff, v[14:15]
	v_add_nc_u32_e32 v3, 7, v87
	v_cndmask_b32_e64 v10, 0, 1, vcc_lo
	v_cndmask_b32_e32 v3, v86, v3, vcc_lo
	s_delay_alu instid0(VALU_DEP_2)
	v_lshrrev_b64 v[10:11], v10, v[14:15]
; %bb.8657:                             ;   in Loop: Header=BB4_7930 Depth=2
	s_and_not1_saveexec_b32 s10, s10
; %bb.8658:                             ;   in Loop: Header=BB4_7930 Depth=2
	v_mov_b64_e32 v[10:11], v[14:15]
	v_bfe_u32 v3, v14, 23, 1
; %bb.8659:                             ;   in Loop: Header=BB4_7930 Depth=2
	s_or_b32 exec_lo, exec_lo, s10
	s_delay_alu instid0(VALU_DEP_2) | instskip(NEXT) | instid1(VALU_DEP_2)
	v_lshrrev_b64 v[10:11], 20, v[10:11]
	v_cmp_gt_i32_e32 vcc_lo, 16, v3
	v_min_i32_e32 v14, 15, v3
	v_cmp_eq_u32_e64 s10, 0, v3
	s_delay_alu instid0(VALU_DEP_4) | instskip(NEXT) | instid1(VALU_DEP_3)
	v_cndmask_b32_e32 v10, 7, v10, vcc_lo
	v_dual_cndmask_b32 v11, 0, v11 :: v_dual_lshlrev_b32 v14, 3, v14
	s_delay_alu instid0(VALU_DEP_1) | instskip(NEXT) | instid1(VALU_DEP_2)
	v_and_b32_e32 v14, 0xf8, v14
	v_cmp_eq_u64_e32 vcc_lo, 0, v[10:11]
	s_delay_alu instid0(VALU_DEP_2)
	v_and_or_b32 v3, v10, 7, v14
	s_and_b32 s10, s10, vcc_lo
	s_delay_alu instid0(VALU_DEP_1) | instid1(SALU_CYCLE_1)
	v_cndmask_b32_e64 v3, v3, 0, s10
	s_delay_alu instid0(VALU_DEP_1)
	v_or_b32_e32 v76, v3, v2
.LBB4_8660:                             ;   in Loop: Header=BB4_7930 Depth=2
	s_or_b32 exec_lo, exec_lo, s29
                                        ; implicit-def: $vgpr2
.LBB4_8661:                             ;   in Loop: Header=BB4_7930 Depth=2
	s_and_not1_saveexec_b32 s10, s28
; %bb.8662:                             ;   in Loop: Header=BB4_7930 Depth=2
	v_or_b32_e32 v76, 0x7e, v2
; %bb.8663:                             ;   in Loop: Header=BB4_7930 Depth=2
	s_or_b32 exec_lo, exec_lo, s10
                                        ; implicit-def: $vgpr2
.LBB4_8664:                             ;   in Loop: Header=BB4_7930 Depth=2
	s_and_not1_saveexec_b32 s10, s27
; %bb.8665:                             ;   in Loop: Header=BB4_7930 Depth=2
	v_or_b32_e32 v76, 0x7f, v2
; %bb.8666:                             ;   in Loop: Header=BB4_7930 Depth=2
	s_or_b32 exec_lo, exec_lo, s10
	v_mov_b32_e32 v3, 0
	s_mov_b32 s10, exec_lo
	v_cmpx_lt_u64_e64 s[12:13], v[12:13]
	s_cbranch_execz .LBB4_8674
; %bb.8667:                             ;   in Loop: Header=BB4_7930 Depth=2
	v_lshrrev_b32_e32 v2, 24, v13
	v_bfrev_b32_e32 v3, 1
	s_mov_b32 s27, exec_lo
	s_delay_alu instid0(VALU_DEP_2)
	v_cmpx_ne_u32_e32 0x80, v2
	s_cbranch_execz .LBB4_8673
; %bb.8668:                             ;   in Loop: Header=BB4_7930 Depth=2
	v_bfe_u32 v10, v13, 24, 7
	v_mov_b32_e32 v3, 0x7f800001
	s_mov_b32 s28, exec_lo
	s_delay_alu instid0(VALU_DEP_2)
	v_cmpx_ne_u32_e32 0x7f, v10
	s_cbranch_execz .LBB4_8672
; %bb.8669:                             ;   in Loop: Header=BB4_7930 Depth=2
	v_and_b32_e32 v14, 7, v2
	v_lshrrev_b32_e32 v3, 3, v10
	s_mov_b32 s29, exec_lo
	v_cmpx_gt_u32_e32 8, v10
; %bb.8670:                             ;   in Loop: Header=BB4_7930 Depth=2
	s_delay_alu instid0(VALU_DEP_3) | instskip(NEXT) | instid1(VALU_DEP_1)
	v_clz_i32_u32_e32 v3, v14
	v_min_u32_e32 v3, 32, v3
	s_delay_alu instid0(VALU_DEP_1) | instskip(NEXT) | instid1(VALU_DEP_1)
	v_subrev_nc_u32_e32 v10, 28, v3
	v_lshlrev_b64_e32 v[10:11], v10, v[14:15]
	s_delay_alu instid0(VALU_DEP_1)
	v_dual_sub_nc_u32 v3, 29, v3 :: v_dual_bitop2_b32 v14, 7, v10 bitop3:0x40
; %bb.8671:                             ;   in Loop: Header=BB4_7930 Depth=2
	s_or_b32 exec_lo, exec_lo, s29
	v_lshlrev_b32_e32 v2, 24, v2
	s_delay_alu instid0(VALU_DEP_2) | instskip(NEXT) | instid1(VALU_DEP_3)
	v_lshlrev_b32_e32 v10, 20, v14
	v_lshl_add_u32 v3, v3, 23, 0x3c000000
	s_delay_alu instid0(VALU_DEP_3) | instskip(NEXT) | instid1(VALU_DEP_1)
	v_and_b32_e32 v2, 0x80000000, v2
	v_or3_b32 v3, v10, v2, v3
.LBB4_8672:                             ;   in Loop: Header=BB4_7930 Depth=2
	s_or_b32 exec_lo, exec_lo, s28
.LBB4_8673:                             ;   in Loop: Header=BB4_7930 Depth=2
	s_delay_alu instid0(SALU_CYCLE_1)
	s_or_b32 exec_lo, exec_lo, s27
.LBB4_8674:                             ;   in Loop: Header=BB4_7930 Depth=2
	s_delay_alu instid0(SALU_CYCLE_1) | instskip(NEXT) | instid1(VALU_DEP_1)
	s_or_b32 exec_lo, exec_lo, s10
	v_mul_f32_e32 v3, s26, v3
                                        ; implicit-def: $vgpr77
	s_mov_b32 s10, exec_lo
	s_delay_alu instid0(VALU_DEP_1) | instskip(SKIP_1) | instid1(VALU_DEP_2)
	v_and_b32_e32 v14, 0x7f800000, v3
	v_lshrrev_b32_e32 v2, 24, v3
	v_cmpx_ne_u64_e32 0x7f800000, v[14:15]
	s_xor_b32 s27, exec_lo, s10
	s_cbranch_execz .LBB4_8688
; %bb.8675:                             ;   in Loop: Header=BB4_7930 Depth=2
	v_and_b32_e32 v14, 0x7fffffff, v3
	v_and_b32_e32 v2, 0x80, v2
                                        ; implicit-def: $vgpr77
	s_mov_b32 s10, exec_lo
	s_delay_alu instid0(VALU_DEP_2)
	v_cmpx_gt_u64_e32 0x43e00001, v[14:15]
	s_xor_b32 s28, exec_lo, s10
	s_cbranch_execz .LBB4_8685
; %bb.8676:                             ;   in Loop: Header=BB4_7930 Depth=2
	v_mov_b32_e32 v77, 0
	s_mov_b32 s29, exec_lo
	v_cmpx_ne_u32_e32 0, v3
	s_cbranch_execz .LBB4_8684
; %bb.8677:                             ;   in Loop: Header=BB4_7930 Depth=2
	v_bfe_u32 v86, v3, 23, 8
	v_and_b32_e32 v3, 0x7fffff, v3
	s_delay_alu instid0(VALU_DEP_2) | instskip(SKIP_1) | instid1(VALU_DEP_3)
	v_sub_nc_u32_e32 v10, 0x79, v86
	v_cmp_gt_u32_e32 vcc_lo, 0x7a, v86
	v_or_b32_e32 v12, 0x800000, v3
	s_delay_alu instid0(VALU_DEP_3) | instskip(SKIP_1) | instid1(VALU_DEP_2)
	v_cndmask_b32_e32 v10, 0, v10, vcc_lo
	v_cmp_eq_u32_e32 vcc_lo, 0, v86
	v_cndmask_b32_e64 v87, v10, 0x78, vcc_lo
	s_delay_alu instid0(VALU_DEP_4) | instskip(NEXT) | instid1(VALU_DEP_2)
	v_cndmask_b32_e32 v14, v12, v3, vcc_lo
	v_dual_add_nc_u32 v10, 20, v87 :: v_dual_add_nc_u32 v13, 19, v87
	s_delay_alu instid0(VALU_DEP_1) | instskip(NEXT) | instid1(VALU_DEP_2)
	v_lshlrev_b64_e64 v[10:11], v10, -1
	v_lshlrev_b64_e64 v[12:13], v13, 1
	s_delay_alu instid0(VALU_DEP_2) | instskip(NEXT) | instid1(VALU_DEP_3)
	v_bfi_b32 v97, v11, 0, 0
	v_bfi_b32 v96, v10, 0, v14
	v_lshrrev_b64 v[10:11], v87, v[14:15]
	s_delay_alu instid0(VALU_DEP_2) | instskip(NEXT) | instid1(VALU_DEP_2)
	v_cmp_eq_u64_e64 s10, v[96:97], v[12:13]
	v_mov_b64_e32 v[12:13], v[10:11]
	s_and_saveexec_b32 s40, s10
; %bb.8678:                             ;   in Loop: Header=BB4_7930 Depth=2
	v_bfe_u32 v14, v10, 20, 1
	s_delay_alu instid0(VALU_DEP_1) | instskip(NEXT) | instid1(VALU_DEP_1)
	v_add_nc_u64_e32 v[12:13], v[10:11], v[14:15]
	v_add_nc_u64_e32 v[12:13], -1, v[12:13]
; %bb.8679:                             ;   in Loop: Header=BB4_7930 Depth=2
	s_or_b32 exec_lo, exec_lo, s40
	v_add_nc_u32_e32 v3, 0xffffff81, v86
	v_lshrrev_b32_e32 v11, 23, v10
	s_mov_b32 s10, exec_lo
	s_delay_alu instid0(VALU_DEP_2) | instskip(NEXT) | instid1(VALU_DEP_1)
	v_cndmask_b32_e64 v3, v3, 0xffffff82, vcc_lo
	v_add3_u32 v13, v87, v3, v11
	v_and_b32_e32 v3, 0xfffff, v12
	s_delay_alu instid0(VALU_DEP_1) | instskip(NEXT) | instid1(VALU_DEP_1)
	v_dual_add_nc_u32 v12, 6, v13 :: v_dual_add_nc_u32 v14, v3, v10
                                        ; implicit-def: $vgpr10_vgpr11
                                        ; implicit-def: $vgpr3
	v_cmpx_ne_u32_e32 0, v12
	s_xor_b32 s10, exec_lo, s10
; %bb.8680:                             ;   in Loop: Header=BB4_7930 Depth=2
	s_delay_alu instid0(VALU_DEP_2) | instskip(SKIP_2) | instid1(VALU_DEP_2)
	v_cmp_lt_u64_e32 vcc_lo, 0xffffff, v[14:15]
	v_add_nc_u32_e32 v3, 7, v13
	v_cndmask_b32_e64 v10, 0, 1, vcc_lo
	v_cndmask_b32_e32 v3, v12, v3, vcc_lo
	s_delay_alu instid0(VALU_DEP_2)
	v_lshrrev_b64 v[10:11], v10, v[14:15]
; %bb.8681:                             ;   in Loop: Header=BB4_7930 Depth=2
	s_and_not1_saveexec_b32 s10, s10
; %bb.8682:                             ;   in Loop: Header=BB4_7930 Depth=2
	v_mov_b64_e32 v[10:11], v[14:15]
	v_bfe_u32 v3, v14, 23, 1
; %bb.8683:                             ;   in Loop: Header=BB4_7930 Depth=2
	s_or_b32 exec_lo, exec_lo, s10
	s_delay_alu instid0(VALU_DEP_2) | instskip(NEXT) | instid1(VALU_DEP_2)
	v_lshrrev_b64 v[10:11], 20, v[10:11]
	v_cmp_gt_i32_e32 vcc_lo, 16, v3
	v_min_i32_e32 v12, 15, v3
	v_cmp_eq_u32_e64 s10, 0, v3
	s_delay_alu instid0(VALU_DEP_2) | instskip(SKIP_1) | instid1(VALU_DEP_2)
	v_dual_cndmask_b32 v10, 7, v10, vcc_lo :: v_dual_lshlrev_b32 v12, 3, v12
	v_cndmask_b32_e32 v11, 0, v11, vcc_lo
	v_and_b32_e32 v12, 0xf8, v12
	s_delay_alu instid0(VALU_DEP_2) | instskip(NEXT) | instid1(VALU_DEP_2)
	v_cmp_eq_u64_e32 vcc_lo, 0, v[10:11]
	v_and_or_b32 v3, v10, 7, v12
	s_and_b32 s10, s10, vcc_lo
	s_delay_alu instid0(VALU_DEP_1) | instid1(SALU_CYCLE_1)
	v_cndmask_b32_e64 v3, v3, 0, s10
	s_delay_alu instid0(VALU_DEP_1)
	v_or_b32_e32 v77, v3, v2
.LBB4_8684:                             ;   in Loop: Header=BB4_7930 Depth=2
	s_or_b32 exec_lo, exec_lo, s29
                                        ; implicit-def: $vgpr2
.LBB4_8685:                             ;   in Loop: Header=BB4_7930 Depth=2
	s_and_not1_saveexec_b32 s10, s28
; %bb.8686:                             ;   in Loop: Header=BB4_7930 Depth=2
	v_or_b32_e32 v77, 0x7e, v2
; %bb.8687:                             ;   in Loop: Header=BB4_7930 Depth=2
	s_or_b32 exec_lo, exec_lo, s10
                                        ; implicit-def: $vgpr2
.LBB4_8688:                             ;   in Loop: Header=BB4_7930 Depth=2
	s_and_not1_saveexec_b32 s10, s27
; %bb.8689:                             ;   in Loop: Header=BB4_7930 Depth=2
	v_or_b32_e32 v77, 0x7f, v2
; %bb.8690:                             ;   in Loop: Header=BB4_7930 Depth=2
	s_or_b32 exec_lo, exec_lo, s10
	global_load_b128 v[10:13], v[84:85], off offset:1024 th:TH_LOAD_NT
	v_mov_b32_e32 v2, 0
	s_mov_b32 s10, exec_lo
	s_wait_loadcnt 0x0
	v_and_b32_e32 v3, 0xff, v10
	s_wait_xcnt 0x0
	s_delay_alu instid0(VALU_DEP_1)
	v_cmpx_ne_u16_e32 0, v3
	s_cbranch_execz .LBB4_8696
; %bb.8691:                             ;   in Loop: Header=BB4_7930 Depth=2
	v_bfrev_b32_e32 v2, 1
	s_mov_b32 s27, exec_lo
	v_cmpx_ne_u16_e32 0x80, v3
	s_cbranch_execz .LBB4_8695
; %bb.8692:                             ;   in Loop: Header=BB4_7930 Depth=2
	v_and_b32_e32 v3, 0x7f, v10
	v_mov_b32_e32 v2, 0x7f800001
	s_mov_b32 s28, exec_lo
	s_delay_alu instid0(VALU_DEP_2)
	v_cmpx_ne_u32_e32 0x7f, v3
	s_cbranch_execz .LBB4_8694
; %bb.8693:                             ;   in Loop: Header=BB4_7930 Depth=2
	v_dual_lshrrev_b32 v14, 3, v3 :: v_dual_bitop2_b32 v2, 7, v10 bitop3:0x40
	v_cmp_gt_u32_e32 vcc_lo, 8, v3
	s_delay_alu instid0(VALU_DEP_2) | instskip(NEXT) | instid1(VALU_DEP_1)
	v_clz_i32_u32_e32 v2, v2
	v_min_u32_e32 v2, 32, v2
	s_delay_alu instid0(VALU_DEP_1) | instskip(SKIP_1) | instid1(VALU_DEP_1)
	v_subrev_nc_u32_e32 v20, 28, v2
	v_sub_nc_u32_e32 v2, 29, v2
	v_dual_cndmask_b32 v14, v14, v2, vcc_lo :: v_dual_cndmask_b32 v2, 0, v20, vcc_lo
	s_delay_alu instid0(VALU_DEP_1) | instskip(NEXT) | instid1(VALU_DEP_2)
	v_lshl_add_u32 v14, v14, 23, 0x3c000000
	v_lshlrev_b64_e32 v[2:3], v2, v[10:11]
	v_lshlrev_b32_e32 v3, 24, v10
	s_delay_alu instid0(VALU_DEP_1) | instskip(NEXT) | instid1(VALU_DEP_3)
	v_and_b32_e32 v3, 0x80000000, v3
	v_lshlrev_b32_e32 v2, 20, v2
	s_delay_alu instid0(VALU_DEP_1) | instskip(NEXT) | instid1(VALU_DEP_1)
	v_and_b32_e32 v2, 0x700000, v2
	v_or3_b32 v2, v2, v3, v14
.LBB4_8694:                             ;   in Loop: Header=BB4_7930 Depth=2
	s_or_b32 exec_lo, exec_lo, s28
.LBB4_8695:                             ;   in Loop: Header=BB4_7930 Depth=2
	s_delay_alu instid0(SALU_CYCLE_1)
	s_or_b32 exec_lo, exec_lo, s27
.LBB4_8696:                             ;   in Loop: Header=BB4_7930 Depth=2
	s_delay_alu instid0(SALU_CYCLE_1) | instskip(NEXT) | instid1(VALU_DEP_1)
	s_or_b32 exec_lo, exec_lo, s10
	v_mul_f32_e32 v3, s26, v2
                                        ; implicit-def: $vgpr78
	s_mov_b32 s10, exec_lo
	s_delay_alu instid0(VALU_DEP_1) | instskip(SKIP_1) | instid1(VALU_DEP_2)
	v_and_b32_e32 v14, 0x7f800000, v3
	v_lshrrev_b32_e32 v2, 24, v3
	v_cmpx_ne_u64_e32 0x7f800000, v[14:15]
	s_xor_b32 s27, exec_lo, s10
	s_cbranch_execz .LBB4_8710
; %bb.8697:                             ;   in Loop: Header=BB4_7930 Depth=2
	v_and_b32_e32 v14, 0x7fffffff, v3
	v_and_b32_e32 v2, 0x80, v2
                                        ; implicit-def: $vgpr78
	s_mov_b32 s10, exec_lo
	s_delay_alu instid0(VALU_DEP_2)
	v_cmpx_gt_u64_e32 0x43e00001, v[14:15]
	s_xor_b32 s28, exec_lo, s10
	s_cbranch_execz .LBB4_8707
; %bb.8698:                             ;   in Loop: Header=BB4_7930 Depth=2
	v_mov_b32_e32 v78, 0
	s_mov_b32 s29, exec_lo
	v_cmpx_ne_u32_e32 0, v3
	s_cbranch_execz .LBB4_8706
; %bb.8699:                             ;   in Loop: Header=BB4_7930 Depth=2
	v_bfe_u32 v98, v3, 23, 8
	v_and_b32_e32 v3, 0x7fffff, v3
	s_delay_alu instid0(VALU_DEP_2) | instskip(SKIP_1) | instid1(VALU_DEP_3)
	v_sub_nc_u32_e32 v14, 0x79, v98
	v_cmp_gt_u32_e32 vcc_lo, 0x7a, v98
	v_or_b32_e32 v20, 0x800000, v3
	s_delay_alu instid0(VALU_DEP_3) | instskip(SKIP_1) | instid1(VALU_DEP_2)
	v_cndmask_b32_e32 v14, 0, v14, vcc_lo
	v_cmp_eq_u32_e32 vcc_lo, 0, v98
	v_cndmask_b32_e64 v113, v14, 0x78, vcc_lo
	s_delay_alu instid0(VALU_DEP_1) | instskip(NEXT) | instid1(VALU_DEP_1)
	v_dual_add_nc_u32 v14, 20, v113 :: v_dual_add_nc_u32 v21, 19, v113
	v_lshlrev_b64_e64 v[86:87], v14, -1
	v_cndmask_b32_e32 v14, v20, v3, vcc_lo
	s_delay_alu instid0(VALU_DEP_3) | instskip(NEXT) | instid1(VALU_DEP_3)
	v_lshlrev_b64_e64 v[96:97], v21, 1
	v_bfi_b32 v79, v87, 0, 0
	s_delay_alu instid0(VALU_DEP_3) | instskip(SKIP_1) | instid1(VALU_DEP_2)
	v_bfi_b32 v78, v86, 0, v14
	v_lshrrev_b64 v[86:87], v113, v[14:15]
	v_cmp_eq_u64_e64 s10, v[78:79], v[96:97]
	s_delay_alu instid0(VALU_DEP_2)
	v_mov_b64_e32 v[96:97], v[86:87]
	s_and_saveexec_b32 s40, s10
; %bb.8700:                             ;   in Loop: Header=BB4_7930 Depth=2
	v_bfe_u32 v14, v86, 20, 1
	s_delay_alu instid0(VALU_DEP_1) | instskip(NEXT) | instid1(VALU_DEP_1)
	v_add_nc_u64_e32 v[96:97], v[86:87], v[14:15]
	v_add_nc_u64_e32 v[96:97], -1, v[96:97]
; %bb.8701:                             ;   in Loop: Header=BB4_7930 Depth=2
	s_or_b32 exec_lo, exec_lo, s40
	v_add_nc_u32_e32 v3, 0xffffff81, v98
	v_lshrrev_b32_e32 v14, 23, v86
	s_mov_b32 s10, exec_lo
	s_delay_alu instid0(VALU_DEP_2) | instskip(NEXT) | instid1(VALU_DEP_1)
	v_cndmask_b32_e64 v3, v3, 0xffffff82, vcc_lo
	v_add3_u32 v97, v113, v3, v14
	v_and_b32_e32 v3, 0xfffff, v96
	s_delay_alu instid0(VALU_DEP_1) | instskip(NEXT) | instid1(VALU_DEP_1)
	v_dual_add_nc_u32 v96, 6, v97 :: v_dual_add_nc_u32 v14, v3, v86
                                        ; implicit-def: $vgpr86_vgpr87
                                        ; implicit-def: $vgpr3
	v_cmpx_ne_u32_e32 0, v96
	s_xor_b32 s10, exec_lo, s10
; %bb.8702:                             ;   in Loop: Header=BB4_7930 Depth=2
	s_delay_alu instid0(VALU_DEP_2) | instskip(SKIP_2) | instid1(VALU_DEP_2)
	v_cmp_lt_u64_e32 vcc_lo, 0xffffff, v[14:15]
	v_add_nc_u32_e32 v3, 7, v97
	v_cndmask_b32_e64 v20, 0, 1, vcc_lo
	v_cndmask_b32_e32 v3, v96, v3, vcc_lo
	s_delay_alu instid0(VALU_DEP_2)
	v_lshrrev_b64 v[86:87], v20, v[14:15]
; %bb.8703:                             ;   in Loop: Header=BB4_7930 Depth=2
	s_and_not1_saveexec_b32 s10, s10
; %bb.8704:                             ;   in Loop: Header=BB4_7930 Depth=2
	v_mov_b64_e32 v[86:87], v[14:15]
	v_bfe_u32 v3, v14, 23, 1
; %bb.8705:                             ;   in Loop: Header=BB4_7930 Depth=2
	s_or_b32 exec_lo, exec_lo, s10
	s_delay_alu instid0(VALU_DEP_2) | instskip(NEXT) | instid1(VALU_DEP_2)
	v_lshrrev_b64 v[86:87], 20, v[86:87]
	v_cmp_gt_i32_e32 vcc_lo, 16, v3
	v_min_i32_e32 v14, 15, v3
	v_cmp_eq_u32_e64 s10, 0, v3
	s_delay_alu instid0(VALU_DEP_4) | instskip(NEXT) | instid1(VALU_DEP_3)
	v_cndmask_b32_e32 v86, 7, v86, vcc_lo
	v_dual_cndmask_b32 v87, 0, v87 :: v_dual_lshlrev_b32 v14, 3, v14
	s_delay_alu instid0(VALU_DEP_1) | instskip(NEXT) | instid1(VALU_DEP_2)
	v_and_b32_e32 v14, 0xf8, v14
	v_cmp_eq_u64_e32 vcc_lo, 0, v[86:87]
	s_delay_alu instid0(VALU_DEP_2)
	v_and_or_b32 v3, v86, 7, v14
	s_and_b32 s10, s10, vcc_lo
	s_delay_alu instid0(VALU_DEP_1) | instid1(SALU_CYCLE_1)
	v_cndmask_b32_e64 v3, v3, 0, s10
	s_delay_alu instid0(VALU_DEP_1)
	v_or_b32_e32 v78, v3, v2
.LBB4_8706:                             ;   in Loop: Header=BB4_7930 Depth=2
	s_or_b32 exec_lo, exec_lo, s29
                                        ; implicit-def: $vgpr2
.LBB4_8707:                             ;   in Loop: Header=BB4_7930 Depth=2
	s_and_not1_saveexec_b32 s10, s28
; %bb.8708:                             ;   in Loop: Header=BB4_7930 Depth=2
	v_or_b32_e32 v78, 0x7e, v2
; %bb.8709:                             ;   in Loop: Header=BB4_7930 Depth=2
	s_or_b32 exec_lo, exec_lo, s10
                                        ; implicit-def: $vgpr2
.LBB4_8710:                             ;   in Loop: Header=BB4_7930 Depth=2
	s_and_not1_saveexec_b32 s10, s27
; %bb.8711:                             ;   in Loop: Header=BB4_7930 Depth=2
	v_or_b32_e32 v78, 0x7f, v2
; %bb.8712:                             ;   in Loop: Header=BB4_7930 Depth=2
	s_or_b32 exec_lo, exec_lo, s10
	v_lshrrev_b16 v3, 8, v10
	v_mov_b32_e32 v2, 0
	s_mov_b32 s10, exec_lo
	s_delay_alu instid0(VALU_DEP_2)
	v_cmpx_ne_u16_e32 0, v3
	s_cbranch_execz .LBB4_8720
; %bb.8713:                             ;   in Loop: Header=BB4_7930 Depth=2
	v_bfrev_b32_e32 v2, 1
	s_mov_b32 s27, exec_lo
	v_cmpx_ne_u16_e32 0x80, v3
	s_cbranch_execz .LBB4_8719
; %bb.8714:                             ;   in Loop: Header=BB4_7930 Depth=2
	v_and_b32_e32 v14, 0xffff, v3
	v_mov_b32_e32 v2, 0x7f800001
	s_mov_b32 s28, exec_lo
	s_delay_alu instid0(VALU_DEP_2) | instskip(NEXT) | instid1(VALU_DEP_1)
	v_and_b32_e32 v3, 0x7f, v14
	v_cmpx_ne_u32_e32 0x7f, v3
	s_cbranch_execz .LBB4_8718
; %bb.8715:                             ;   in Loop: Header=BB4_7930 Depth=2
	v_dual_lshrrev_b32 v2, 3, v3 :: v_dual_bitop2_b32 v14, 7, v14 bitop3:0x40
	s_mov_b32 s29, exec_lo
	v_cmpx_gt_u32_e32 8, v3
; %bb.8716:                             ;   in Loop: Header=BB4_7930 Depth=2
	s_delay_alu instid0(VALU_DEP_2) | instskip(NEXT) | instid1(VALU_DEP_1)
	v_clz_i32_u32_e32 v2, v14
	v_min_u32_e32 v2, 32, v2
	s_delay_alu instid0(VALU_DEP_1) | instskip(SKIP_1) | instid1(VALU_DEP_2)
	v_subrev_nc_u32_e32 v3, 28, v2
	v_sub_nc_u32_e32 v2, 29, v2
	v_lshlrev_b64_e32 v[86:87], v3, v[14:15]
	s_delay_alu instid0(VALU_DEP_1)
	v_and_b32_e32 v14, 7, v86
; %bb.8717:                             ;   in Loop: Header=BB4_7930 Depth=2
	s_or_b32 exec_lo, exec_lo, s29
	v_lshlrev_b32_e32 v3, 16, v10
	s_delay_alu instid0(VALU_DEP_2) | instskip(SKIP_1) | instid1(VALU_DEP_3)
	v_lshlrev_b32_e32 v14, 20, v14
	v_lshl_add_u32 v2, v2, 23, 0x3c000000
	v_and_b32_e32 v3, 0x80000000, v3
	s_delay_alu instid0(VALU_DEP_1)
	v_or3_b32 v2, v14, v3, v2
.LBB4_8718:                             ;   in Loop: Header=BB4_7930 Depth=2
	s_or_b32 exec_lo, exec_lo, s28
.LBB4_8719:                             ;   in Loop: Header=BB4_7930 Depth=2
	s_delay_alu instid0(SALU_CYCLE_1)
	s_or_b32 exec_lo, exec_lo, s27
.LBB4_8720:                             ;   in Loop: Header=BB4_7930 Depth=2
	s_delay_alu instid0(SALU_CYCLE_1) | instskip(NEXT) | instid1(VALU_DEP_1)
	s_or_b32 exec_lo, exec_lo, s10
	v_mul_f32_e32 v3, s26, v2
                                        ; implicit-def: $vgpr79
	s_mov_b32 s10, exec_lo
	s_delay_alu instid0(VALU_DEP_1) | instskip(SKIP_1) | instid1(VALU_DEP_2)
	v_and_b32_e32 v14, 0x7f800000, v3
	v_lshrrev_b32_e32 v2, 24, v3
	v_cmpx_ne_u64_e32 0x7f800000, v[14:15]
	s_xor_b32 s27, exec_lo, s10
	s_cbranch_execz .LBB4_8734
; %bb.8721:                             ;   in Loop: Header=BB4_7930 Depth=2
	v_and_b32_e32 v14, 0x7fffffff, v3
	v_and_b32_e32 v2, 0x80, v2
                                        ; implicit-def: $vgpr79
	s_mov_b32 s10, exec_lo
	s_delay_alu instid0(VALU_DEP_2)
	v_cmpx_gt_u64_e32 0x43e00001, v[14:15]
	s_xor_b32 s28, exec_lo, s10
	s_cbranch_execz .LBB4_8731
; %bb.8722:                             ;   in Loop: Header=BB4_7930 Depth=2
	v_mov_b32_e32 v79, 0
	s_mov_b32 s29, exec_lo
	v_cmpx_ne_u32_e32 0, v3
	s_cbranch_execz .LBB4_8730
; %bb.8723:                             ;   in Loop: Header=BB4_7930 Depth=2
	v_bfe_u32 v98, v3, 23, 8
	v_and_b32_e32 v3, 0x7fffff, v3
	s_delay_alu instid0(VALU_DEP_2) | instskip(SKIP_1) | instid1(VALU_DEP_3)
	v_sub_nc_u32_e32 v14, 0x79, v98
	v_cmp_gt_u32_e32 vcc_lo, 0x7a, v98
	v_or_b32_e32 v20, 0x800000, v3
	s_delay_alu instid0(VALU_DEP_3) | instskip(SKIP_1) | instid1(VALU_DEP_2)
	v_cndmask_b32_e32 v14, 0, v14, vcc_lo
	v_cmp_eq_u32_e32 vcc_lo, 0, v98
	v_cndmask_b32_e64 v113, v14, 0x78, vcc_lo
	s_delay_alu instid0(VALU_DEP_1) | instskip(NEXT) | instid1(VALU_DEP_1)
	v_dual_add_nc_u32 v14, 20, v113 :: v_dual_add_nc_u32 v21, 19, v113
	v_lshlrev_b64_e64 v[86:87], v14, -1
	v_cndmask_b32_e32 v14, v20, v3, vcc_lo
	s_delay_alu instid0(VALU_DEP_3) | instskip(NEXT) | instid1(VALU_DEP_3)
	v_lshlrev_b64_e64 v[96:97], v21, 1
	v_bfi_b32 v89, v87, 0, 0
	s_delay_alu instid0(VALU_DEP_3) | instskip(SKIP_1) | instid1(VALU_DEP_2)
	v_bfi_b32 v88, v86, 0, v14
	v_lshrrev_b64 v[86:87], v113, v[14:15]
	v_cmp_eq_u64_e64 s10, v[88:89], v[96:97]
	s_delay_alu instid0(VALU_DEP_2)
	v_mov_b64_e32 v[96:97], v[86:87]
	s_and_saveexec_b32 s40, s10
; %bb.8724:                             ;   in Loop: Header=BB4_7930 Depth=2
	v_bfe_u32 v14, v86, 20, 1
	s_delay_alu instid0(VALU_DEP_1) | instskip(NEXT) | instid1(VALU_DEP_1)
	v_add_nc_u64_e32 v[96:97], v[86:87], v[14:15]
	v_add_nc_u64_e32 v[96:97], -1, v[96:97]
; %bb.8725:                             ;   in Loop: Header=BB4_7930 Depth=2
	s_or_b32 exec_lo, exec_lo, s40
	v_add_nc_u32_e32 v3, 0xffffff81, v98
	v_lshrrev_b32_e32 v14, 23, v86
	s_mov_b32 s10, exec_lo
	s_delay_alu instid0(VALU_DEP_2) | instskip(NEXT) | instid1(VALU_DEP_1)
	v_cndmask_b32_e64 v3, v3, 0xffffff82, vcc_lo
	v_add3_u32 v97, v113, v3, v14
	v_and_b32_e32 v3, 0xfffff, v96
	s_delay_alu instid0(VALU_DEP_1) | instskip(NEXT) | instid1(VALU_DEP_1)
	v_dual_add_nc_u32 v96, 6, v97 :: v_dual_add_nc_u32 v14, v3, v86
                                        ; implicit-def: $vgpr86_vgpr87
                                        ; implicit-def: $vgpr3
	v_cmpx_ne_u32_e32 0, v96
	s_xor_b32 s10, exec_lo, s10
; %bb.8726:                             ;   in Loop: Header=BB4_7930 Depth=2
	s_delay_alu instid0(VALU_DEP_2) | instskip(SKIP_2) | instid1(VALU_DEP_2)
	v_cmp_lt_u64_e32 vcc_lo, 0xffffff, v[14:15]
	v_add_nc_u32_e32 v3, 7, v97
	v_cndmask_b32_e64 v20, 0, 1, vcc_lo
	v_cndmask_b32_e32 v3, v96, v3, vcc_lo
	s_delay_alu instid0(VALU_DEP_2)
	v_lshrrev_b64 v[86:87], v20, v[14:15]
; %bb.8727:                             ;   in Loop: Header=BB4_7930 Depth=2
	s_and_not1_saveexec_b32 s10, s10
; %bb.8728:                             ;   in Loop: Header=BB4_7930 Depth=2
	v_mov_b64_e32 v[86:87], v[14:15]
	v_bfe_u32 v3, v14, 23, 1
; %bb.8729:                             ;   in Loop: Header=BB4_7930 Depth=2
	s_or_b32 exec_lo, exec_lo, s10
	s_delay_alu instid0(VALU_DEP_2) | instskip(NEXT) | instid1(VALU_DEP_2)
	v_lshrrev_b64 v[86:87], 20, v[86:87]
	v_cmp_gt_i32_e32 vcc_lo, 16, v3
	v_min_i32_e32 v14, 15, v3
	v_cmp_eq_u32_e64 s10, 0, v3
	s_delay_alu instid0(VALU_DEP_4) | instskip(NEXT) | instid1(VALU_DEP_3)
	v_cndmask_b32_e32 v86, 7, v86, vcc_lo
	v_dual_cndmask_b32 v87, 0, v87 :: v_dual_lshlrev_b32 v14, 3, v14
	s_delay_alu instid0(VALU_DEP_1) | instskip(NEXT) | instid1(VALU_DEP_2)
	v_and_b32_e32 v14, 0xf8, v14
	v_cmp_eq_u64_e32 vcc_lo, 0, v[86:87]
	s_delay_alu instid0(VALU_DEP_2)
	v_and_or_b32 v3, v86, 7, v14
	s_and_b32 s10, s10, vcc_lo
	s_delay_alu instid0(VALU_DEP_1) | instid1(SALU_CYCLE_1)
	v_cndmask_b32_e64 v3, v3, 0, s10
	s_delay_alu instid0(VALU_DEP_1)
	v_or_b32_e32 v79, v3, v2
.LBB4_8730:                             ;   in Loop: Header=BB4_7930 Depth=2
	s_or_b32 exec_lo, exec_lo, s29
                                        ; implicit-def: $vgpr2
.LBB4_8731:                             ;   in Loop: Header=BB4_7930 Depth=2
	s_and_not1_saveexec_b32 s10, s28
; %bb.8732:                             ;   in Loop: Header=BB4_7930 Depth=2
	v_or_b32_e32 v79, 0x7e, v2
; %bb.8733:                             ;   in Loop: Header=BB4_7930 Depth=2
	s_or_b32 exec_lo, exec_lo, s10
                                        ; implicit-def: $vgpr2
.LBB4_8734:                             ;   in Loop: Header=BB4_7930 Depth=2
	s_and_not1_saveexec_b32 s10, s27
; %bb.8735:                             ;   in Loop: Header=BB4_7930 Depth=2
	v_or_b32_e32 v79, 0x7f, v2
; %bb.8736:                             ;   in Loop: Header=BB4_7930 Depth=2
	s_or_b32 exec_lo, exec_lo, s10
	v_dual_mov_b32 v3, 0 :: v_dual_lshrrev_b32 v2, 16, v10
	s_mov_b32 s10, exec_lo
	s_delay_alu instid0(VALU_DEP_1) | instskip(NEXT) | instid1(VALU_DEP_1)
	v_and_b32_e32 v14, 0xff, v2
	v_cmpx_ne_u16_e32 0, v14
	s_cbranch_execz .LBB4_8744
; %bb.8737:                             ;   in Loop: Header=BB4_7930 Depth=2
	v_bfrev_b32_e32 v3, 1
	s_mov_b32 s27, exec_lo
	v_cmpx_ne_u16_e32 0x80, v14
	s_cbranch_execz .LBB4_8743
; %bb.8738:                             ;   in Loop: Header=BB4_7930 Depth=2
	v_bfe_u32 v86, v10, 16, 7
	v_mov_b32_e32 v3, 0x7f800001
	s_mov_b32 s28, exec_lo
	s_delay_alu instid0(VALU_DEP_2)
	v_cmpx_ne_u32_e32 0x7f, v86
	s_cbranch_execz .LBB4_8742
; %bb.8739:                             ;   in Loop: Header=BB4_7930 Depth=2
	v_and_b32_e32 v14, 7, v2
	v_lshrrev_b32_e32 v3, 3, v86
	s_mov_b32 s29, exec_lo
	v_cmpx_gt_u32_e32 8, v86
; %bb.8740:                             ;   in Loop: Header=BB4_7930 Depth=2
	s_delay_alu instid0(VALU_DEP_3) | instskip(NEXT) | instid1(VALU_DEP_1)
	v_clz_i32_u32_e32 v3, v14
	v_min_u32_e32 v3, 32, v3
	s_delay_alu instid0(VALU_DEP_1) | instskip(NEXT) | instid1(VALU_DEP_1)
	v_subrev_nc_u32_e32 v20, 28, v3
	v_lshlrev_b64_e32 v[86:87], v20, v[14:15]
	s_delay_alu instid0(VALU_DEP_1)
	v_dual_sub_nc_u32 v3, 29, v3 :: v_dual_bitop2_b32 v14, 7, v86 bitop3:0x40
; %bb.8741:                             ;   in Loop: Header=BB4_7930 Depth=2
	s_or_b32 exec_lo, exec_lo, s29
	v_lshlrev_b32_e32 v2, 24, v2
	s_delay_alu instid0(VALU_DEP_2) | instskip(NEXT) | instid1(VALU_DEP_3)
	v_lshlrev_b32_e32 v14, 20, v14
	v_lshl_add_u32 v3, v3, 23, 0x3c000000
	s_delay_alu instid0(VALU_DEP_3) | instskip(NEXT) | instid1(VALU_DEP_1)
	v_and_b32_e32 v2, 0x80000000, v2
	v_or3_b32 v3, v14, v2, v3
.LBB4_8742:                             ;   in Loop: Header=BB4_7930 Depth=2
	s_or_b32 exec_lo, exec_lo, s28
.LBB4_8743:                             ;   in Loop: Header=BB4_7930 Depth=2
	s_delay_alu instid0(SALU_CYCLE_1)
	s_or_b32 exec_lo, exec_lo, s27
.LBB4_8744:                             ;   in Loop: Header=BB4_7930 Depth=2
	s_delay_alu instid0(SALU_CYCLE_1) | instskip(NEXT) | instid1(VALU_DEP_1)
	s_or_b32 exec_lo, exec_lo, s10
	v_mul_f32_e32 v3, s26, v3
                                        ; implicit-def: $vgpr88
	s_mov_b32 s10, exec_lo
	s_delay_alu instid0(VALU_DEP_1) | instskip(SKIP_1) | instid1(VALU_DEP_2)
	v_and_b32_e32 v14, 0x7f800000, v3
	v_lshrrev_b32_e32 v2, 24, v3
	v_cmpx_ne_u64_e32 0x7f800000, v[14:15]
	s_xor_b32 s27, exec_lo, s10
	s_cbranch_execz .LBB4_8758
; %bb.8745:                             ;   in Loop: Header=BB4_7930 Depth=2
	v_and_b32_e32 v14, 0x7fffffff, v3
	v_and_b32_e32 v2, 0x80, v2
                                        ; implicit-def: $vgpr88
	s_mov_b32 s10, exec_lo
	s_delay_alu instid0(VALU_DEP_2)
	v_cmpx_gt_u64_e32 0x43e00001, v[14:15]
	s_xor_b32 s28, exec_lo, s10
	s_cbranch_execz .LBB4_8755
; %bb.8746:                             ;   in Loop: Header=BB4_7930 Depth=2
	v_mov_b32_e32 v88, 0
	s_mov_b32 s29, exec_lo
	v_cmpx_ne_u32_e32 0, v3
	s_cbranch_execz .LBB4_8754
; %bb.8747:                             ;   in Loop: Header=BB4_7930 Depth=2
	v_bfe_u32 v98, v3, 23, 8
	v_and_b32_e32 v3, 0x7fffff, v3
	s_delay_alu instid0(VALU_DEP_2) | instskip(SKIP_1) | instid1(VALU_DEP_3)
	v_sub_nc_u32_e32 v14, 0x79, v98
	v_cmp_gt_u32_e32 vcc_lo, 0x7a, v98
	v_or_b32_e32 v20, 0x800000, v3
	s_delay_alu instid0(VALU_DEP_3) | instskip(SKIP_1) | instid1(VALU_DEP_2)
	v_cndmask_b32_e32 v14, 0, v14, vcc_lo
	v_cmp_eq_u32_e32 vcc_lo, 0, v98
	v_cndmask_b32_e64 v113, v14, 0x78, vcc_lo
	s_delay_alu instid0(VALU_DEP_1) | instskip(NEXT) | instid1(VALU_DEP_1)
	v_dual_add_nc_u32 v14, 20, v113 :: v_dual_add_nc_u32 v21, 19, v113
	v_lshlrev_b64_e64 v[86:87], v14, -1
	v_cndmask_b32_e32 v14, v20, v3, vcc_lo
	s_delay_alu instid0(VALU_DEP_3) | instskip(NEXT) | instid1(VALU_DEP_3)
	v_lshlrev_b64_e64 v[96:97], v21, 1
	v_bfi_b32 v89, v87, 0, 0
	s_delay_alu instid0(VALU_DEP_3) | instskip(SKIP_1) | instid1(VALU_DEP_2)
	v_bfi_b32 v88, v86, 0, v14
	v_lshrrev_b64 v[86:87], v113, v[14:15]
	v_cmp_eq_u64_e64 s10, v[88:89], v[96:97]
	s_delay_alu instid0(VALU_DEP_2)
	v_mov_b64_e32 v[96:97], v[86:87]
	s_and_saveexec_b32 s40, s10
; %bb.8748:                             ;   in Loop: Header=BB4_7930 Depth=2
	v_bfe_u32 v14, v86, 20, 1
	s_delay_alu instid0(VALU_DEP_1) | instskip(NEXT) | instid1(VALU_DEP_1)
	v_add_nc_u64_e32 v[96:97], v[86:87], v[14:15]
	v_add_nc_u64_e32 v[96:97], -1, v[96:97]
; %bb.8749:                             ;   in Loop: Header=BB4_7930 Depth=2
	s_or_b32 exec_lo, exec_lo, s40
	v_add_nc_u32_e32 v3, 0xffffff81, v98
	v_lshrrev_b32_e32 v14, 23, v86
	s_mov_b32 s10, exec_lo
	s_delay_alu instid0(VALU_DEP_2) | instskip(NEXT) | instid1(VALU_DEP_1)
	v_cndmask_b32_e64 v3, v3, 0xffffff82, vcc_lo
	v_add3_u32 v97, v113, v3, v14
	v_and_b32_e32 v3, 0xfffff, v96
	s_delay_alu instid0(VALU_DEP_1) | instskip(NEXT) | instid1(VALU_DEP_1)
	v_dual_add_nc_u32 v96, 6, v97 :: v_dual_add_nc_u32 v14, v3, v86
                                        ; implicit-def: $vgpr86_vgpr87
                                        ; implicit-def: $vgpr3
	v_cmpx_ne_u32_e32 0, v96
	s_xor_b32 s10, exec_lo, s10
; %bb.8750:                             ;   in Loop: Header=BB4_7930 Depth=2
	s_delay_alu instid0(VALU_DEP_2) | instskip(SKIP_2) | instid1(VALU_DEP_2)
	v_cmp_lt_u64_e32 vcc_lo, 0xffffff, v[14:15]
	v_add_nc_u32_e32 v3, 7, v97
	v_cndmask_b32_e64 v20, 0, 1, vcc_lo
	v_cndmask_b32_e32 v3, v96, v3, vcc_lo
	s_delay_alu instid0(VALU_DEP_2)
	v_lshrrev_b64 v[86:87], v20, v[14:15]
; %bb.8751:                             ;   in Loop: Header=BB4_7930 Depth=2
	s_and_not1_saveexec_b32 s10, s10
; %bb.8752:                             ;   in Loop: Header=BB4_7930 Depth=2
	v_mov_b64_e32 v[86:87], v[14:15]
	v_bfe_u32 v3, v14, 23, 1
; %bb.8753:                             ;   in Loop: Header=BB4_7930 Depth=2
	s_or_b32 exec_lo, exec_lo, s10
	s_delay_alu instid0(VALU_DEP_2) | instskip(NEXT) | instid1(VALU_DEP_2)
	v_lshrrev_b64 v[86:87], 20, v[86:87]
	v_cmp_gt_i32_e32 vcc_lo, 16, v3
	v_min_i32_e32 v14, 15, v3
	v_cmp_eq_u32_e64 s10, 0, v3
	s_delay_alu instid0(VALU_DEP_4) | instskip(NEXT) | instid1(VALU_DEP_3)
	v_cndmask_b32_e32 v86, 7, v86, vcc_lo
	v_dual_cndmask_b32 v87, 0, v87 :: v_dual_lshlrev_b32 v14, 3, v14
	s_delay_alu instid0(VALU_DEP_1) | instskip(NEXT) | instid1(VALU_DEP_2)
	v_and_b32_e32 v14, 0xf8, v14
	v_cmp_eq_u64_e32 vcc_lo, 0, v[86:87]
	s_delay_alu instid0(VALU_DEP_2)
	v_and_or_b32 v3, v86, 7, v14
	s_and_b32 s10, s10, vcc_lo
	s_delay_alu instid0(VALU_DEP_1) | instid1(SALU_CYCLE_1)
	v_cndmask_b32_e64 v3, v3, 0, s10
	s_delay_alu instid0(VALU_DEP_1)
	v_or_b32_e32 v88, v3, v2
.LBB4_8754:                             ;   in Loop: Header=BB4_7930 Depth=2
	s_or_b32 exec_lo, exec_lo, s29
                                        ; implicit-def: $vgpr2
.LBB4_8755:                             ;   in Loop: Header=BB4_7930 Depth=2
	s_and_not1_saveexec_b32 s10, s28
; %bb.8756:                             ;   in Loop: Header=BB4_7930 Depth=2
	v_or_b32_e32 v88, 0x7e, v2
; %bb.8757:                             ;   in Loop: Header=BB4_7930 Depth=2
	s_or_b32 exec_lo, exec_lo, s10
                                        ; implicit-def: $vgpr2
.LBB4_8758:                             ;   in Loop: Header=BB4_7930 Depth=2
	s_and_not1_saveexec_b32 s10, s27
; %bb.8759:                             ;   in Loop: Header=BB4_7930 Depth=2
	v_or_b32_e32 v88, 0x7f, v2
; %bb.8760:                             ;   in Loop: Header=BB4_7930 Depth=2
	s_or_b32 exec_lo, exec_lo, s10
	v_mov_b32_e32 v3, 0
	s_mov_b32 s10, exec_lo
	v_cmpx_lt_u32_e32 0xffffff, v10
	s_cbranch_execz .LBB4_8768
; %bb.8761:                             ;   in Loop: Header=BB4_7930 Depth=2
	v_lshrrev_b32_e32 v2, 24, v10
	v_bfrev_b32_e32 v3, 1
	s_mov_b32 s27, exec_lo
	s_delay_alu instid0(VALU_DEP_2)
	v_cmpx_ne_u32_e32 0x80, v2
	s_cbranch_execz .LBB4_8767
; %bb.8762:                             ;   in Loop: Header=BB4_7930 Depth=2
	v_bfe_u32 v86, v10, 24, 7
	v_mov_b32_e32 v3, 0x7f800001
	s_mov_b32 s28, exec_lo
	s_delay_alu instid0(VALU_DEP_2)
	v_cmpx_ne_u32_e32 0x7f, v86
	s_cbranch_execz .LBB4_8766
; %bb.8763:                             ;   in Loop: Header=BB4_7930 Depth=2
	v_and_b32_e32 v14, 7, v2
	v_lshrrev_b32_e32 v3, 3, v86
	s_mov_b32 s29, exec_lo
	v_cmpx_gt_u32_e32 8, v86
; %bb.8764:                             ;   in Loop: Header=BB4_7930 Depth=2
	s_delay_alu instid0(VALU_DEP_3) | instskip(NEXT) | instid1(VALU_DEP_1)
	v_clz_i32_u32_e32 v3, v14
	v_min_u32_e32 v3, 32, v3
	s_delay_alu instid0(VALU_DEP_1) | instskip(NEXT) | instid1(VALU_DEP_1)
	v_subrev_nc_u32_e32 v20, 28, v3
	v_lshlrev_b64_e32 v[86:87], v20, v[14:15]
	s_delay_alu instid0(VALU_DEP_1)
	v_dual_sub_nc_u32 v3, 29, v3 :: v_dual_bitop2_b32 v14, 7, v86 bitop3:0x40
; %bb.8765:                             ;   in Loop: Header=BB4_7930 Depth=2
	s_or_b32 exec_lo, exec_lo, s29
	v_lshlrev_b32_e32 v2, 24, v2
	s_delay_alu instid0(VALU_DEP_2) | instskip(NEXT) | instid1(VALU_DEP_3)
	v_lshlrev_b32_e32 v14, 20, v14
	v_lshl_add_u32 v3, v3, 23, 0x3c000000
	s_delay_alu instid0(VALU_DEP_3) | instskip(NEXT) | instid1(VALU_DEP_1)
	v_and_b32_e32 v2, 0x80000000, v2
	v_or3_b32 v3, v14, v2, v3
.LBB4_8766:                             ;   in Loop: Header=BB4_7930 Depth=2
	s_or_b32 exec_lo, exec_lo, s28
.LBB4_8767:                             ;   in Loop: Header=BB4_7930 Depth=2
	s_delay_alu instid0(SALU_CYCLE_1)
	s_or_b32 exec_lo, exec_lo, s27
.LBB4_8768:                             ;   in Loop: Header=BB4_7930 Depth=2
	s_delay_alu instid0(SALU_CYCLE_1) | instskip(NEXT) | instid1(VALU_DEP_1)
	s_or_b32 exec_lo, exec_lo, s10
	v_mul_f32_e32 v3, s26, v3
                                        ; implicit-def: $vgpr89
	s_mov_b32 s10, exec_lo
	s_delay_alu instid0(VALU_DEP_1) | instskip(SKIP_1) | instid1(VALU_DEP_2)
	v_and_b32_e32 v14, 0x7f800000, v3
	v_lshrrev_b32_e32 v2, 24, v3
	v_cmpx_ne_u64_e32 0x7f800000, v[14:15]
	s_xor_b32 s27, exec_lo, s10
	s_cbranch_execz .LBB4_8782
; %bb.8769:                             ;   in Loop: Header=BB4_7930 Depth=2
	v_and_b32_e32 v14, 0x7fffffff, v3
	v_and_b32_e32 v2, 0x80, v2
                                        ; implicit-def: $vgpr89
	s_mov_b32 s10, exec_lo
	s_delay_alu instid0(VALU_DEP_2)
	v_cmpx_gt_u64_e32 0x43e00001, v[14:15]
	s_xor_b32 s28, exec_lo, s10
	s_cbranch_execz .LBB4_8779
; %bb.8770:                             ;   in Loop: Header=BB4_7930 Depth=2
	v_mov_b32_e32 v89, 0
	s_mov_b32 s29, exec_lo
	v_cmpx_ne_u32_e32 0, v3
	s_cbranch_execz .LBB4_8778
; %bb.8771:                             ;   in Loop: Header=BB4_7930 Depth=2
	v_bfe_u32 v98, v3, 23, 8
	v_and_b32_e32 v3, 0x7fffff, v3
	s_delay_alu instid0(VALU_DEP_2) | instskip(SKIP_1) | instid1(VALU_DEP_3)
	v_sub_nc_u32_e32 v14, 0x79, v98
	v_cmp_gt_u32_e32 vcc_lo, 0x7a, v98
	v_or_b32_e32 v20, 0x800000, v3
	s_delay_alu instid0(VALU_DEP_3) | instskip(SKIP_1) | instid1(VALU_DEP_2)
	v_cndmask_b32_e32 v14, 0, v14, vcc_lo
	v_cmp_eq_u32_e32 vcc_lo, 0, v98
	v_cndmask_b32_e64 v113, v14, 0x78, vcc_lo
	s_delay_alu instid0(VALU_DEP_1) | instskip(NEXT) | instid1(VALU_DEP_1)
	v_dual_add_nc_u32 v14, 20, v113 :: v_dual_add_nc_u32 v21, 19, v113
	v_lshlrev_b64_e64 v[86:87], v14, -1
	v_cndmask_b32_e32 v14, v20, v3, vcc_lo
	s_delay_alu instid0(VALU_DEP_3) | instskip(NEXT) | instid1(VALU_DEP_3)
	v_lshlrev_b64_e64 v[96:97], v21, 1
	v_bfi_b32 v91, v87, 0, 0
	s_delay_alu instid0(VALU_DEP_3) | instskip(SKIP_1) | instid1(VALU_DEP_2)
	v_bfi_b32 v90, v86, 0, v14
	v_lshrrev_b64 v[86:87], v113, v[14:15]
	v_cmp_eq_u64_e64 s10, v[90:91], v[96:97]
	s_delay_alu instid0(VALU_DEP_2)
	v_mov_b64_e32 v[96:97], v[86:87]
	s_and_saveexec_b32 s40, s10
; %bb.8772:                             ;   in Loop: Header=BB4_7930 Depth=2
	v_bfe_u32 v14, v86, 20, 1
	s_delay_alu instid0(VALU_DEP_1) | instskip(NEXT) | instid1(VALU_DEP_1)
	v_add_nc_u64_e32 v[96:97], v[86:87], v[14:15]
	v_add_nc_u64_e32 v[96:97], -1, v[96:97]
; %bb.8773:                             ;   in Loop: Header=BB4_7930 Depth=2
	s_or_b32 exec_lo, exec_lo, s40
	v_add_nc_u32_e32 v3, 0xffffff81, v98
	v_lshrrev_b32_e32 v14, 23, v86
	s_mov_b32 s10, exec_lo
	s_delay_alu instid0(VALU_DEP_2) | instskip(NEXT) | instid1(VALU_DEP_1)
	v_cndmask_b32_e64 v3, v3, 0xffffff82, vcc_lo
	v_add3_u32 v97, v113, v3, v14
	v_and_b32_e32 v3, 0xfffff, v96
	s_delay_alu instid0(VALU_DEP_1) | instskip(NEXT) | instid1(VALU_DEP_1)
	v_dual_add_nc_u32 v96, 6, v97 :: v_dual_add_nc_u32 v14, v3, v86
                                        ; implicit-def: $vgpr86_vgpr87
                                        ; implicit-def: $vgpr3
	v_cmpx_ne_u32_e32 0, v96
	s_xor_b32 s10, exec_lo, s10
; %bb.8774:                             ;   in Loop: Header=BB4_7930 Depth=2
	s_delay_alu instid0(VALU_DEP_2) | instskip(SKIP_2) | instid1(VALU_DEP_2)
	v_cmp_lt_u64_e32 vcc_lo, 0xffffff, v[14:15]
	v_add_nc_u32_e32 v3, 7, v97
	v_cndmask_b32_e64 v20, 0, 1, vcc_lo
	v_cndmask_b32_e32 v3, v96, v3, vcc_lo
	s_delay_alu instid0(VALU_DEP_2)
	v_lshrrev_b64 v[86:87], v20, v[14:15]
; %bb.8775:                             ;   in Loop: Header=BB4_7930 Depth=2
	s_and_not1_saveexec_b32 s10, s10
; %bb.8776:                             ;   in Loop: Header=BB4_7930 Depth=2
	v_mov_b64_e32 v[86:87], v[14:15]
	v_bfe_u32 v3, v14, 23, 1
; %bb.8777:                             ;   in Loop: Header=BB4_7930 Depth=2
	s_or_b32 exec_lo, exec_lo, s10
	s_delay_alu instid0(VALU_DEP_2) | instskip(NEXT) | instid1(VALU_DEP_2)
	v_lshrrev_b64 v[86:87], 20, v[86:87]
	v_cmp_gt_i32_e32 vcc_lo, 16, v3
	v_min_i32_e32 v14, 15, v3
	v_cmp_eq_u32_e64 s10, 0, v3
	s_delay_alu instid0(VALU_DEP_4) | instskip(NEXT) | instid1(VALU_DEP_3)
	v_cndmask_b32_e32 v86, 7, v86, vcc_lo
	v_dual_cndmask_b32 v87, 0, v87 :: v_dual_lshlrev_b32 v14, 3, v14
	s_delay_alu instid0(VALU_DEP_1) | instskip(NEXT) | instid1(VALU_DEP_2)
	v_and_b32_e32 v14, 0xf8, v14
	v_cmp_eq_u64_e32 vcc_lo, 0, v[86:87]
	s_delay_alu instid0(VALU_DEP_2)
	v_and_or_b32 v3, v86, 7, v14
	s_and_b32 s10, s10, vcc_lo
	s_delay_alu instid0(VALU_DEP_1) | instid1(SALU_CYCLE_1)
	v_cndmask_b32_e64 v3, v3, 0, s10
	s_delay_alu instid0(VALU_DEP_1)
	v_or_b32_e32 v89, v3, v2
.LBB4_8778:                             ;   in Loop: Header=BB4_7930 Depth=2
	s_or_b32 exec_lo, exec_lo, s29
                                        ; implicit-def: $vgpr2
.LBB4_8779:                             ;   in Loop: Header=BB4_7930 Depth=2
	s_and_not1_saveexec_b32 s10, s28
; %bb.8780:                             ;   in Loop: Header=BB4_7930 Depth=2
	v_or_b32_e32 v89, 0x7e, v2
; %bb.8781:                             ;   in Loop: Header=BB4_7930 Depth=2
	s_or_b32 exec_lo, exec_lo, s10
                                        ; implicit-def: $vgpr2
.LBB4_8782:                             ;   in Loop: Header=BB4_7930 Depth=2
	s_and_not1_saveexec_b32 s10, s27
; %bb.8783:                             ;   in Loop: Header=BB4_7930 Depth=2
	v_or_b32_e32 v89, 0x7f, v2
; %bb.8784:                             ;   in Loop: Header=BB4_7930 Depth=2
	s_or_b32 exec_lo, exec_lo, s10
	v_and_b32_e32 v3, 0xff, v11
	v_dual_mov_b32 v14, v11 :: v_dual_mov_b32 v2, 0
	s_mov_b32 s10, exec_lo
	s_delay_alu instid0(VALU_DEP_2)
	v_cmpx_ne_u16_e32 0, v3
	s_cbranch_execz .LBB4_8790
; %bb.8785:                             ;   in Loop: Header=BB4_7930 Depth=2
	v_bfrev_b32_e32 v2, 1
	s_mov_b32 s27, exec_lo
	v_cmpx_ne_u16_e32 0x80, v3
	s_cbranch_execz .LBB4_8789
; %bb.8786:                             ;   in Loop: Header=BB4_7930 Depth=2
	v_and_b32_e32 v3, 0x7f, v11
	v_mov_b32_e32 v2, 0x7f800001
	s_mov_b32 s28, exec_lo
	s_delay_alu instid0(VALU_DEP_2)
	v_cmpx_ne_u32_e32 0x7f, v3
	s_cbranch_execz .LBB4_8788
; %bb.8787:                             ;   in Loop: Header=BB4_7930 Depth=2
	v_and_b32_e32 v2, 7, v11
	v_cmp_gt_u32_e32 vcc_lo, 8, v3
	s_delay_alu instid0(VALU_DEP_2) | instskip(NEXT) | instid1(VALU_DEP_1)
	v_clz_i32_u32_e32 v2, v2
	v_min_u32_e32 v2, 32, v2
	v_lshrrev_b32_e32 v20, 3, v3
	s_delay_alu instid0(VALU_DEP_2) | instskip(SKIP_1) | instid1(VALU_DEP_1)
	v_subrev_nc_u32_e32 v21, 28, v2
	v_sub_nc_u32_e32 v2, 29, v2
	v_dual_cndmask_b32 v20, v20, v2, vcc_lo :: v_dual_cndmask_b32 v2, 0, v21, vcc_lo
	s_delay_alu instid0(VALU_DEP_1) | instskip(NEXT) | instid1(VALU_DEP_2)
	v_lshl_add_u32 v20, v20, 23, 0x3c000000
	v_lshlrev_b64_e32 v[2:3], v2, v[14:15]
	v_lshlrev_b32_e32 v3, 24, v14
	s_delay_alu instid0(VALU_DEP_1) | instskip(NEXT) | instid1(VALU_DEP_3)
	v_and_b32_e32 v3, 0x80000000, v3
	v_lshlrev_b32_e32 v2, 20, v2
	s_delay_alu instid0(VALU_DEP_1) | instskip(NEXT) | instid1(VALU_DEP_1)
	v_and_b32_e32 v2, 0x700000, v2
	v_or3_b32 v2, v2, v3, v20
.LBB4_8788:                             ;   in Loop: Header=BB4_7930 Depth=2
	s_or_b32 exec_lo, exec_lo, s28
.LBB4_8789:                             ;   in Loop: Header=BB4_7930 Depth=2
	s_delay_alu instid0(SALU_CYCLE_1)
	s_or_b32 exec_lo, exec_lo, s27
.LBB4_8790:                             ;   in Loop: Header=BB4_7930 Depth=2
	s_delay_alu instid0(SALU_CYCLE_1) | instskip(NEXT) | instid1(VALU_DEP_1)
	s_or_b32 exec_lo, exec_lo, s10
	v_dual_mul_f32 v3, s26, v2 :: v_dual_mov_b32 v87, v15
                                        ; implicit-def: $vgpr90
	s_mov_b32 s10, exec_lo
	s_delay_alu instid0(VALU_DEP_1) | instskip(SKIP_1) | instid1(VALU_DEP_2)
	v_and_b32_e32 v86, 0x7f800000, v3
	v_lshrrev_b32_e32 v2, 24, v3
	v_cmpx_ne_u64_e32 0x7f800000, v[86:87]
	s_xor_b32 s27, exec_lo, s10
	s_cbranch_execz .LBB4_8804
; %bb.8791:                             ;   in Loop: Header=BB4_7930 Depth=2
	v_and_b32_e32 v86, 0x7fffffff, v3
	v_mov_b32_e32 v87, v15
	v_and_b32_e32 v2, 0x80, v2
                                        ; implicit-def: $vgpr90
	s_mov_b32 s10, exec_lo
	s_delay_alu instid0(VALU_DEP_2)
	v_cmpx_gt_u64_e32 0x43e00001, v[86:87]
	s_xor_b32 s28, exec_lo, s10
	s_cbranch_execz .LBB4_8801
; %bb.8792:                             ;   in Loop: Header=BB4_7930 Depth=2
	v_mov_b32_e32 v90, 0
	s_mov_b32 s29, exec_lo
	v_cmpx_ne_u32_e32 0, v3
	s_cbranch_execz .LBB4_8800
; %bb.8793:                             ;   in Loop: Header=BB4_7930 Depth=2
	v_bfe_u32 v98, v3, 23, 8
	v_and_b32_e32 v3, 0x7fffff, v3
	s_mov_b32 s40, exec_lo
	s_delay_alu instid0(VALU_DEP_2) | instskip(SKIP_1) | instid1(VALU_DEP_3)
	v_dual_mov_b32 v97, v15 :: v_dual_sub_nc_u32 v20, 0x79, v98
	v_cmp_gt_u32_e32 vcc_lo, 0x7a, v98
	v_or_b32_e32 v21, 0x800000, v3
	s_delay_alu instid0(VALU_DEP_3) | instskip(SKIP_1) | instid1(VALU_DEP_3)
	v_cndmask_b32_e32 v20, 0, v20, vcc_lo
	v_cmp_eq_u32_e32 vcc_lo, 0, v98
	v_cndmask_b32_e32 v96, v21, v3, vcc_lo
	s_delay_alu instid0(VALU_DEP_3) | instskip(NEXT) | instid1(VALU_DEP_1)
	v_cndmask_b32_e64 v113, v20, 0x78, vcc_lo
	v_add_nc_u32_e32 v20, 20, v113
	s_delay_alu instid0(VALU_DEP_1) | instskip(SKIP_1) | instid1(VALU_DEP_1)
	v_lshlrev_b64_e64 v[86:87], v20, -1
	v_add_nc_u32_e32 v20, 19, v113
	v_lshlrev_b64_e64 v[90:91], v20, 1
	s_delay_alu instid0(VALU_DEP_3) | instskip(NEXT) | instid1(VALU_DEP_4)
	v_bfi_b32 v93, v87, 0, 0
	v_bfi_b32 v92, v86, 0, v96
	v_lshrrev_b64 v[86:87], v113, v[96:97]
	s_delay_alu instid0(VALU_DEP_1) | instskip(NEXT) | instid1(VALU_DEP_3)
	v_mov_b64_e32 v[96:97], v[86:87]
	v_cmpx_eq_u64_e64 v[92:93], v[90:91]
; %bb.8794:                             ;   in Loop: Header=BB4_7930 Depth=2
	v_bfe_u32 v96, v86, 20, 1
	v_mov_b32_e32 v97, v15
	s_delay_alu instid0(VALU_DEP_1) | instskip(NEXT) | instid1(VALU_DEP_1)
	v_add_nc_u64_e32 v[96:97], v[86:87], v[96:97]
	v_add_nc_u64_e32 v[96:97], -1, v[96:97]
; %bb.8795:                             ;   in Loop: Header=BB4_7930 Depth=2
	s_or_b32 exec_lo, exec_lo, s40
	v_add_nc_u32_e32 v3, 0xffffff81, v98
	v_dual_mov_b32 v87, v15 :: v_dual_lshrrev_b32 v20, 23, v86
	s_mov_b32 s10, exec_lo
	s_delay_alu instid0(VALU_DEP_2) | instskip(NEXT) | instid1(VALU_DEP_1)
	v_cndmask_b32_e64 v3, v3, 0xffffff82, vcc_lo
	v_add3_u32 v97, v113, v3, v20
	v_and_b32_e32 v3, 0xfffff, v96
	s_delay_alu instid0(VALU_DEP_1) | instskip(NEXT) | instid1(VALU_DEP_1)
	v_dual_add_nc_u32 v96, 6, v97 :: v_dual_add_nc_u32 v86, v3, v86
                                        ; implicit-def: $vgpr3
	v_cmpx_ne_u32_e32 0, v96
	s_xor_b32 s10, exec_lo, s10
; %bb.8796:                             ;   in Loop: Header=BB4_7930 Depth=2
	s_delay_alu instid0(VALU_DEP_2) | instskip(SKIP_2) | instid1(VALU_DEP_2)
	v_cmp_lt_u64_e32 vcc_lo, 0xffffff, v[86:87]
	v_add_nc_u32_e32 v3, 7, v97
	v_cndmask_b32_e64 v20, 0, 1, vcc_lo
	v_cndmask_b32_e32 v3, v96, v3, vcc_lo
	s_delay_alu instid0(VALU_DEP_2)
	v_lshrrev_b64 v[86:87], v20, v[86:87]
; %bb.8797:                             ;   in Loop: Header=BB4_7930 Depth=2
	s_and_not1_saveexec_b32 s10, s10
; %bb.8798:                             ;   in Loop: Header=BB4_7930 Depth=2
	s_delay_alu instid0(VALU_DEP_1)
	v_bfe_u32 v3, v86, 23, 1
; %bb.8799:                             ;   in Loop: Header=BB4_7930 Depth=2
	s_or_b32 exec_lo, exec_lo, s10
	s_delay_alu instid0(VALU_DEP_2) | instskip(NEXT) | instid1(VALU_DEP_2)
	v_lshrrev_b64 v[86:87], 20, v[86:87]
	v_cmp_gt_i32_e32 vcc_lo, 16, v3
	v_min_i32_e32 v20, 15, v3
	v_cmp_eq_u32_e64 s10, 0, v3
	s_delay_alu instid0(VALU_DEP_2) | instskip(SKIP_1) | instid1(VALU_DEP_2)
	v_dual_cndmask_b32 v86, 7, v86, vcc_lo :: v_dual_lshlrev_b32 v20, 3, v20
	v_cndmask_b32_e32 v87, 0, v87, vcc_lo
	v_and_b32_e32 v20, 0xf8, v20
	s_delay_alu instid0(VALU_DEP_2) | instskip(NEXT) | instid1(VALU_DEP_2)
	v_cmp_eq_u64_e32 vcc_lo, 0, v[86:87]
	v_and_or_b32 v3, v86, 7, v20
	s_and_b32 s10, s10, vcc_lo
	s_delay_alu instid0(VALU_DEP_1) | instid1(SALU_CYCLE_1)
	v_cndmask_b32_e64 v3, v3, 0, s10
	s_delay_alu instid0(VALU_DEP_1)
	v_or_b32_e32 v90, v3, v2
.LBB4_8800:                             ;   in Loop: Header=BB4_7930 Depth=2
	s_or_b32 exec_lo, exec_lo, s29
                                        ; implicit-def: $vgpr2
.LBB4_8801:                             ;   in Loop: Header=BB4_7930 Depth=2
	s_and_not1_saveexec_b32 s10, s28
; %bb.8802:                             ;   in Loop: Header=BB4_7930 Depth=2
	v_or_b32_e32 v90, 0x7e, v2
; %bb.8803:                             ;   in Loop: Header=BB4_7930 Depth=2
	s_or_b32 exec_lo, exec_lo, s10
                                        ; implicit-def: $vgpr2
.LBB4_8804:                             ;   in Loop: Header=BB4_7930 Depth=2
	s_and_not1_saveexec_b32 s10, s27
; %bb.8805:                             ;   in Loop: Header=BB4_7930 Depth=2
	v_or_b32_e32 v90, 0x7f, v2
; %bb.8806:                             ;   in Loop: Header=BB4_7930 Depth=2
	s_or_b32 exec_lo, exec_lo, s10
	v_lshrrev_b16 v3, 8, v14
	v_mov_b32_e32 v2, 0
	s_mov_b32 s10, exec_lo
	s_delay_alu instid0(VALU_DEP_2)
	v_cmpx_ne_u16_e32 0, v3
	s_cbranch_execz .LBB4_8814
; %bb.8807:                             ;   in Loop: Header=BB4_7930 Depth=2
	v_bfrev_b32_e32 v2, 1
	s_mov_b32 s27, exec_lo
	v_cmpx_ne_u16_e32 0x80, v3
	s_cbranch_execz .LBB4_8813
; %bb.8808:                             ;   in Loop: Header=BB4_7930 Depth=2
	v_and_b32_e32 v86, 0xffff, v3
	v_mov_b32_e32 v2, 0x7f800001
	s_mov_b32 s28, exec_lo
	s_delay_alu instid0(VALU_DEP_2) | instskip(NEXT) | instid1(VALU_DEP_1)
	v_and_b32_e32 v3, 0x7f, v86
	v_cmpx_ne_u32_e32 0x7f, v3
	s_cbranch_execz .LBB4_8812
; %bb.8809:                             ;   in Loop: Header=BB4_7930 Depth=2
	v_dual_mov_b32 v87, v15 :: v_dual_bitop2_b32 v86, 7, v86 bitop3:0x40
	v_lshrrev_b32_e32 v2, 3, v3
	s_mov_b32 s29, exec_lo
	v_cmpx_gt_u32_e32 8, v3
; %bb.8810:                             ;   in Loop: Header=BB4_7930 Depth=2
	s_delay_alu instid0(VALU_DEP_3) | instskip(NEXT) | instid1(VALU_DEP_1)
	v_clz_i32_u32_e32 v2, v86
	v_min_u32_e32 v2, 32, v2
	s_delay_alu instid0(VALU_DEP_1) | instskip(SKIP_1) | instid1(VALU_DEP_2)
	v_subrev_nc_u32_e32 v3, 28, v2
	v_sub_nc_u32_e32 v2, 29, v2
	v_lshlrev_b64_e32 v[86:87], v3, v[86:87]
	s_delay_alu instid0(VALU_DEP_1)
	v_and_b32_e32 v86, 7, v86
; %bb.8811:                             ;   in Loop: Header=BB4_7930 Depth=2
	s_or_b32 exec_lo, exec_lo, s29
	v_lshlrev_b32_e32 v3, 16, v14
	s_delay_alu instid0(VALU_DEP_2) | instskip(SKIP_1) | instid1(VALU_DEP_3)
	v_lshlrev_b32_e32 v14, 20, v86
	v_lshl_add_u32 v2, v2, 23, 0x3c000000
	v_and_b32_e32 v3, 0x80000000, v3
	s_delay_alu instid0(VALU_DEP_1)
	v_or3_b32 v2, v14, v3, v2
.LBB4_8812:                             ;   in Loop: Header=BB4_7930 Depth=2
	s_or_b32 exec_lo, exec_lo, s28
.LBB4_8813:                             ;   in Loop: Header=BB4_7930 Depth=2
	s_delay_alu instid0(SALU_CYCLE_1)
	s_or_b32 exec_lo, exec_lo, s27
.LBB4_8814:                             ;   in Loop: Header=BB4_7930 Depth=2
	s_delay_alu instid0(SALU_CYCLE_1) | instskip(NEXT) | instid1(VALU_DEP_1)
	s_or_b32 exec_lo, exec_lo, s10
	v_mul_f32_e32 v3, s26, v2
                                        ; implicit-def: $vgpr91
	s_mov_b32 s10, exec_lo
	s_delay_alu instid0(VALU_DEP_1) | instskip(SKIP_1) | instid1(VALU_DEP_2)
	v_and_b32_e32 v14, 0x7f800000, v3
	v_lshrrev_b32_e32 v2, 24, v3
	v_cmpx_ne_u64_e32 0x7f800000, v[14:15]
	s_xor_b32 s27, exec_lo, s10
	s_cbranch_execz .LBB4_8828
; %bb.8815:                             ;   in Loop: Header=BB4_7930 Depth=2
	v_and_b32_e32 v14, 0x7fffffff, v3
	v_and_b32_e32 v2, 0x80, v2
                                        ; implicit-def: $vgpr91
	s_mov_b32 s10, exec_lo
	s_delay_alu instid0(VALU_DEP_2)
	v_cmpx_gt_u64_e32 0x43e00001, v[14:15]
	s_xor_b32 s28, exec_lo, s10
	s_cbranch_execz .LBB4_8825
; %bb.8816:                             ;   in Loop: Header=BB4_7930 Depth=2
	v_mov_b32_e32 v91, 0
	s_mov_b32 s29, exec_lo
	v_cmpx_ne_u32_e32 0, v3
	s_cbranch_execz .LBB4_8824
; %bb.8817:                             ;   in Loop: Header=BB4_7930 Depth=2
	v_bfe_u32 v98, v3, 23, 8
	v_and_b32_e32 v3, 0x7fffff, v3
	s_delay_alu instid0(VALU_DEP_2) | instskip(SKIP_1) | instid1(VALU_DEP_3)
	v_sub_nc_u32_e32 v14, 0x79, v98
	v_cmp_gt_u32_e32 vcc_lo, 0x7a, v98
	v_or_b32_e32 v20, 0x800000, v3
	s_delay_alu instid0(VALU_DEP_3) | instskip(SKIP_1) | instid1(VALU_DEP_2)
	v_cndmask_b32_e32 v14, 0, v14, vcc_lo
	v_cmp_eq_u32_e32 vcc_lo, 0, v98
	v_cndmask_b32_e64 v113, v14, 0x78, vcc_lo
	s_delay_alu instid0(VALU_DEP_1) | instskip(NEXT) | instid1(VALU_DEP_1)
	v_dual_add_nc_u32 v14, 20, v113 :: v_dual_add_nc_u32 v21, 19, v113
	v_lshlrev_b64_e64 v[86:87], v14, -1
	v_cndmask_b32_e32 v14, v20, v3, vcc_lo
	s_delay_alu instid0(VALU_DEP_3) | instskip(NEXT) | instid1(VALU_DEP_3)
	v_lshlrev_b64_e64 v[96:97], v21, 1
	v_bfi_b32 v93, v87, 0, 0
	s_delay_alu instid0(VALU_DEP_3) | instskip(SKIP_1) | instid1(VALU_DEP_2)
	v_bfi_b32 v92, v86, 0, v14
	v_lshrrev_b64 v[86:87], v113, v[14:15]
	v_cmp_eq_u64_e64 s10, v[92:93], v[96:97]
	s_delay_alu instid0(VALU_DEP_2)
	v_mov_b64_e32 v[96:97], v[86:87]
	s_and_saveexec_b32 s40, s10
; %bb.8818:                             ;   in Loop: Header=BB4_7930 Depth=2
	v_bfe_u32 v14, v86, 20, 1
	s_delay_alu instid0(VALU_DEP_1) | instskip(NEXT) | instid1(VALU_DEP_1)
	v_add_nc_u64_e32 v[96:97], v[86:87], v[14:15]
	v_add_nc_u64_e32 v[96:97], -1, v[96:97]
; %bb.8819:                             ;   in Loop: Header=BB4_7930 Depth=2
	s_or_b32 exec_lo, exec_lo, s40
	v_add_nc_u32_e32 v3, 0xffffff81, v98
	v_lshrrev_b32_e32 v14, 23, v86
	s_mov_b32 s10, exec_lo
	s_delay_alu instid0(VALU_DEP_2) | instskip(NEXT) | instid1(VALU_DEP_1)
	v_cndmask_b32_e64 v3, v3, 0xffffff82, vcc_lo
	v_add3_u32 v97, v113, v3, v14
	v_and_b32_e32 v3, 0xfffff, v96
	s_delay_alu instid0(VALU_DEP_1) | instskip(NEXT) | instid1(VALU_DEP_1)
	v_dual_add_nc_u32 v96, 6, v97 :: v_dual_add_nc_u32 v14, v3, v86
                                        ; implicit-def: $vgpr86_vgpr87
                                        ; implicit-def: $vgpr3
	v_cmpx_ne_u32_e32 0, v96
	s_xor_b32 s10, exec_lo, s10
; %bb.8820:                             ;   in Loop: Header=BB4_7930 Depth=2
	s_delay_alu instid0(VALU_DEP_2) | instskip(SKIP_2) | instid1(VALU_DEP_2)
	v_cmp_lt_u64_e32 vcc_lo, 0xffffff, v[14:15]
	v_add_nc_u32_e32 v3, 7, v97
	v_cndmask_b32_e64 v20, 0, 1, vcc_lo
	v_cndmask_b32_e32 v3, v96, v3, vcc_lo
	s_delay_alu instid0(VALU_DEP_2)
	v_lshrrev_b64 v[86:87], v20, v[14:15]
; %bb.8821:                             ;   in Loop: Header=BB4_7930 Depth=2
	s_and_not1_saveexec_b32 s10, s10
; %bb.8822:                             ;   in Loop: Header=BB4_7930 Depth=2
	v_mov_b64_e32 v[86:87], v[14:15]
	v_bfe_u32 v3, v14, 23, 1
; %bb.8823:                             ;   in Loop: Header=BB4_7930 Depth=2
	s_or_b32 exec_lo, exec_lo, s10
	s_delay_alu instid0(VALU_DEP_2) | instskip(NEXT) | instid1(VALU_DEP_2)
	v_lshrrev_b64 v[86:87], 20, v[86:87]
	v_cmp_gt_i32_e32 vcc_lo, 16, v3
	v_min_i32_e32 v14, 15, v3
	v_cmp_eq_u32_e64 s10, 0, v3
	s_delay_alu instid0(VALU_DEP_4) | instskip(NEXT) | instid1(VALU_DEP_3)
	v_cndmask_b32_e32 v86, 7, v86, vcc_lo
	v_dual_cndmask_b32 v87, 0, v87 :: v_dual_lshlrev_b32 v14, 3, v14
	s_delay_alu instid0(VALU_DEP_1) | instskip(NEXT) | instid1(VALU_DEP_2)
	v_and_b32_e32 v14, 0xf8, v14
	v_cmp_eq_u64_e32 vcc_lo, 0, v[86:87]
	s_delay_alu instid0(VALU_DEP_2)
	v_and_or_b32 v3, v86, 7, v14
	s_and_b32 s10, s10, vcc_lo
	s_delay_alu instid0(VALU_DEP_1) | instid1(SALU_CYCLE_1)
	v_cndmask_b32_e64 v3, v3, 0, s10
	s_delay_alu instid0(VALU_DEP_1)
	v_or_b32_e32 v91, v3, v2
.LBB4_8824:                             ;   in Loop: Header=BB4_7930 Depth=2
	s_or_b32 exec_lo, exec_lo, s29
                                        ; implicit-def: $vgpr2
.LBB4_8825:                             ;   in Loop: Header=BB4_7930 Depth=2
	s_and_not1_saveexec_b32 s10, s28
; %bb.8826:                             ;   in Loop: Header=BB4_7930 Depth=2
	v_or_b32_e32 v91, 0x7e, v2
; %bb.8827:                             ;   in Loop: Header=BB4_7930 Depth=2
	s_or_b32 exec_lo, exec_lo, s10
                                        ; implicit-def: $vgpr2
.LBB4_8828:                             ;   in Loop: Header=BB4_7930 Depth=2
	s_and_not1_saveexec_b32 s10, s27
; %bb.8829:                             ;   in Loop: Header=BB4_7930 Depth=2
	v_or_b32_e32 v91, 0x7f, v2
; %bb.8830:                             ;   in Loop: Header=BB4_7930 Depth=2
	s_or_b32 exec_lo, exec_lo, s10
	v_dual_mov_b32 v3, 0 :: v_dual_lshrrev_b32 v2, 16, v11
	s_mov_b32 s10, exec_lo
	s_delay_alu instid0(VALU_DEP_1) | instskip(NEXT) | instid1(VALU_DEP_1)
	v_and_b32_e32 v14, 0xff, v2
	v_cmpx_ne_u16_e32 0, v14
	s_cbranch_execz .LBB4_8838
; %bb.8831:                             ;   in Loop: Header=BB4_7930 Depth=2
	v_bfrev_b32_e32 v3, 1
	s_mov_b32 s27, exec_lo
	v_cmpx_ne_u16_e32 0x80, v14
	s_cbranch_execz .LBB4_8837
; %bb.8832:                             ;   in Loop: Header=BB4_7930 Depth=2
	v_bfe_u32 v86, v11, 16, 7
	v_mov_b32_e32 v3, 0x7f800001
	s_mov_b32 s28, exec_lo
	s_delay_alu instid0(VALU_DEP_2)
	v_cmpx_ne_u32_e32 0x7f, v86
	s_cbranch_execz .LBB4_8836
; %bb.8833:                             ;   in Loop: Header=BB4_7930 Depth=2
	v_and_b32_e32 v14, 7, v2
	v_lshrrev_b32_e32 v3, 3, v86
	s_mov_b32 s29, exec_lo
	v_cmpx_gt_u32_e32 8, v86
; %bb.8834:                             ;   in Loop: Header=BB4_7930 Depth=2
	s_delay_alu instid0(VALU_DEP_3) | instskip(NEXT) | instid1(VALU_DEP_1)
	v_clz_i32_u32_e32 v3, v14
	v_min_u32_e32 v3, 32, v3
	s_delay_alu instid0(VALU_DEP_1) | instskip(NEXT) | instid1(VALU_DEP_1)
	v_subrev_nc_u32_e32 v20, 28, v3
	v_lshlrev_b64_e32 v[86:87], v20, v[14:15]
	s_delay_alu instid0(VALU_DEP_1)
	v_dual_sub_nc_u32 v3, 29, v3 :: v_dual_bitop2_b32 v14, 7, v86 bitop3:0x40
; %bb.8835:                             ;   in Loop: Header=BB4_7930 Depth=2
	s_or_b32 exec_lo, exec_lo, s29
	v_lshlrev_b32_e32 v2, 24, v2
	s_delay_alu instid0(VALU_DEP_2) | instskip(NEXT) | instid1(VALU_DEP_3)
	v_lshlrev_b32_e32 v14, 20, v14
	v_lshl_add_u32 v3, v3, 23, 0x3c000000
	s_delay_alu instid0(VALU_DEP_3) | instskip(NEXT) | instid1(VALU_DEP_1)
	v_and_b32_e32 v2, 0x80000000, v2
	v_or3_b32 v3, v14, v2, v3
.LBB4_8836:                             ;   in Loop: Header=BB4_7930 Depth=2
	s_or_b32 exec_lo, exec_lo, s28
.LBB4_8837:                             ;   in Loop: Header=BB4_7930 Depth=2
	s_delay_alu instid0(SALU_CYCLE_1)
	s_or_b32 exec_lo, exec_lo, s27
.LBB4_8838:                             ;   in Loop: Header=BB4_7930 Depth=2
	s_delay_alu instid0(SALU_CYCLE_1) | instskip(NEXT) | instid1(VALU_DEP_1)
	s_or_b32 exec_lo, exec_lo, s10
	v_mul_f32_e32 v3, s26, v3
                                        ; implicit-def: $vgpr96
	s_mov_b32 s10, exec_lo
	s_delay_alu instid0(VALU_DEP_1) | instskip(SKIP_1) | instid1(VALU_DEP_2)
	v_and_b32_e32 v14, 0x7f800000, v3
	v_lshrrev_b32_e32 v2, 24, v3
	v_cmpx_ne_u64_e32 0x7f800000, v[14:15]
	s_xor_b32 s27, exec_lo, s10
	s_cbranch_execz .LBB4_8852
; %bb.8839:                             ;   in Loop: Header=BB4_7930 Depth=2
	v_and_b32_e32 v14, 0x7fffffff, v3
	v_and_b32_e32 v2, 0x80, v2
                                        ; implicit-def: $vgpr96
	s_mov_b32 s10, exec_lo
	s_delay_alu instid0(VALU_DEP_2)
	v_cmpx_gt_u64_e32 0x43e00001, v[14:15]
	s_xor_b32 s28, exec_lo, s10
	s_cbranch_execz .LBB4_8849
; %bb.8840:                             ;   in Loop: Header=BB4_7930 Depth=2
	v_mov_b32_e32 v96, 0
	s_mov_b32 s29, exec_lo
	v_cmpx_ne_u32_e32 0, v3
	s_cbranch_execz .LBB4_8848
; %bb.8841:                             ;   in Loop: Header=BB4_7930 Depth=2
	v_bfe_u32 v98, v3, 23, 8
	v_and_b32_e32 v3, 0x7fffff, v3
	s_delay_alu instid0(VALU_DEP_2) | instskip(SKIP_1) | instid1(VALU_DEP_3)
	v_sub_nc_u32_e32 v14, 0x79, v98
	v_cmp_gt_u32_e32 vcc_lo, 0x7a, v98
	v_or_b32_e32 v20, 0x800000, v3
	s_delay_alu instid0(VALU_DEP_3) | instskip(SKIP_1) | instid1(VALU_DEP_2)
	v_cndmask_b32_e32 v14, 0, v14, vcc_lo
	v_cmp_eq_u32_e32 vcc_lo, 0, v98
	v_cndmask_b32_e64 v113, v14, 0x78, vcc_lo
	s_delay_alu instid0(VALU_DEP_1) | instskip(NEXT) | instid1(VALU_DEP_1)
	v_dual_add_nc_u32 v14, 20, v113 :: v_dual_add_nc_u32 v21, 19, v113
	v_lshlrev_b64_e64 v[86:87], v14, -1
	v_cndmask_b32_e32 v14, v20, v3, vcc_lo
	s_delay_alu instid0(VALU_DEP_3) | instskip(NEXT) | instid1(VALU_DEP_3)
	v_lshlrev_b64_e64 v[96:97], v21, 1
	v_bfi_b32 v93, v87, 0, 0
	s_delay_alu instid0(VALU_DEP_3) | instskip(SKIP_1) | instid1(VALU_DEP_2)
	v_bfi_b32 v92, v86, 0, v14
	v_lshrrev_b64 v[86:87], v113, v[14:15]
	v_cmp_eq_u64_e64 s10, v[92:93], v[96:97]
	s_delay_alu instid0(VALU_DEP_2)
	v_mov_b64_e32 v[96:97], v[86:87]
	s_and_saveexec_b32 s40, s10
; %bb.8842:                             ;   in Loop: Header=BB4_7930 Depth=2
	v_bfe_u32 v14, v86, 20, 1
	s_delay_alu instid0(VALU_DEP_1) | instskip(NEXT) | instid1(VALU_DEP_1)
	v_add_nc_u64_e32 v[96:97], v[86:87], v[14:15]
	v_add_nc_u64_e32 v[96:97], -1, v[96:97]
; %bb.8843:                             ;   in Loop: Header=BB4_7930 Depth=2
	s_or_b32 exec_lo, exec_lo, s40
	v_add_nc_u32_e32 v3, 0xffffff81, v98
	v_lshrrev_b32_e32 v14, 23, v86
	s_mov_b32 s10, exec_lo
	s_delay_alu instid0(VALU_DEP_2) | instskip(NEXT) | instid1(VALU_DEP_1)
	v_cndmask_b32_e64 v3, v3, 0xffffff82, vcc_lo
	v_add3_u32 v97, v113, v3, v14
	v_and_b32_e32 v3, 0xfffff, v96
	s_delay_alu instid0(VALU_DEP_1) | instskip(NEXT) | instid1(VALU_DEP_1)
	v_dual_add_nc_u32 v96, 6, v97 :: v_dual_add_nc_u32 v14, v3, v86
                                        ; implicit-def: $vgpr86_vgpr87
                                        ; implicit-def: $vgpr3
	v_cmpx_ne_u32_e32 0, v96
	s_xor_b32 s10, exec_lo, s10
; %bb.8844:                             ;   in Loop: Header=BB4_7930 Depth=2
	s_delay_alu instid0(VALU_DEP_2) | instskip(SKIP_2) | instid1(VALU_DEP_2)
	v_cmp_lt_u64_e32 vcc_lo, 0xffffff, v[14:15]
	v_add_nc_u32_e32 v3, 7, v97
	v_cndmask_b32_e64 v20, 0, 1, vcc_lo
	v_cndmask_b32_e32 v3, v96, v3, vcc_lo
	s_delay_alu instid0(VALU_DEP_2)
	v_lshrrev_b64 v[86:87], v20, v[14:15]
; %bb.8845:                             ;   in Loop: Header=BB4_7930 Depth=2
	s_and_not1_saveexec_b32 s10, s10
; %bb.8846:                             ;   in Loop: Header=BB4_7930 Depth=2
	v_mov_b64_e32 v[86:87], v[14:15]
	v_bfe_u32 v3, v14, 23, 1
; %bb.8847:                             ;   in Loop: Header=BB4_7930 Depth=2
	s_or_b32 exec_lo, exec_lo, s10
	s_delay_alu instid0(VALU_DEP_2) | instskip(NEXT) | instid1(VALU_DEP_2)
	v_lshrrev_b64 v[86:87], 20, v[86:87]
	v_cmp_gt_i32_e32 vcc_lo, 16, v3
	v_min_i32_e32 v14, 15, v3
	v_cmp_eq_u32_e64 s10, 0, v3
	s_delay_alu instid0(VALU_DEP_4) | instskip(NEXT) | instid1(VALU_DEP_3)
	v_cndmask_b32_e32 v86, 7, v86, vcc_lo
	v_dual_cndmask_b32 v87, 0, v87 :: v_dual_lshlrev_b32 v14, 3, v14
	s_delay_alu instid0(VALU_DEP_1) | instskip(NEXT) | instid1(VALU_DEP_2)
	v_and_b32_e32 v14, 0xf8, v14
	v_cmp_eq_u64_e32 vcc_lo, 0, v[86:87]
	s_delay_alu instid0(VALU_DEP_2)
	v_and_or_b32 v3, v86, 7, v14
	s_and_b32 s10, s10, vcc_lo
	s_delay_alu instid0(VALU_DEP_1) | instid1(SALU_CYCLE_1)
	v_cndmask_b32_e64 v3, v3, 0, s10
	s_delay_alu instid0(VALU_DEP_1)
	v_or_b32_e32 v96, v3, v2
.LBB4_8848:                             ;   in Loop: Header=BB4_7930 Depth=2
	s_or_b32 exec_lo, exec_lo, s29
                                        ; implicit-def: $vgpr2
.LBB4_8849:                             ;   in Loop: Header=BB4_7930 Depth=2
	s_and_not1_saveexec_b32 s10, s28
; %bb.8850:                             ;   in Loop: Header=BB4_7930 Depth=2
	v_or_b32_e32 v96, 0x7e, v2
; %bb.8851:                             ;   in Loop: Header=BB4_7930 Depth=2
	s_or_b32 exec_lo, exec_lo, s10
                                        ; implicit-def: $vgpr2
.LBB4_8852:                             ;   in Loop: Header=BB4_7930 Depth=2
	s_and_not1_saveexec_b32 s10, s27
; %bb.8853:                             ;   in Loop: Header=BB4_7930 Depth=2
	v_or_b32_e32 v96, 0x7f, v2
; %bb.8854:                             ;   in Loop: Header=BB4_7930 Depth=2
	s_or_b32 exec_lo, exec_lo, s10
	v_mov_b32_e32 v3, 0
	s_mov_b32 s10, exec_lo
	v_cmpx_lt_u64_e64 s[12:13], v[10:11]
	s_cbranch_execz .LBB4_8862
; %bb.8855:                             ;   in Loop: Header=BB4_7930 Depth=2
	v_lshrrev_b32_e32 v2, 24, v11
	v_bfrev_b32_e32 v3, 1
	s_mov_b32 s27, exec_lo
	s_delay_alu instid0(VALU_DEP_2)
	v_cmpx_ne_u32_e32 0x80, v2
	s_cbranch_execz .LBB4_8861
; %bb.8856:                             ;   in Loop: Header=BB4_7930 Depth=2
	v_bfe_u32 v10, v11, 24, 7
	v_mov_b32_e32 v3, 0x7f800001
	s_mov_b32 s28, exec_lo
	s_delay_alu instid0(VALU_DEP_2)
	v_cmpx_ne_u32_e32 0x7f, v10
	s_cbranch_execz .LBB4_8860
; %bb.8857:                             ;   in Loop: Header=BB4_7930 Depth=2
	v_and_b32_e32 v14, 7, v2
	v_lshrrev_b32_e32 v3, 3, v10
	s_mov_b32 s29, exec_lo
	v_cmpx_gt_u32_e32 8, v10
; %bb.8858:                             ;   in Loop: Header=BB4_7930 Depth=2
	s_delay_alu instid0(VALU_DEP_3) | instskip(NEXT) | instid1(VALU_DEP_1)
	v_clz_i32_u32_e32 v3, v14
	v_min_u32_e32 v3, 32, v3
	s_delay_alu instid0(VALU_DEP_1) | instskip(NEXT) | instid1(VALU_DEP_1)
	v_subrev_nc_u32_e32 v10, 28, v3
	v_lshlrev_b64_e32 v[10:11], v10, v[14:15]
	s_delay_alu instid0(VALU_DEP_1)
	v_dual_sub_nc_u32 v3, 29, v3 :: v_dual_bitop2_b32 v14, 7, v10 bitop3:0x40
; %bb.8859:                             ;   in Loop: Header=BB4_7930 Depth=2
	s_or_b32 exec_lo, exec_lo, s29
	v_lshlrev_b32_e32 v2, 24, v2
	s_delay_alu instid0(VALU_DEP_2) | instskip(NEXT) | instid1(VALU_DEP_3)
	v_lshlrev_b32_e32 v10, 20, v14
	v_lshl_add_u32 v3, v3, 23, 0x3c000000
	s_delay_alu instid0(VALU_DEP_3) | instskip(NEXT) | instid1(VALU_DEP_1)
	v_and_b32_e32 v2, 0x80000000, v2
	v_or3_b32 v3, v10, v2, v3
.LBB4_8860:                             ;   in Loop: Header=BB4_7930 Depth=2
	s_or_b32 exec_lo, exec_lo, s28
.LBB4_8861:                             ;   in Loop: Header=BB4_7930 Depth=2
	s_delay_alu instid0(SALU_CYCLE_1)
	s_or_b32 exec_lo, exec_lo, s27
.LBB4_8862:                             ;   in Loop: Header=BB4_7930 Depth=2
	s_delay_alu instid0(SALU_CYCLE_1) | instskip(NEXT) | instid1(VALU_DEP_1)
	s_or_b32 exec_lo, exec_lo, s10
	v_mul_f32_e32 v3, s26, v3
                                        ; implicit-def: $vgpr97
	s_mov_b32 s10, exec_lo
	s_delay_alu instid0(VALU_DEP_1) | instskip(SKIP_1) | instid1(VALU_DEP_2)
	v_and_b32_e32 v14, 0x7f800000, v3
	v_lshrrev_b32_e32 v2, 24, v3
	v_cmpx_ne_u64_e32 0x7f800000, v[14:15]
	s_xor_b32 s27, exec_lo, s10
	s_cbranch_execz .LBB4_8876
; %bb.8863:                             ;   in Loop: Header=BB4_7930 Depth=2
	v_and_b32_e32 v14, 0x7fffffff, v3
	v_and_b32_e32 v2, 0x80, v2
                                        ; implicit-def: $vgpr97
	s_mov_b32 s10, exec_lo
	s_delay_alu instid0(VALU_DEP_2)
	v_cmpx_gt_u64_e32 0x43e00001, v[14:15]
	s_xor_b32 s28, exec_lo, s10
	s_cbranch_execz .LBB4_8873
; %bb.8864:                             ;   in Loop: Header=BB4_7930 Depth=2
	v_mov_b32_e32 v97, 0
	s_mov_b32 s29, exec_lo
	v_cmpx_ne_u32_e32 0, v3
	s_cbranch_execz .LBB4_8872
; %bb.8865:                             ;   in Loop: Header=BB4_7930 Depth=2
	v_bfe_u32 v97, v3, 23, 8
	v_and_b32_e32 v3, 0x7fffff, v3
	s_delay_alu instid0(VALU_DEP_2) | instskip(SKIP_1) | instid1(VALU_DEP_3)
	v_sub_nc_u32_e32 v10, 0x79, v97
	v_cmp_gt_u32_e32 vcc_lo, 0x7a, v97
	v_or_b32_e32 v14, 0x800000, v3
	s_delay_alu instid0(VALU_DEP_3) | instskip(SKIP_1) | instid1(VALU_DEP_3)
	v_cndmask_b32_e32 v10, 0, v10, vcc_lo
	v_cmp_eq_u32_e32 vcc_lo, 0, v97
	v_cndmask_b32_e32 v14, v14, v3, vcc_lo
	s_delay_alu instid0(VALU_DEP_3) | instskip(NEXT) | instid1(VALU_DEP_1)
	v_cndmask_b32_e64 v98, v10, 0x78, vcc_lo
	v_dual_add_nc_u32 v10, 20, v98 :: v_dual_add_nc_u32 v20, 19, v98
	s_delay_alu instid0(VALU_DEP_1) | instskip(NEXT) | instid1(VALU_DEP_2)
	v_lshlrev_b64_e64 v[10:11], v10, -1
	v_lshlrev_b64_e64 v[86:87], v20, 1
	s_delay_alu instid0(VALU_DEP_2) | instskip(NEXT) | instid1(VALU_DEP_3)
	v_bfi_b32 v93, v11, 0, 0
	v_bfi_b32 v92, v10, 0, v14
	v_lshrrev_b64 v[10:11], v98, v[14:15]
	s_delay_alu instid0(VALU_DEP_2) | instskip(NEXT) | instid1(VALU_DEP_2)
	v_cmp_eq_u64_e64 s10, v[92:93], v[86:87]
	v_mov_b64_e32 v[86:87], v[10:11]
	s_and_saveexec_b32 s40, s10
; %bb.8866:                             ;   in Loop: Header=BB4_7930 Depth=2
	v_bfe_u32 v14, v10, 20, 1
	s_delay_alu instid0(VALU_DEP_1) | instskip(NEXT) | instid1(VALU_DEP_1)
	v_add_nc_u64_e32 v[86:87], v[10:11], v[14:15]
	v_add_nc_u64_e32 v[86:87], -1, v[86:87]
; %bb.8867:                             ;   in Loop: Header=BB4_7930 Depth=2
	s_or_b32 exec_lo, exec_lo, s40
	v_add_nc_u32_e32 v3, 0xffffff81, v97
	v_lshrrev_b32_e32 v11, 23, v10
	s_mov_b32 s10, exec_lo
	s_delay_alu instid0(VALU_DEP_2) | instskip(NEXT) | instid1(VALU_DEP_1)
	v_cndmask_b32_e64 v3, v3, 0xffffff82, vcc_lo
	v_add3_u32 v87, v98, v3, v11
	v_and_b32_e32 v3, 0xfffff, v86
	s_delay_alu instid0(VALU_DEP_1) | instskip(NEXT) | instid1(VALU_DEP_1)
	v_dual_add_nc_u32 v86, 6, v87 :: v_dual_add_nc_u32 v14, v3, v10
                                        ; implicit-def: $vgpr10_vgpr11
                                        ; implicit-def: $vgpr3
	v_cmpx_ne_u32_e32 0, v86
	s_xor_b32 s10, exec_lo, s10
; %bb.8868:                             ;   in Loop: Header=BB4_7930 Depth=2
	s_delay_alu instid0(VALU_DEP_2) | instskip(SKIP_2) | instid1(VALU_DEP_2)
	v_cmp_lt_u64_e32 vcc_lo, 0xffffff, v[14:15]
	v_add_nc_u32_e32 v3, 7, v87
	v_cndmask_b32_e64 v10, 0, 1, vcc_lo
	v_cndmask_b32_e32 v3, v86, v3, vcc_lo
	s_delay_alu instid0(VALU_DEP_2)
	v_lshrrev_b64 v[10:11], v10, v[14:15]
; %bb.8869:                             ;   in Loop: Header=BB4_7930 Depth=2
	s_and_not1_saveexec_b32 s10, s10
; %bb.8870:                             ;   in Loop: Header=BB4_7930 Depth=2
	v_mov_b64_e32 v[10:11], v[14:15]
	v_bfe_u32 v3, v14, 23, 1
; %bb.8871:                             ;   in Loop: Header=BB4_7930 Depth=2
	s_or_b32 exec_lo, exec_lo, s10
	s_delay_alu instid0(VALU_DEP_2) | instskip(NEXT) | instid1(VALU_DEP_2)
	v_lshrrev_b64 v[10:11], 20, v[10:11]
	v_cmp_gt_i32_e32 vcc_lo, 16, v3
	v_min_i32_e32 v14, 15, v3
	v_cmp_eq_u32_e64 s10, 0, v3
	s_delay_alu instid0(VALU_DEP_4) | instskip(NEXT) | instid1(VALU_DEP_3)
	v_cndmask_b32_e32 v10, 7, v10, vcc_lo
	v_dual_cndmask_b32 v11, 0, v11 :: v_dual_lshlrev_b32 v14, 3, v14
	s_delay_alu instid0(VALU_DEP_1) | instskip(NEXT) | instid1(VALU_DEP_2)
	v_and_b32_e32 v14, 0xf8, v14
	v_cmp_eq_u64_e32 vcc_lo, 0, v[10:11]
	s_delay_alu instid0(VALU_DEP_2)
	v_and_or_b32 v3, v10, 7, v14
	s_and_b32 s10, s10, vcc_lo
	s_delay_alu instid0(VALU_DEP_1) | instid1(SALU_CYCLE_1)
	v_cndmask_b32_e64 v3, v3, 0, s10
	s_delay_alu instid0(VALU_DEP_1)
	v_or_b32_e32 v97, v3, v2
.LBB4_8872:                             ;   in Loop: Header=BB4_7930 Depth=2
	s_or_b32 exec_lo, exec_lo, s29
                                        ; implicit-def: $vgpr2
.LBB4_8873:                             ;   in Loop: Header=BB4_7930 Depth=2
	s_and_not1_saveexec_b32 s10, s28
; %bb.8874:                             ;   in Loop: Header=BB4_7930 Depth=2
	v_or_b32_e32 v97, 0x7e, v2
; %bb.8875:                             ;   in Loop: Header=BB4_7930 Depth=2
	s_or_b32 exec_lo, exec_lo, s10
                                        ; implicit-def: $vgpr2
.LBB4_8876:                             ;   in Loop: Header=BB4_7930 Depth=2
	s_and_not1_saveexec_b32 s10, s27
; %bb.8877:                             ;   in Loop: Header=BB4_7930 Depth=2
	v_or_b32_e32 v97, 0x7f, v2
; %bb.8878:                             ;   in Loop: Header=BB4_7930 Depth=2
	s_or_b32 exec_lo, exec_lo, s10
	v_and_b32_e32 v3, 0xff, v12
	v_mov_b32_e32 v2, 0
	s_mov_b32 s10, exec_lo
	s_delay_alu instid0(VALU_DEP_2)
	v_cmpx_ne_u16_e32 0, v3
	s_cbranch_execz .LBB4_8884
; %bb.8879:                             ;   in Loop: Header=BB4_7930 Depth=2
	v_bfrev_b32_e32 v2, 1
	s_mov_b32 s27, exec_lo
	v_cmpx_ne_u16_e32 0x80, v3
	s_cbranch_execz .LBB4_8883
; %bb.8880:                             ;   in Loop: Header=BB4_7930 Depth=2
	v_and_b32_e32 v3, 0x7f, v12
	v_mov_b32_e32 v2, 0x7f800001
	s_mov_b32 s28, exec_lo
	s_delay_alu instid0(VALU_DEP_2)
	v_cmpx_ne_u32_e32 0x7f, v3
	s_cbranch_execz .LBB4_8882
; %bb.8881:                             ;   in Loop: Header=BB4_7930 Depth=2
	v_dual_lshrrev_b32 v10, 3, v3 :: v_dual_bitop2_b32 v2, 7, v12 bitop3:0x40
	v_cmp_gt_u32_e32 vcc_lo, 8, v3
	s_delay_alu instid0(VALU_DEP_2) | instskip(NEXT) | instid1(VALU_DEP_1)
	v_clz_i32_u32_e32 v2, v2
	v_min_u32_e32 v2, 32, v2
	s_delay_alu instid0(VALU_DEP_1) | instskip(SKIP_1) | instid1(VALU_DEP_1)
	v_subrev_nc_u32_e32 v11, 28, v2
	v_sub_nc_u32_e32 v2, 29, v2
	v_dual_cndmask_b32 v10, v10, v2, vcc_lo :: v_dual_cndmask_b32 v2, 0, v11, vcc_lo
	s_delay_alu instid0(VALU_DEP_1) | instskip(NEXT) | instid1(VALU_DEP_2)
	v_lshl_add_u32 v10, v10, 23, 0x3c000000
	v_lshlrev_b64_e32 v[2:3], v2, v[12:13]
	v_lshlrev_b32_e32 v3, 24, v12
	s_delay_alu instid0(VALU_DEP_1) | instskip(NEXT) | instid1(VALU_DEP_3)
	v_and_b32_e32 v3, 0x80000000, v3
	v_lshlrev_b32_e32 v2, 20, v2
	s_delay_alu instid0(VALU_DEP_1) | instskip(NEXT) | instid1(VALU_DEP_1)
	v_and_b32_e32 v2, 0x700000, v2
	v_or3_b32 v2, v2, v3, v10
.LBB4_8882:                             ;   in Loop: Header=BB4_7930 Depth=2
	s_or_b32 exec_lo, exec_lo, s28
.LBB4_8883:                             ;   in Loop: Header=BB4_7930 Depth=2
	s_delay_alu instid0(SALU_CYCLE_1)
	s_or_b32 exec_lo, exec_lo, s27
.LBB4_8884:                             ;   in Loop: Header=BB4_7930 Depth=2
	s_delay_alu instid0(SALU_CYCLE_1) | instskip(NEXT) | instid1(VALU_DEP_1)
	s_or_b32 exec_lo, exec_lo, s10
	v_mul_f32_e32 v3, s26, v2
                                        ; implicit-def: $vgpr92
	s_mov_b32 s10, exec_lo
	s_delay_alu instid0(VALU_DEP_1) | instskip(SKIP_1) | instid1(VALU_DEP_2)
	v_and_b32_e32 v14, 0x7f800000, v3
	v_lshrrev_b32_e32 v2, 24, v3
	v_cmpx_ne_u64_e32 0x7f800000, v[14:15]
	s_xor_b32 s27, exec_lo, s10
	s_cbranch_execz .LBB4_8898
; %bb.8885:                             ;   in Loop: Header=BB4_7930 Depth=2
	v_and_b32_e32 v14, 0x7fffffff, v3
	v_and_b32_e32 v2, 0x80, v2
                                        ; implicit-def: $vgpr92
	s_mov_b32 s10, exec_lo
	s_delay_alu instid0(VALU_DEP_2)
	v_cmpx_gt_u64_e32 0x43e00001, v[14:15]
	s_xor_b32 s28, exec_lo, s10
	s_cbranch_execz .LBB4_8895
; %bb.8886:                             ;   in Loop: Header=BB4_7930 Depth=2
	v_mov_b32_e32 v92, 0
	s_mov_b32 s29, exec_lo
	v_cmpx_ne_u32_e32 0, v3
	s_cbranch_execz .LBB4_8894
; %bb.8887:                             ;   in Loop: Header=BB4_7930 Depth=2
	v_bfe_u32 v98, v3, 23, 8
	v_and_b32_e32 v3, 0x7fffff, v3
	s_delay_alu instid0(VALU_DEP_2) | instskip(SKIP_1) | instid1(VALU_DEP_3)
	v_sub_nc_u32_e32 v10, 0x79, v98
	v_cmp_gt_u32_e32 vcc_lo, 0x7a, v98
	v_or_b32_e32 v14, 0x800000, v3
	s_delay_alu instid0(VALU_DEP_3) | instskip(SKIP_1) | instid1(VALU_DEP_2)
	v_cndmask_b32_e32 v10, 0, v10, vcc_lo
	v_cmp_eq_u32_e32 vcc_lo, 0, v98
	v_cndmask_b32_e64 v113, v10, 0x78, vcc_lo
	s_delay_alu instid0(VALU_DEP_1) | instskip(SKIP_1) | instid1(VALU_DEP_2)
	v_dual_cndmask_b32 v14, v14, v3, vcc_lo :: v_dual_add_nc_u32 v10, 20, v113
	v_add_nc_u32_e32 v20, 19, v113
	v_lshlrev_b64_e64 v[10:11], v10, -1
	s_delay_alu instid0(VALU_DEP_2) | instskip(NEXT) | instid1(VALU_DEP_2)
	v_lshlrev_b64_e64 v[86:87], v20, 1
	v_bfi_b32 v93, v11, 0, 0
	s_delay_alu instid0(VALU_DEP_3) | instskip(SKIP_1) | instid1(VALU_DEP_2)
	v_bfi_b32 v92, v10, 0, v14
	v_lshrrev_b64 v[10:11], v113, v[14:15]
	v_cmp_eq_u64_e64 s10, v[92:93], v[86:87]
	s_delay_alu instid0(VALU_DEP_2)
	v_mov_b64_e32 v[86:87], v[10:11]
	s_and_saveexec_b32 s40, s10
; %bb.8888:                             ;   in Loop: Header=BB4_7930 Depth=2
	v_bfe_u32 v14, v10, 20, 1
	s_delay_alu instid0(VALU_DEP_1) | instskip(NEXT) | instid1(VALU_DEP_1)
	v_add_nc_u64_e32 v[86:87], v[10:11], v[14:15]
	v_add_nc_u64_e32 v[86:87], -1, v[86:87]
; %bb.8889:                             ;   in Loop: Header=BB4_7930 Depth=2
	s_or_b32 exec_lo, exec_lo, s40
	v_add_nc_u32_e32 v3, 0xffffff81, v98
	v_lshrrev_b32_e32 v11, 23, v10
	s_mov_b32 s10, exec_lo
	s_delay_alu instid0(VALU_DEP_2) | instskip(NEXT) | instid1(VALU_DEP_1)
	v_cndmask_b32_e64 v3, v3, 0xffffff82, vcc_lo
	v_add3_u32 v87, v113, v3, v11
	v_and_b32_e32 v3, 0xfffff, v86
	s_delay_alu instid0(VALU_DEP_1) | instskip(NEXT) | instid1(VALU_DEP_1)
	v_dual_add_nc_u32 v86, 6, v87 :: v_dual_add_nc_u32 v14, v3, v10
                                        ; implicit-def: $vgpr10_vgpr11
                                        ; implicit-def: $vgpr3
	v_cmpx_ne_u32_e32 0, v86
	s_xor_b32 s10, exec_lo, s10
; %bb.8890:                             ;   in Loop: Header=BB4_7930 Depth=2
	s_delay_alu instid0(VALU_DEP_2) | instskip(SKIP_2) | instid1(VALU_DEP_2)
	v_cmp_lt_u64_e32 vcc_lo, 0xffffff, v[14:15]
	v_add_nc_u32_e32 v3, 7, v87
	v_cndmask_b32_e64 v10, 0, 1, vcc_lo
	v_cndmask_b32_e32 v3, v86, v3, vcc_lo
	s_delay_alu instid0(VALU_DEP_2)
	v_lshrrev_b64 v[10:11], v10, v[14:15]
; %bb.8891:                             ;   in Loop: Header=BB4_7930 Depth=2
	s_and_not1_saveexec_b32 s10, s10
; %bb.8892:                             ;   in Loop: Header=BB4_7930 Depth=2
	v_mov_b64_e32 v[10:11], v[14:15]
	v_bfe_u32 v3, v14, 23, 1
; %bb.8893:                             ;   in Loop: Header=BB4_7930 Depth=2
	s_or_b32 exec_lo, exec_lo, s10
	s_delay_alu instid0(VALU_DEP_2) | instskip(NEXT) | instid1(VALU_DEP_2)
	v_lshrrev_b64 v[10:11], 20, v[10:11]
	v_cmp_gt_i32_e32 vcc_lo, 16, v3
	v_min_i32_e32 v14, 15, v3
	v_cmp_eq_u32_e64 s10, 0, v3
	s_delay_alu instid0(VALU_DEP_4) | instskip(NEXT) | instid1(VALU_DEP_3)
	v_cndmask_b32_e32 v10, 7, v10, vcc_lo
	v_dual_cndmask_b32 v11, 0, v11 :: v_dual_lshlrev_b32 v14, 3, v14
	s_delay_alu instid0(VALU_DEP_1) | instskip(NEXT) | instid1(VALU_DEP_2)
	v_and_b32_e32 v14, 0xf8, v14
	v_cmp_eq_u64_e32 vcc_lo, 0, v[10:11]
	s_delay_alu instid0(VALU_DEP_2)
	v_and_or_b32 v3, v10, 7, v14
	s_and_b32 s10, s10, vcc_lo
	s_delay_alu instid0(VALU_DEP_1) | instid1(SALU_CYCLE_1)
	v_cndmask_b32_e64 v3, v3, 0, s10
	s_delay_alu instid0(VALU_DEP_1)
	v_or_b32_e32 v92, v3, v2
.LBB4_8894:                             ;   in Loop: Header=BB4_7930 Depth=2
	s_or_b32 exec_lo, exec_lo, s29
                                        ; implicit-def: $vgpr2
.LBB4_8895:                             ;   in Loop: Header=BB4_7930 Depth=2
	s_and_not1_saveexec_b32 s10, s28
; %bb.8896:                             ;   in Loop: Header=BB4_7930 Depth=2
	v_or_b32_e32 v92, 0x7e, v2
; %bb.8897:                             ;   in Loop: Header=BB4_7930 Depth=2
	s_or_b32 exec_lo, exec_lo, s10
                                        ; implicit-def: $vgpr2
.LBB4_8898:                             ;   in Loop: Header=BB4_7930 Depth=2
	s_and_not1_saveexec_b32 s10, s27
; %bb.8899:                             ;   in Loop: Header=BB4_7930 Depth=2
	v_or_b32_e32 v92, 0x7f, v2
; %bb.8900:                             ;   in Loop: Header=BB4_7930 Depth=2
	s_or_b32 exec_lo, exec_lo, s10
	v_lshrrev_b16 v3, 8, v12
	v_mov_b32_e32 v2, 0
	s_mov_b32 s10, exec_lo
	s_delay_alu instid0(VALU_DEP_2)
	v_cmpx_ne_u16_e32 0, v3
	s_cbranch_execz .LBB4_8908
; %bb.8901:                             ;   in Loop: Header=BB4_7930 Depth=2
	v_bfrev_b32_e32 v2, 1
	s_mov_b32 s27, exec_lo
	v_cmpx_ne_u16_e32 0x80, v3
	s_cbranch_execz .LBB4_8907
; %bb.8902:                             ;   in Loop: Header=BB4_7930 Depth=2
	v_and_b32_e32 v10, 0xffff, v3
	v_mov_b32_e32 v2, 0x7f800001
	s_mov_b32 s28, exec_lo
	s_delay_alu instid0(VALU_DEP_2) | instskip(NEXT) | instid1(VALU_DEP_1)
	v_and_b32_e32 v3, 0x7f, v10
	v_cmpx_ne_u32_e32 0x7f, v3
	s_cbranch_execz .LBB4_8906
; %bb.8903:                             ;   in Loop: Header=BB4_7930 Depth=2
	v_dual_lshrrev_b32 v2, 3, v3 :: v_dual_bitop2_b32 v14, 7, v10 bitop3:0x40
	s_mov_b32 s29, exec_lo
	v_cmpx_gt_u32_e32 8, v3
; %bb.8904:                             ;   in Loop: Header=BB4_7930 Depth=2
	s_delay_alu instid0(VALU_DEP_2) | instskip(NEXT) | instid1(VALU_DEP_1)
	v_clz_i32_u32_e32 v2, v14
	v_min_u32_e32 v2, 32, v2
	s_delay_alu instid0(VALU_DEP_1) | instskip(SKIP_1) | instid1(VALU_DEP_2)
	v_subrev_nc_u32_e32 v3, 28, v2
	v_sub_nc_u32_e32 v2, 29, v2
	v_lshlrev_b64_e32 v[10:11], v3, v[14:15]
	s_delay_alu instid0(VALU_DEP_1)
	v_and_b32_e32 v14, 7, v10
; %bb.8905:                             ;   in Loop: Header=BB4_7930 Depth=2
	s_or_b32 exec_lo, exec_lo, s29
	s_delay_alu instid0(VALU_DEP_1) | instskip(SKIP_1) | instid1(VALU_DEP_2)
	v_dual_lshlrev_b32 v3, 16, v12 :: v_dual_lshlrev_b32 v10, 20, v14
	v_lshl_add_u32 v2, v2, 23, 0x3c000000
	v_and_b32_e32 v3, 0x80000000, v3
	s_delay_alu instid0(VALU_DEP_1)
	v_or3_b32 v2, v10, v3, v2
.LBB4_8906:                             ;   in Loop: Header=BB4_7930 Depth=2
	s_or_b32 exec_lo, exec_lo, s28
.LBB4_8907:                             ;   in Loop: Header=BB4_7930 Depth=2
	s_delay_alu instid0(SALU_CYCLE_1)
	s_or_b32 exec_lo, exec_lo, s27
.LBB4_8908:                             ;   in Loop: Header=BB4_7930 Depth=2
	s_delay_alu instid0(SALU_CYCLE_1) | instskip(NEXT) | instid1(VALU_DEP_1)
	s_or_b32 exec_lo, exec_lo, s10
	v_mul_f32_e32 v3, s26, v2
                                        ; implicit-def: $vgpr93
	s_mov_b32 s10, exec_lo
	s_delay_alu instid0(VALU_DEP_1) | instskip(SKIP_1) | instid1(VALU_DEP_2)
	v_and_b32_e32 v14, 0x7f800000, v3
	v_lshrrev_b32_e32 v2, 24, v3
	v_cmpx_ne_u64_e32 0x7f800000, v[14:15]
	s_xor_b32 s27, exec_lo, s10
	s_cbranch_execz .LBB4_8922
; %bb.8909:                             ;   in Loop: Header=BB4_7930 Depth=2
	v_and_b32_e32 v14, 0x7fffffff, v3
	v_and_b32_e32 v2, 0x80, v2
                                        ; implicit-def: $vgpr93
	s_mov_b32 s10, exec_lo
	s_delay_alu instid0(VALU_DEP_2)
	v_cmpx_gt_u64_e32 0x43e00001, v[14:15]
	s_xor_b32 s28, exec_lo, s10
	s_cbranch_execz .LBB4_8919
; %bb.8910:                             ;   in Loop: Header=BB4_7930 Depth=2
	v_mov_b32_e32 v93, 0
	s_mov_b32 s29, exec_lo
	v_cmpx_ne_u32_e32 0, v3
	s_cbranch_execz .LBB4_8918
; %bb.8911:                             ;   in Loop: Header=BB4_7930 Depth=2
	v_bfe_u32 v98, v3, 23, 8
	v_and_b32_e32 v3, 0x7fffff, v3
	s_delay_alu instid0(VALU_DEP_2) | instskip(SKIP_1) | instid1(VALU_DEP_3)
	v_sub_nc_u32_e32 v10, 0x79, v98
	v_cmp_gt_u32_e32 vcc_lo, 0x7a, v98
	v_or_b32_e32 v14, 0x800000, v3
	s_delay_alu instid0(VALU_DEP_3) | instskip(SKIP_1) | instid1(VALU_DEP_2)
	v_cndmask_b32_e32 v10, 0, v10, vcc_lo
	v_cmp_eq_u32_e32 vcc_lo, 0, v98
	v_cndmask_b32_e64 v113, v10, 0x78, vcc_lo
	s_delay_alu instid0(VALU_DEP_1) | instskip(SKIP_1) | instid1(VALU_DEP_2)
	v_dual_cndmask_b32 v14, v14, v3, vcc_lo :: v_dual_add_nc_u32 v10, 20, v113
	v_add_nc_u32_e32 v20, 19, v113
	v_lshlrev_b64_e64 v[10:11], v10, -1
	s_delay_alu instid0(VALU_DEP_2) | instskip(NEXT) | instid1(VALU_DEP_2)
	v_lshlrev_b64_e64 v[86:87], v20, 1
	v_bfi_b32 v95, v11, 0, 0
	s_delay_alu instid0(VALU_DEP_3) | instskip(SKIP_1) | instid1(VALU_DEP_2)
	v_bfi_b32 v94, v10, 0, v14
	v_lshrrev_b64 v[10:11], v113, v[14:15]
	v_cmp_eq_u64_e64 s10, v[94:95], v[86:87]
	s_delay_alu instid0(VALU_DEP_2)
	v_mov_b64_e32 v[86:87], v[10:11]
	s_and_saveexec_b32 s40, s10
; %bb.8912:                             ;   in Loop: Header=BB4_7930 Depth=2
	v_bfe_u32 v14, v10, 20, 1
	s_delay_alu instid0(VALU_DEP_1) | instskip(NEXT) | instid1(VALU_DEP_1)
	v_add_nc_u64_e32 v[86:87], v[10:11], v[14:15]
	v_add_nc_u64_e32 v[86:87], -1, v[86:87]
; %bb.8913:                             ;   in Loop: Header=BB4_7930 Depth=2
	s_or_b32 exec_lo, exec_lo, s40
	v_add_nc_u32_e32 v3, 0xffffff81, v98
	v_lshrrev_b32_e32 v11, 23, v10
	s_mov_b32 s10, exec_lo
	s_delay_alu instid0(VALU_DEP_2) | instskip(NEXT) | instid1(VALU_DEP_1)
	v_cndmask_b32_e64 v3, v3, 0xffffff82, vcc_lo
	v_add3_u32 v87, v113, v3, v11
	v_and_b32_e32 v3, 0xfffff, v86
	s_delay_alu instid0(VALU_DEP_1) | instskip(NEXT) | instid1(VALU_DEP_1)
	v_dual_add_nc_u32 v86, 6, v87 :: v_dual_add_nc_u32 v14, v3, v10
                                        ; implicit-def: $vgpr10_vgpr11
                                        ; implicit-def: $vgpr3
	v_cmpx_ne_u32_e32 0, v86
	s_xor_b32 s10, exec_lo, s10
; %bb.8914:                             ;   in Loop: Header=BB4_7930 Depth=2
	s_delay_alu instid0(VALU_DEP_2) | instskip(SKIP_2) | instid1(VALU_DEP_2)
	v_cmp_lt_u64_e32 vcc_lo, 0xffffff, v[14:15]
	v_add_nc_u32_e32 v3, 7, v87
	v_cndmask_b32_e64 v10, 0, 1, vcc_lo
	v_cndmask_b32_e32 v3, v86, v3, vcc_lo
	s_delay_alu instid0(VALU_DEP_2)
	v_lshrrev_b64 v[10:11], v10, v[14:15]
; %bb.8915:                             ;   in Loop: Header=BB4_7930 Depth=2
	s_and_not1_saveexec_b32 s10, s10
; %bb.8916:                             ;   in Loop: Header=BB4_7930 Depth=2
	v_mov_b64_e32 v[10:11], v[14:15]
	v_bfe_u32 v3, v14, 23, 1
; %bb.8917:                             ;   in Loop: Header=BB4_7930 Depth=2
	s_or_b32 exec_lo, exec_lo, s10
	s_delay_alu instid0(VALU_DEP_2) | instskip(NEXT) | instid1(VALU_DEP_2)
	v_lshrrev_b64 v[10:11], 20, v[10:11]
	v_cmp_gt_i32_e32 vcc_lo, 16, v3
	v_min_i32_e32 v14, 15, v3
	v_cmp_eq_u32_e64 s10, 0, v3
	s_delay_alu instid0(VALU_DEP_4) | instskip(NEXT) | instid1(VALU_DEP_3)
	v_cndmask_b32_e32 v10, 7, v10, vcc_lo
	v_dual_cndmask_b32 v11, 0, v11 :: v_dual_lshlrev_b32 v14, 3, v14
	s_delay_alu instid0(VALU_DEP_1) | instskip(NEXT) | instid1(VALU_DEP_2)
	v_and_b32_e32 v14, 0xf8, v14
	v_cmp_eq_u64_e32 vcc_lo, 0, v[10:11]
	s_delay_alu instid0(VALU_DEP_2)
	v_and_or_b32 v3, v10, 7, v14
	s_and_b32 s10, s10, vcc_lo
	s_delay_alu instid0(VALU_DEP_1) | instid1(SALU_CYCLE_1)
	v_cndmask_b32_e64 v3, v3, 0, s10
	s_delay_alu instid0(VALU_DEP_1)
	v_or_b32_e32 v93, v3, v2
.LBB4_8918:                             ;   in Loop: Header=BB4_7930 Depth=2
	s_or_b32 exec_lo, exec_lo, s29
                                        ; implicit-def: $vgpr2
.LBB4_8919:                             ;   in Loop: Header=BB4_7930 Depth=2
	s_and_not1_saveexec_b32 s10, s28
; %bb.8920:                             ;   in Loop: Header=BB4_7930 Depth=2
	v_or_b32_e32 v93, 0x7e, v2
; %bb.8921:                             ;   in Loop: Header=BB4_7930 Depth=2
	s_or_b32 exec_lo, exec_lo, s10
                                        ; implicit-def: $vgpr2
.LBB4_8922:                             ;   in Loop: Header=BB4_7930 Depth=2
	s_and_not1_saveexec_b32 s10, s27
; %bb.8923:                             ;   in Loop: Header=BB4_7930 Depth=2
	v_or_b32_e32 v93, 0x7f, v2
; %bb.8924:                             ;   in Loop: Header=BB4_7930 Depth=2
	s_or_b32 exec_lo, exec_lo, s10
	v_dual_mov_b32 v3, 0 :: v_dual_lshrrev_b32 v2, 16, v12
	s_mov_b32 s10, exec_lo
	s_delay_alu instid0(VALU_DEP_1) | instskip(NEXT) | instid1(VALU_DEP_1)
	v_and_b32_e32 v10, 0xff, v2
	v_cmpx_ne_u16_e32 0, v10
	s_cbranch_execz .LBB4_8932
; %bb.8925:                             ;   in Loop: Header=BB4_7930 Depth=2
	v_bfrev_b32_e32 v3, 1
	s_mov_b32 s27, exec_lo
	v_cmpx_ne_u16_e32 0x80, v10
	s_cbranch_execz .LBB4_8931
; %bb.8926:                             ;   in Loop: Header=BB4_7930 Depth=2
	v_bfe_u32 v10, v12, 16, 7
	v_mov_b32_e32 v3, 0x7f800001
	s_mov_b32 s28, exec_lo
	s_delay_alu instid0(VALU_DEP_2)
	v_cmpx_ne_u32_e32 0x7f, v10
	s_cbranch_execz .LBB4_8930
; %bb.8927:                             ;   in Loop: Header=BB4_7930 Depth=2
	v_and_b32_e32 v14, 7, v2
	v_lshrrev_b32_e32 v3, 3, v10
	s_mov_b32 s29, exec_lo
	v_cmpx_gt_u32_e32 8, v10
; %bb.8928:                             ;   in Loop: Header=BB4_7930 Depth=2
	s_delay_alu instid0(VALU_DEP_3) | instskip(NEXT) | instid1(VALU_DEP_1)
	v_clz_i32_u32_e32 v3, v14
	v_min_u32_e32 v3, 32, v3
	s_delay_alu instid0(VALU_DEP_1) | instskip(NEXT) | instid1(VALU_DEP_1)
	v_subrev_nc_u32_e32 v10, 28, v3
	v_lshlrev_b64_e32 v[10:11], v10, v[14:15]
	s_delay_alu instid0(VALU_DEP_1)
	v_dual_sub_nc_u32 v3, 29, v3 :: v_dual_bitop2_b32 v14, 7, v10 bitop3:0x40
; %bb.8929:                             ;   in Loop: Header=BB4_7930 Depth=2
	s_or_b32 exec_lo, exec_lo, s29
	v_lshlrev_b32_e32 v2, 24, v2
	s_delay_alu instid0(VALU_DEP_2) | instskip(NEXT) | instid1(VALU_DEP_3)
	v_lshlrev_b32_e32 v10, 20, v14
	v_lshl_add_u32 v3, v3, 23, 0x3c000000
	s_delay_alu instid0(VALU_DEP_3) | instskip(NEXT) | instid1(VALU_DEP_1)
	v_and_b32_e32 v2, 0x80000000, v2
	v_or3_b32 v3, v10, v2, v3
.LBB4_8930:                             ;   in Loop: Header=BB4_7930 Depth=2
	s_or_b32 exec_lo, exec_lo, s28
.LBB4_8931:                             ;   in Loop: Header=BB4_7930 Depth=2
	s_delay_alu instid0(SALU_CYCLE_1)
	s_or_b32 exec_lo, exec_lo, s27
.LBB4_8932:                             ;   in Loop: Header=BB4_7930 Depth=2
	s_delay_alu instid0(SALU_CYCLE_1) | instskip(NEXT) | instid1(VALU_DEP_1)
	s_or_b32 exec_lo, exec_lo, s10
	v_mul_f32_e32 v3, s26, v3
                                        ; implicit-def: $vgpr94
	s_mov_b32 s10, exec_lo
	s_delay_alu instid0(VALU_DEP_1) | instskip(SKIP_1) | instid1(VALU_DEP_2)
	v_and_b32_e32 v14, 0x7f800000, v3
	v_lshrrev_b32_e32 v2, 24, v3
	v_cmpx_ne_u64_e32 0x7f800000, v[14:15]
	s_xor_b32 s27, exec_lo, s10
	s_cbranch_execz .LBB4_8946
; %bb.8933:                             ;   in Loop: Header=BB4_7930 Depth=2
	v_and_b32_e32 v14, 0x7fffffff, v3
	v_and_b32_e32 v2, 0x80, v2
                                        ; implicit-def: $vgpr94
	s_mov_b32 s10, exec_lo
	s_delay_alu instid0(VALU_DEP_2)
	v_cmpx_gt_u64_e32 0x43e00001, v[14:15]
	s_xor_b32 s28, exec_lo, s10
	s_cbranch_execz .LBB4_8943
; %bb.8934:                             ;   in Loop: Header=BB4_7930 Depth=2
	v_mov_b32_e32 v94, 0
	s_mov_b32 s29, exec_lo
	v_cmpx_ne_u32_e32 0, v3
	s_cbranch_execz .LBB4_8942
; %bb.8935:                             ;   in Loop: Header=BB4_7930 Depth=2
	v_bfe_u32 v98, v3, 23, 8
	v_and_b32_e32 v3, 0x7fffff, v3
	s_delay_alu instid0(VALU_DEP_2) | instskip(SKIP_1) | instid1(VALU_DEP_3)
	v_sub_nc_u32_e32 v10, 0x79, v98
	v_cmp_gt_u32_e32 vcc_lo, 0x7a, v98
	v_or_b32_e32 v14, 0x800000, v3
	s_delay_alu instid0(VALU_DEP_3) | instskip(SKIP_1) | instid1(VALU_DEP_2)
	v_cndmask_b32_e32 v10, 0, v10, vcc_lo
	v_cmp_eq_u32_e32 vcc_lo, 0, v98
	v_cndmask_b32_e64 v113, v10, 0x78, vcc_lo
	s_delay_alu instid0(VALU_DEP_1) | instskip(SKIP_1) | instid1(VALU_DEP_2)
	v_dual_cndmask_b32 v14, v14, v3, vcc_lo :: v_dual_add_nc_u32 v10, 20, v113
	v_add_nc_u32_e32 v20, 19, v113
	v_lshlrev_b64_e64 v[10:11], v10, -1
	s_delay_alu instid0(VALU_DEP_2) | instskip(NEXT) | instid1(VALU_DEP_2)
	v_lshlrev_b64_e64 v[86:87], v20, 1
	v_bfi_b32 v95, v11, 0, 0
	s_delay_alu instid0(VALU_DEP_3) | instskip(SKIP_1) | instid1(VALU_DEP_2)
	v_bfi_b32 v94, v10, 0, v14
	v_lshrrev_b64 v[10:11], v113, v[14:15]
	v_cmp_eq_u64_e64 s10, v[94:95], v[86:87]
	s_delay_alu instid0(VALU_DEP_2)
	v_mov_b64_e32 v[86:87], v[10:11]
	s_and_saveexec_b32 s40, s10
; %bb.8936:                             ;   in Loop: Header=BB4_7930 Depth=2
	v_bfe_u32 v14, v10, 20, 1
	s_delay_alu instid0(VALU_DEP_1) | instskip(NEXT) | instid1(VALU_DEP_1)
	v_add_nc_u64_e32 v[86:87], v[10:11], v[14:15]
	v_add_nc_u64_e32 v[86:87], -1, v[86:87]
; %bb.8937:                             ;   in Loop: Header=BB4_7930 Depth=2
	s_or_b32 exec_lo, exec_lo, s40
	v_add_nc_u32_e32 v3, 0xffffff81, v98
	v_lshrrev_b32_e32 v11, 23, v10
	s_mov_b32 s10, exec_lo
	s_delay_alu instid0(VALU_DEP_2) | instskip(NEXT) | instid1(VALU_DEP_1)
	v_cndmask_b32_e64 v3, v3, 0xffffff82, vcc_lo
	v_add3_u32 v87, v113, v3, v11
	v_and_b32_e32 v3, 0xfffff, v86
	s_delay_alu instid0(VALU_DEP_1) | instskip(NEXT) | instid1(VALU_DEP_1)
	v_dual_add_nc_u32 v86, 6, v87 :: v_dual_add_nc_u32 v14, v3, v10
                                        ; implicit-def: $vgpr10_vgpr11
                                        ; implicit-def: $vgpr3
	v_cmpx_ne_u32_e32 0, v86
	s_xor_b32 s10, exec_lo, s10
; %bb.8938:                             ;   in Loop: Header=BB4_7930 Depth=2
	s_delay_alu instid0(VALU_DEP_2) | instskip(SKIP_2) | instid1(VALU_DEP_2)
	v_cmp_lt_u64_e32 vcc_lo, 0xffffff, v[14:15]
	v_add_nc_u32_e32 v3, 7, v87
	v_cndmask_b32_e64 v10, 0, 1, vcc_lo
	v_cndmask_b32_e32 v3, v86, v3, vcc_lo
	s_delay_alu instid0(VALU_DEP_2)
	v_lshrrev_b64 v[10:11], v10, v[14:15]
; %bb.8939:                             ;   in Loop: Header=BB4_7930 Depth=2
	s_and_not1_saveexec_b32 s10, s10
; %bb.8940:                             ;   in Loop: Header=BB4_7930 Depth=2
	v_mov_b64_e32 v[10:11], v[14:15]
	v_bfe_u32 v3, v14, 23, 1
; %bb.8941:                             ;   in Loop: Header=BB4_7930 Depth=2
	s_or_b32 exec_lo, exec_lo, s10
	s_delay_alu instid0(VALU_DEP_2) | instskip(NEXT) | instid1(VALU_DEP_2)
	v_lshrrev_b64 v[10:11], 20, v[10:11]
	v_cmp_gt_i32_e32 vcc_lo, 16, v3
	v_min_i32_e32 v14, 15, v3
	v_cmp_eq_u32_e64 s10, 0, v3
	s_delay_alu instid0(VALU_DEP_4) | instskip(NEXT) | instid1(VALU_DEP_3)
	v_cndmask_b32_e32 v10, 7, v10, vcc_lo
	v_dual_cndmask_b32 v11, 0, v11 :: v_dual_lshlrev_b32 v14, 3, v14
	s_delay_alu instid0(VALU_DEP_1) | instskip(NEXT) | instid1(VALU_DEP_2)
	v_and_b32_e32 v14, 0xf8, v14
	v_cmp_eq_u64_e32 vcc_lo, 0, v[10:11]
	s_delay_alu instid0(VALU_DEP_2)
	v_and_or_b32 v3, v10, 7, v14
	s_and_b32 s10, s10, vcc_lo
	s_delay_alu instid0(VALU_DEP_1) | instid1(SALU_CYCLE_1)
	v_cndmask_b32_e64 v3, v3, 0, s10
	s_delay_alu instid0(VALU_DEP_1)
	v_or_b32_e32 v94, v3, v2
.LBB4_8942:                             ;   in Loop: Header=BB4_7930 Depth=2
	s_or_b32 exec_lo, exec_lo, s29
                                        ; implicit-def: $vgpr2
.LBB4_8943:                             ;   in Loop: Header=BB4_7930 Depth=2
	s_and_not1_saveexec_b32 s10, s28
; %bb.8944:                             ;   in Loop: Header=BB4_7930 Depth=2
	v_or_b32_e32 v94, 0x7e, v2
; %bb.8945:                             ;   in Loop: Header=BB4_7930 Depth=2
	s_or_b32 exec_lo, exec_lo, s10
                                        ; implicit-def: $vgpr2
.LBB4_8946:                             ;   in Loop: Header=BB4_7930 Depth=2
	s_and_not1_saveexec_b32 s10, s27
; %bb.8947:                             ;   in Loop: Header=BB4_7930 Depth=2
	v_or_b32_e32 v94, 0x7f, v2
; %bb.8948:                             ;   in Loop: Header=BB4_7930 Depth=2
	s_or_b32 exec_lo, exec_lo, s10
	v_mov_b32_e32 v3, 0
	s_mov_b32 s10, exec_lo
	v_cmpx_lt_u32_e32 0xffffff, v12
	s_cbranch_execz .LBB4_8956
; %bb.8949:                             ;   in Loop: Header=BB4_7930 Depth=2
	v_lshrrev_b32_e32 v2, 24, v12
	v_bfrev_b32_e32 v3, 1
	s_mov_b32 s27, exec_lo
	s_delay_alu instid0(VALU_DEP_2)
	v_cmpx_ne_u32_e32 0x80, v2
	s_cbranch_execz .LBB4_8955
; %bb.8950:                             ;   in Loop: Header=BB4_7930 Depth=2
	v_bfe_u32 v10, v12, 24, 7
	v_mov_b32_e32 v3, 0x7f800001
	s_mov_b32 s28, exec_lo
	s_delay_alu instid0(VALU_DEP_2)
	v_cmpx_ne_u32_e32 0x7f, v10
	s_cbranch_execz .LBB4_8954
; %bb.8951:                             ;   in Loop: Header=BB4_7930 Depth=2
	v_and_b32_e32 v14, 7, v2
	v_lshrrev_b32_e32 v3, 3, v10
	s_mov_b32 s29, exec_lo
	v_cmpx_gt_u32_e32 8, v10
; %bb.8952:                             ;   in Loop: Header=BB4_7930 Depth=2
	s_delay_alu instid0(VALU_DEP_3) | instskip(NEXT) | instid1(VALU_DEP_1)
	v_clz_i32_u32_e32 v3, v14
	v_min_u32_e32 v3, 32, v3
	s_delay_alu instid0(VALU_DEP_1) | instskip(NEXT) | instid1(VALU_DEP_1)
	v_subrev_nc_u32_e32 v10, 28, v3
	v_lshlrev_b64_e32 v[10:11], v10, v[14:15]
	s_delay_alu instid0(VALU_DEP_1)
	v_dual_sub_nc_u32 v3, 29, v3 :: v_dual_bitop2_b32 v14, 7, v10 bitop3:0x40
; %bb.8953:                             ;   in Loop: Header=BB4_7930 Depth=2
	s_or_b32 exec_lo, exec_lo, s29
	v_lshlrev_b32_e32 v2, 24, v2
	s_delay_alu instid0(VALU_DEP_2) | instskip(NEXT) | instid1(VALU_DEP_3)
	v_lshlrev_b32_e32 v10, 20, v14
	v_lshl_add_u32 v3, v3, 23, 0x3c000000
	s_delay_alu instid0(VALU_DEP_3) | instskip(NEXT) | instid1(VALU_DEP_1)
	v_and_b32_e32 v2, 0x80000000, v2
	v_or3_b32 v3, v10, v2, v3
.LBB4_8954:                             ;   in Loop: Header=BB4_7930 Depth=2
	s_or_b32 exec_lo, exec_lo, s28
.LBB4_8955:                             ;   in Loop: Header=BB4_7930 Depth=2
	s_delay_alu instid0(SALU_CYCLE_1)
	s_or_b32 exec_lo, exec_lo, s27
.LBB4_8956:                             ;   in Loop: Header=BB4_7930 Depth=2
	s_delay_alu instid0(SALU_CYCLE_1) | instskip(NEXT) | instid1(VALU_DEP_1)
	s_or_b32 exec_lo, exec_lo, s10
	v_mul_f32_e32 v3, s26, v3
                                        ; implicit-def: $vgpr95
	s_mov_b32 s10, exec_lo
	s_delay_alu instid0(VALU_DEP_1) | instskip(SKIP_1) | instid1(VALU_DEP_2)
	v_and_b32_e32 v14, 0x7f800000, v3
	v_lshrrev_b32_e32 v2, 24, v3
	v_cmpx_ne_u64_e32 0x7f800000, v[14:15]
	s_xor_b32 s27, exec_lo, s10
	s_cbranch_execz .LBB4_8970
; %bb.8957:                             ;   in Loop: Header=BB4_7930 Depth=2
	v_and_b32_e32 v14, 0x7fffffff, v3
	v_and_b32_e32 v2, 0x80, v2
                                        ; implicit-def: $vgpr95
	s_mov_b32 s10, exec_lo
	s_delay_alu instid0(VALU_DEP_2)
	v_cmpx_gt_u64_e32 0x43e00001, v[14:15]
	s_xor_b32 s28, exec_lo, s10
	s_cbranch_execz .LBB4_8967
; %bb.8958:                             ;   in Loop: Header=BB4_7930 Depth=2
	v_mov_b32_e32 v95, 0
	s_mov_b32 s29, exec_lo
	v_cmpx_ne_u32_e32 0, v3
	s_cbranch_execz .LBB4_8966
; %bb.8959:                             ;   in Loop: Header=BB4_7930 Depth=2
	v_bfe_u32 v98, v3, 23, 8
	v_and_b32_e32 v3, 0x7fffff, v3
	s_delay_alu instid0(VALU_DEP_2) | instskip(SKIP_1) | instid1(VALU_DEP_3)
	v_sub_nc_u32_e32 v10, 0x79, v98
	v_cmp_gt_u32_e32 vcc_lo, 0x7a, v98
	v_or_b32_e32 v14, 0x800000, v3
	s_delay_alu instid0(VALU_DEP_3) | instskip(SKIP_1) | instid1(VALU_DEP_2)
	v_cndmask_b32_e32 v10, 0, v10, vcc_lo
	v_cmp_eq_u32_e32 vcc_lo, 0, v98
	v_cndmask_b32_e64 v113, v10, 0x78, vcc_lo
	s_delay_alu instid0(VALU_DEP_1) | instskip(SKIP_1) | instid1(VALU_DEP_2)
	v_dual_cndmask_b32 v14, v14, v3, vcc_lo :: v_dual_add_nc_u32 v10, 20, v113
	v_add_nc_u32_e32 v20, 19, v113
	v_lshlrev_b64_e64 v[10:11], v10, -1
	s_delay_alu instid0(VALU_DEP_2) | instskip(NEXT) | instid1(VALU_DEP_2)
	v_lshlrev_b64_e64 v[86:87], v20, 1
	v_bfi_b32 v105, v11, 0, 0
	s_delay_alu instid0(VALU_DEP_3) | instskip(SKIP_1) | instid1(VALU_DEP_2)
	v_bfi_b32 v104, v10, 0, v14
	v_lshrrev_b64 v[10:11], v113, v[14:15]
	v_cmp_eq_u64_e64 s10, v[104:105], v[86:87]
	s_delay_alu instid0(VALU_DEP_2)
	v_mov_b64_e32 v[86:87], v[10:11]
	s_and_saveexec_b32 s40, s10
; %bb.8960:                             ;   in Loop: Header=BB4_7930 Depth=2
	v_bfe_u32 v14, v10, 20, 1
	s_delay_alu instid0(VALU_DEP_1) | instskip(NEXT) | instid1(VALU_DEP_1)
	v_add_nc_u64_e32 v[86:87], v[10:11], v[14:15]
	v_add_nc_u64_e32 v[86:87], -1, v[86:87]
; %bb.8961:                             ;   in Loop: Header=BB4_7930 Depth=2
	s_or_b32 exec_lo, exec_lo, s40
	v_add_nc_u32_e32 v3, 0xffffff81, v98
	v_lshrrev_b32_e32 v11, 23, v10
	s_mov_b32 s10, exec_lo
	s_delay_alu instid0(VALU_DEP_2) | instskip(NEXT) | instid1(VALU_DEP_1)
	v_cndmask_b32_e64 v3, v3, 0xffffff82, vcc_lo
	v_add3_u32 v87, v113, v3, v11
	v_and_b32_e32 v3, 0xfffff, v86
	s_delay_alu instid0(VALU_DEP_1) | instskip(NEXT) | instid1(VALU_DEP_1)
	v_dual_add_nc_u32 v86, 6, v87 :: v_dual_add_nc_u32 v14, v3, v10
                                        ; implicit-def: $vgpr10_vgpr11
                                        ; implicit-def: $vgpr3
	v_cmpx_ne_u32_e32 0, v86
	s_xor_b32 s10, exec_lo, s10
; %bb.8962:                             ;   in Loop: Header=BB4_7930 Depth=2
	s_delay_alu instid0(VALU_DEP_2) | instskip(SKIP_2) | instid1(VALU_DEP_2)
	v_cmp_lt_u64_e32 vcc_lo, 0xffffff, v[14:15]
	v_add_nc_u32_e32 v3, 7, v87
	v_cndmask_b32_e64 v10, 0, 1, vcc_lo
	v_cndmask_b32_e32 v3, v86, v3, vcc_lo
	s_delay_alu instid0(VALU_DEP_2)
	v_lshrrev_b64 v[10:11], v10, v[14:15]
; %bb.8963:                             ;   in Loop: Header=BB4_7930 Depth=2
	s_and_not1_saveexec_b32 s10, s10
; %bb.8964:                             ;   in Loop: Header=BB4_7930 Depth=2
	v_mov_b64_e32 v[10:11], v[14:15]
	v_bfe_u32 v3, v14, 23, 1
; %bb.8965:                             ;   in Loop: Header=BB4_7930 Depth=2
	s_or_b32 exec_lo, exec_lo, s10
	s_delay_alu instid0(VALU_DEP_2) | instskip(NEXT) | instid1(VALU_DEP_2)
	v_lshrrev_b64 v[10:11], 20, v[10:11]
	v_cmp_gt_i32_e32 vcc_lo, 16, v3
	v_min_i32_e32 v14, 15, v3
	v_cmp_eq_u32_e64 s10, 0, v3
	s_delay_alu instid0(VALU_DEP_4) | instskip(NEXT) | instid1(VALU_DEP_3)
	v_cndmask_b32_e32 v10, 7, v10, vcc_lo
	v_dual_cndmask_b32 v11, 0, v11 :: v_dual_lshlrev_b32 v14, 3, v14
	s_delay_alu instid0(VALU_DEP_1) | instskip(NEXT) | instid1(VALU_DEP_2)
	v_and_b32_e32 v14, 0xf8, v14
	v_cmp_eq_u64_e32 vcc_lo, 0, v[10:11]
	s_delay_alu instid0(VALU_DEP_2)
	v_and_or_b32 v3, v10, 7, v14
	s_and_b32 s10, s10, vcc_lo
	s_delay_alu instid0(VALU_DEP_1) | instid1(SALU_CYCLE_1)
	v_cndmask_b32_e64 v3, v3, 0, s10
	s_delay_alu instid0(VALU_DEP_1)
	v_or_b32_e32 v95, v3, v2
.LBB4_8966:                             ;   in Loop: Header=BB4_7930 Depth=2
	s_or_b32 exec_lo, exec_lo, s29
                                        ; implicit-def: $vgpr2
.LBB4_8967:                             ;   in Loop: Header=BB4_7930 Depth=2
	s_and_not1_saveexec_b32 s10, s28
; %bb.8968:                             ;   in Loop: Header=BB4_7930 Depth=2
	v_or_b32_e32 v95, 0x7e, v2
; %bb.8969:                             ;   in Loop: Header=BB4_7930 Depth=2
	s_or_b32 exec_lo, exec_lo, s10
                                        ; implicit-def: $vgpr2
.LBB4_8970:                             ;   in Loop: Header=BB4_7930 Depth=2
	s_and_not1_saveexec_b32 s10, s27
; %bb.8971:                             ;   in Loop: Header=BB4_7930 Depth=2
	v_or_b32_e32 v95, 0x7f, v2
; %bb.8972:                             ;   in Loop: Header=BB4_7930 Depth=2
	s_or_b32 exec_lo, exec_lo, s10
	v_and_b32_e32 v3, 0xff, v13
	v_dual_mov_b32 v14, v13 :: v_dual_mov_b32 v2, 0
	s_mov_b32 s10, exec_lo
	s_delay_alu instid0(VALU_DEP_2)
	v_cmpx_ne_u16_e32 0, v3
	s_cbranch_execz .LBB4_8978
; %bb.8973:                             ;   in Loop: Header=BB4_7930 Depth=2
	v_bfrev_b32_e32 v2, 1
	s_mov_b32 s27, exec_lo
	v_cmpx_ne_u16_e32 0x80, v3
	s_cbranch_execz .LBB4_8977
; %bb.8974:                             ;   in Loop: Header=BB4_7930 Depth=2
	v_and_b32_e32 v3, 0x7f, v13
	v_mov_b32_e32 v2, 0x7f800001
	s_mov_b32 s28, exec_lo
	s_delay_alu instid0(VALU_DEP_2)
	v_cmpx_ne_u32_e32 0x7f, v3
	s_cbranch_execz .LBB4_8976
; %bb.8975:                             ;   in Loop: Header=BB4_7930 Depth=2
	v_dual_lshrrev_b32 v10, 3, v3 :: v_dual_bitop2_b32 v2, 7, v13 bitop3:0x40
	v_cmp_gt_u32_e32 vcc_lo, 8, v3
	s_delay_alu instid0(VALU_DEP_2) | instskip(NEXT) | instid1(VALU_DEP_1)
	v_clz_i32_u32_e32 v2, v2
	v_min_u32_e32 v2, 32, v2
	s_delay_alu instid0(VALU_DEP_1) | instskip(SKIP_1) | instid1(VALU_DEP_1)
	v_subrev_nc_u32_e32 v11, 28, v2
	v_sub_nc_u32_e32 v2, 29, v2
	v_dual_cndmask_b32 v10, v10, v2, vcc_lo :: v_dual_cndmask_b32 v2, 0, v11, vcc_lo
	s_delay_alu instid0(VALU_DEP_1) | instskip(NEXT) | instid1(VALU_DEP_2)
	v_lshl_add_u32 v10, v10, 23, 0x3c000000
	v_lshlrev_b64_e32 v[2:3], v2, v[14:15]
	v_lshlrev_b32_e32 v3, 24, v14
	s_delay_alu instid0(VALU_DEP_1) | instskip(NEXT) | instid1(VALU_DEP_3)
	v_and_b32_e32 v3, 0x80000000, v3
	v_lshlrev_b32_e32 v2, 20, v2
	s_delay_alu instid0(VALU_DEP_1) | instskip(NEXT) | instid1(VALU_DEP_1)
	v_and_b32_e32 v2, 0x700000, v2
	v_or3_b32 v2, v2, v3, v10
.LBB4_8976:                             ;   in Loop: Header=BB4_7930 Depth=2
	s_or_b32 exec_lo, exec_lo, s28
.LBB4_8977:                             ;   in Loop: Header=BB4_7930 Depth=2
	s_delay_alu instid0(SALU_CYCLE_1)
	s_or_b32 exec_lo, exec_lo, s27
.LBB4_8978:                             ;   in Loop: Header=BB4_7930 Depth=2
	s_delay_alu instid0(SALU_CYCLE_1) | instskip(NEXT) | instid1(VALU_DEP_1)
	s_or_b32 exec_lo, exec_lo, s10
	v_dual_mul_f32 v3, s26, v2 :: v_dual_mov_b32 v11, v15
                                        ; implicit-def: $vgpr104
	s_mov_b32 s10, exec_lo
	s_delay_alu instid0(VALU_DEP_1) | instskip(SKIP_1) | instid1(VALU_DEP_2)
	v_and_b32_e32 v10, 0x7f800000, v3
	v_lshrrev_b32_e32 v2, 24, v3
	v_cmpx_ne_u64_e32 0x7f800000, v[10:11]
	s_xor_b32 s27, exec_lo, s10
	s_cbranch_execz .LBB4_8992
; %bb.8979:                             ;   in Loop: Header=BB4_7930 Depth=2
	v_and_b32_e32 v10, 0x7fffffff, v3
	v_mov_b32_e32 v11, v15
	v_and_b32_e32 v2, 0x80, v2
                                        ; implicit-def: $vgpr104
	s_mov_b32 s10, exec_lo
	s_delay_alu instid0(VALU_DEP_2)
	v_cmpx_gt_u64_e32 0x43e00001, v[10:11]
	s_xor_b32 s28, exec_lo, s10
	s_cbranch_execz .LBB4_8989
; %bb.8980:                             ;   in Loop: Header=BB4_7930 Depth=2
	v_mov_b32_e32 v104, 0
	s_mov_b32 s29, exec_lo
	v_cmpx_ne_u32_e32 0, v3
	s_cbranch_execz .LBB4_8988
; %bb.8981:                             ;   in Loop: Header=BB4_7930 Depth=2
	v_bfe_u32 v98, v3, 23, 8
	v_and_b32_e32 v3, 0x7fffff, v3
	s_mov_b32 s40, exec_lo
	s_delay_alu instid0(VALU_DEP_2) | instskip(SKIP_1) | instid1(VALU_DEP_3)
	v_dual_mov_b32 v87, v15 :: v_dual_sub_nc_u32 v10, 0x79, v98
	v_cmp_gt_u32_e32 vcc_lo, 0x7a, v98
	v_or_b32_e32 v20, 0x800000, v3
	s_delay_alu instid0(VALU_DEP_3) | instskip(SKIP_1) | instid1(VALU_DEP_2)
	v_cndmask_b32_e32 v10, 0, v10, vcc_lo
	v_cmp_eq_u32_e32 vcc_lo, 0, v98
	v_cndmask_b32_e64 v113, v10, 0x78, vcc_lo
	s_delay_alu instid0(VALU_DEP_1) | instskip(SKIP_1) | instid1(VALU_DEP_2)
	v_dual_cndmask_b32 v86, v20, v3, vcc_lo :: v_dual_add_nc_u32 v10, 20, v113
	v_add_nc_u32_e32 v21, 19, v113
	v_lshlrev_b64_e64 v[10:11], v10, -1
	s_delay_alu instid0(VALU_DEP_2) | instskip(NEXT) | instid1(VALU_DEP_2)
	v_lshlrev_b64_e64 v[104:105], v21, 1
	v_bfi_b32 v107, v11, 0, 0
	s_delay_alu instid0(VALU_DEP_3) | instskip(SKIP_1) | instid1(VALU_DEP_1)
	v_bfi_b32 v106, v10, 0, v86
	v_lshrrev_b64 v[10:11], v113, v[86:87]
	v_mov_b64_e32 v[86:87], v[10:11]
	s_delay_alu instid0(VALU_DEP_3)
	v_cmpx_eq_u64_e64 v[106:107], v[104:105]
; %bb.8982:                             ;   in Loop: Header=BB4_7930 Depth=2
	v_bfe_u32 v86, v10, 20, 1
	v_mov_b32_e32 v87, v15
	s_delay_alu instid0(VALU_DEP_1) | instskip(NEXT) | instid1(VALU_DEP_1)
	v_add_nc_u64_e32 v[86:87], v[10:11], v[86:87]
	v_add_nc_u64_e32 v[86:87], -1, v[86:87]
; %bb.8983:                             ;   in Loop: Header=BB4_7930 Depth=2
	s_or_b32 exec_lo, exec_lo, s40
	v_add_nc_u32_e32 v3, 0xffffff81, v98
	v_lshrrev_b32_e32 v11, 23, v10
	s_mov_b32 s10, exec_lo
	s_delay_alu instid0(VALU_DEP_2) | instskip(NEXT) | instid1(VALU_DEP_1)
	v_cndmask_b32_e64 v3, v3, 0xffffff82, vcc_lo
	v_add3_u32 v87, v113, v3, v11
	v_and_b32_e32 v3, 0xfffff, v86
	s_delay_alu instid0(VALU_DEP_2) | instskip(NEXT) | instid1(VALU_DEP_2)
	v_dual_mov_b32 v11, v15 :: v_dual_add_nc_u32 v86, 6, v87
	v_add_nc_u32_e32 v10, v3, v10
                                        ; implicit-def: $vgpr3
	s_delay_alu instid0(VALU_DEP_2)
	v_cmpx_ne_u32_e32 0, v86
	s_xor_b32 s10, exec_lo, s10
; %bb.8984:                             ;   in Loop: Header=BB4_7930 Depth=2
	s_delay_alu instid0(VALU_DEP_2) | instskip(SKIP_2) | instid1(VALU_DEP_2)
	v_cmp_lt_u64_e32 vcc_lo, 0xffffff, v[10:11]
	v_add_nc_u32_e32 v3, 7, v87
	v_cndmask_b32_e64 v20, 0, 1, vcc_lo
	v_cndmask_b32_e32 v3, v86, v3, vcc_lo
	s_delay_alu instid0(VALU_DEP_2)
	v_lshrrev_b64 v[10:11], v20, v[10:11]
; %bb.8985:                             ;   in Loop: Header=BB4_7930 Depth=2
	s_and_not1_saveexec_b32 s10, s10
; %bb.8986:                             ;   in Loop: Header=BB4_7930 Depth=2
	s_delay_alu instid0(VALU_DEP_1)
	v_bfe_u32 v3, v10, 23, 1
; %bb.8987:                             ;   in Loop: Header=BB4_7930 Depth=2
	s_or_b32 exec_lo, exec_lo, s10
	s_delay_alu instid0(VALU_DEP_2) | instskip(NEXT) | instid1(VALU_DEP_2)
	v_lshrrev_b64 v[10:11], 20, v[10:11]
	v_cmp_gt_i32_e32 vcc_lo, 16, v3
	v_min_i32_e32 v20, 15, v3
	v_cmp_eq_u32_e64 s10, 0, v3
	s_delay_alu instid0(VALU_DEP_2) | instskip(SKIP_1) | instid1(VALU_DEP_2)
	v_dual_cndmask_b32 v10, 7, v10, vcc_lo :: v_dual_lshlrev_b32 v20, 3, v20
	v_cndmask_b32_e32 v11, 0, v11, vcc_lo
	v_and_b32_e32 v20, 0xf8, v20
	s_delay_alu instid0(VALU_DEP_2) | instskip(NEXT) | instid1(VALU_DEP_2)
	v_cmp_eq_u64_e32 vcc_lo, 0, v[10:11]
	v_and_or_b32 v3, v10, 7, v20
	s_and_b32 s10, s10, vcc_lo
	s_delay_alu instid0(VALU_DEP_1) | instid1(SALU_CYCLE_1)
	v_cndmask_b32_e64 v3, v3, 0, s10
	s_delay_alu instid0(VALU_DEP_1)
	v_or_b32_e32 v104, v3, v2
.LBB4_8988:                             ;   in Loop: Header=BB4_7930 Depth=2
	s_or_b32 exec_lo, exec_lo, s29
                                        ; implicit-def: $vgpr2
.LBB4_8989:                             ;   in Loop: Header=BB4_7930 Depth=2
	s_and_not1_saveexec_b32 s10, s28
; %bb.8990:                             ;   in Loop: Header=BB4_7930 Depth=2
	v_or_b32_e32 v104, 0x7e, v2
; %bb.8991:                             ;   in Loop: Header=BB4_7930 Depth=2
	s_or_b32 exec_lo, exec_lo, s10
                                        ; implicit-def: $vgpr2
.LBB4_8992:                             ;   in Loop: Header=BB4_7930 Depth=2
	s_and_not1_saveexec_b32 s10, s27
; %bb.8993:                             ;   in Loop: Header=BB4_7930 Depth=2
	v_or_b32_e32 v104, 0x7f, v2
; %bb.8994:                             ;   in Loop: Header=BB4_7930 Depth=2
	s_or_b32 exec_lo, exec_lo, s10
	v_lshrrev_b16 v3, 8, v14
	v_mov_b32_e32 v2, 0
	s_mov_b32 s10, exec_lo
	s_delay_alu instid0(VALU_DEP_2)
	v_cmpx_ne_u16_e32 0, v3
	s_cbranch_execz .LBB4_9002
; %bb.8995:                             ;   in Loop: Header=BB4_7930 Depth=2
	v_bfrev_b32_e32 v2, 1
	s_mov_b32 s27, exec_lo
	v_cmpx_ne_u16_e32 0x80, v3
	s_cbranch_execz .LBB4_9001
; %bb.8996:                             ;   in Loop: Header=BB4_7930 Depth=2
	v_and_b32_e32 v10, 0xffff, v3
	v_mov_b32_e32 v2, 0x7f800001
	s_mov_b32 s28, exec_lo
	s_delay_alu instid0(VALU_DEP_2) | instskip(NEXT) | instid1(VALU_DEP_1)
	v_and_b32_e32 v3, 0x7f, v10
	v_cmpx_ne_u32_e32 0x7f, v3
	s_cbranch_execz .LBB4_9000
; %bb.8997:                             ;   in Loop: Header=BB4_7930 Depth=2
	v_dual_mov_b32 v11, v15 :: v_dual_bitop2_b32 v10, 7, v10 bitop3:0x40
	v_lshrrev_b32_e32 v2, 3, v3
	s_mov_b32 s29, exec_lo
	v_cmpx_gt_u32_e32 8, v3
; %bb.8998:                             ;   in Loop: Header=BB4_7930 Depth=2
	s_delay_alu instid0(VALU_DEP_3) | instskip(NEXT) | instid1(VALU_DEP_1)
	v_clz_i32_u32_e32 v2, v10
	v_min_u32_e32 v2, 32, v2
	s_delay_alu instid0(VALU_DEP_1) | instskip(SKIP_1) | instid1(VALU_DEP_2)
	v_subrev_nc_u32_e32 v3, 28, v2
	v_sub_nc_u32_e32 v2, 29, v2
	v_lshlrev_b64_e32 v[10:11], v3, v[10:11]
	s_delay_alu instid0(VALU_DEP_1)
	v_and_b32_e32 v10, 7, v10
; %bb.8999:                             ;   in Loop: Header=BB4_7930 Depth=2
	s_or_b32 exec_lo, exec_lo, s29
	v_lshlrev_b32_e32 v3, 16, v14
	s_delay_alu instid0(VALU_DEP_2) | instskip(SKIP_1) | instid1(VALU_DEP_3)
	v_lshlrev_b32_e32 v10, 20, v10
	v_lshl_add_u32 v2, v2, 23, 0x3c000000
	v_and_b32_e32 v3, 0x80000000, v3
	s_delay_alu instid0(VALU_DEP_1)
	v_or3_b32 v2, v10, v3, v2
.LBB4_9000:                             ;   in Loop: Header=BB4_7930 Depth=2
	s_or_b32 exec_lo, exec_lo, s28
.LBB4_9001:                             ;   in Loop: Header=BB4_7930 Depth=2
	s_delay_alu instid0(SALU_CYCLE_1)
	s_or_b32 exec_lo, exec_lo, s27
.LBB4_9002:                             ;   in Loop: Header=BB4_7930 Depth=2
	s_delay_alu instid0(SALU_CYCLE_1) | instskip(NEXT) | instid1(VALU_DEP_1)
	s_or_b32 exec_lo, exec_lo, s10
	v_mul_f32_e32 v3, s26, v2
                                        ; implicit-def: $vgpr105
	s_mov_b32 s10, exec_lo
	s_delay_alu instid0(VALU_DEP_1) | instskip(SKIP_1) | instid1(VALU_DEP_2)
	v_and_b32_e32 v14, 0x7f800000, v3
	v_lshrrev_b32_e32 v2, 24, v3
	v_cmpx_ne_u64_e32 0x7f800000, v[14:15]
	s_xor_b32 s27, exec_lo, s10
	s_cbranch_execz .LBB4_9016
; %bb.9003:                             ;   in Loop: Header=BB4_7930 Depth=2
	v_and_b32_e32 v14, 0x7fffffff, v3
	v_and_b32_e32 v2, 0x80, v2
                                        ; implicit-def: $vgpr105
	s_mov_b32 s10, exec_lo
	s_delay_alu instid0(VALU_DEP_2)
	v_cmpx_gt_u64_e32 0x43e00001, v[14:15]
	s_xor_b32 s28, exec_lo, s10
	s_cbranch_execz .LBB4_9013
; %bb.9004:                             ;   in Loop: Header=BB4_7930 Depth=2
	v_mov_b32_e32 v105, 0
	s_mov_b32 s29, exec_lo
	v_cmpx_ne_u32_e32 0, v3
	s_cbranch_execz .LBB4_9012
; %bb.9005:                             ;   in Loop: Header=BB4_7930 Depth=2
	v_bfe_u32 v98, v3, 23, 8
	v_and_b32_e32 v3, 0x7fffff, v3
	s_delay_alu instid0(VALU_DEP_2) | instskip(SKIP_1) | instid1(VALU_DEP_3)
	v_sub_nc_u32_e32 v10, 0x79, v98
	v_cmp_gt_u32_e32 vcc_lo, 0x7a, v98
	v_or_b32_e32 v14, 0x800000, v3
	s_delay_alu instid0(VALU_DEP_3) | instskip(SKIP_1) | instid1(VALU_DEP_2)
	v_cndmask_b32_e32 v10, 0, v10, vcc_lo
	v_cmp_eq_u32_e32 vcc_lo, 0, v98
	v_cndmask_b32_e64 v113, v10, 0x78, vcc_lo
	s_delay_alu instid0(VALU_DEP_1) | instskip(SKIP_1) | instid1(VALU_DEP_2)
	v_dual_cndmask_b32 v14, v14, v3, vcc_lo :: v_dual_add_nc_u32 v10, 20, v113
	v_add_nc_u32_e32 v20, 19, v113
	v_lshlrev_b64_e64 v[10:11], v10, -1
	s_delay_alu instid0(VALU_DEP_2) | instskip(NEXT) | instid1(VALU_DEP_2)
	v_lshlrev_b64_e64 v[86:87], v20, 1
	v_bfi_b32 v107, v11, 0, 0
	s_delay_alu instid0(VALU_DEP_3) | instskip(SKIP_1) | instid1(VALU_DEP_2)
	v_bfi_b32 v106, v10, 0, v14
	v_lshrrev_b64 v[10:11], v113, v[14:15]
	v_cmp_eq_u64_e64 s10, v[106:107], v[86:87]
	s_delay_alu instid0(VALU_DEP_2)
	v_mov_b64_e32 v[86:87], v[10:11]
	s_and_saveexec_b32 s40, s10
; %bb.9006:                             ;   in Loop: Header=BB4_7930 Depth=2
	v_bfe_u32 v14, v10, 20, 1
	s_delay_alu instid0(VALU_DEP_1) | instskip(NEXT) | instid1(VALU_DEP_1)
	v_add_nc_u64_e32 v[86:87], v[10:11], v[14:15]
	v_add_nc_u64_e32 v[86:87], -1, v[86:87]
; %bb.9007:                             ;   in Loop: Header=BB4_7930 Depth=2
	s_or_b32 exec_lo, exec_lo, s40
	v_add_nc_u32_e32 v3, 0xffffff81, v98
	v_lshrrev_b32_e32 v11, 23, v10
	s_mov_b32 s10, exec_lo
	s_delay_alu instid0(VALU_DEP_2) | instskip(NEXT) | instid1(VALU_DEP_1)
	v_cndmask_b32_e64 v3, v3, 0xffffff82, vcc_lo
	v_add3_u32 v87, v113, v3, v11
	v_and_b32_e32 v3, 0xfffff, v86
	s_delay_alu instid0(VALU_DEP_1) | instskip(NEXT) | instid1(VALU_DEP_1)
	v_dual_add_nc_u32 v86, 6, v87 :: v_dual_add_nc_u32 v14, v3, v10
                                        ; implicit-def: $vgpr10_vgpr11
                                        ; implicit-def: $vgpr3
	v_cmpx_ne_u32_e32 0, v86
	s_xor_b32 s10, exec_lo, s10
; %bb.9008:                             ;   in Loop: Header=BB4_7930 Depth=2
	s_delay_alu instid0(VALU_DEP_2) | instskip(SKIP_2) | instid1(VALU_DEP_2)
	v_cmp_lt_u64_e32 vcc_lo, 0xffffff, v[14:15]
	v_add_nc_u32_e32 v3, 7, v87
	v_cndmask_b32_e64 v10, 0, 1, vcc_lo
	v_cndmask_b32_e32 v3, v86, v3, vcc_lo
	s_delay_alu instid0(VALU_DEP_2)
	v_lshrrev_b64 v[10:11], v10, v[14:15]
; %bb.9009:                             ;   in Loop: Header=BB4_7930 Depth=2
	s_and_not1_saveexec_b32 s10, s10
; %bb.9010:                             ;   in Loop: Header=BB4_7930 Depth=2
	v_mov_b64_e32 v[10:11], v[14:15]
	v_bfe_u32 v3, v14, 23, 1
; %bb.9011:                             ;   in Loop: Header=BB4_7930 Depth=2
	s_or_b32 exec_lo, exec_lo, s10
	s_delay_alu instid0(VALU_DEP_2) | instskip(NEXT) | instid1(VALU_DEP_2)
	v_lshrrev_b64 v[10:11], 20, v[10:11]
	v_cmp_gt_i32_e32 vcc_lo, 16, v3
	v_min_i32_e32 v14, 15, v3
	v_cmp_eq_u32_e64 s10, 0, v3
	s_delay_alu instid0(VALU_DEP_4) | instskip(NEXT) | instid1(VALU_DEP_3)
	v_cndmask_b32_e32 v10, 7, v10, vcc_lo
	v_dual_cndmask_b32 v11, 0, v11 :: v_dual_lshlrev_b32 v14, 3, v14
	s_delay_alu instid0(VALU_DEP_1) | instskip(NEXT) | instid1(VALU_DEP_2)
	v_and_b32_e32 v14, 0xf8, v14
	v_cmp_eq_u64_e32 vcc_lo, 0, v[10:11]
	s_delay_alu instid0(VALU_DEP_2)
	v_and_or_b32 v3, v10, 7, v14
	s_and_b32 s10, s10, vcc_lo
	s_delay_alu instid0(VALU_DEP_1) | instid1(SALU_CYCLE_1)
	v_cndmask_b32_e64 v3, v3, 0, s10
	s_delay_alu instid0(VALU_DEP_1)
	v_or_b32_e32 v105, v3, v2
.LBB4_9012:                             ;   in Loop: Header=BB4_7930 Depth=2
	s_or_b32 exec_lo, exec_lo, s29
                                        ; implicit-def: $vgpr2
.LBB4_9013:                             ;   in Loop: Header=BB4_7930 Depth=2
	s_and_not1_saveexec_b32 s10, s28
; %bb.9014:                             ;   in Loop: Header=BB4_7930 Depth=2
	v_or_b32_e32 v105, 0x7e, v2
; %bb.9015:                             ;   in Loop: Header=BB4_7930 Depth=2
	s_or_b32 exec_lo, exec_lo, s10
                                        ; implicit-def: $vgpr2
.LBB4_9016:                             ;   in Loop: Header=BB4_7930 Depth=2
	s_and_not1_saveexec_b32 s10, s27
; %bb.9017:                             ;   in Loop: Header=BB4_7930 Depth=2
	v_or_b32_e32 v105, 0x7f, v2
; %bb.9018:                             ;   in Loop: Header=BB4_7930 Depth=2
	s_or_b32 exec_lo, exec_lo, s10
	v_dual_mov_b32 v3, 0 :: v_dual_lshrrev_b32 v2, 16, v13
	s_mov_b32 s10, exec_lo
	s_delay_alu instid0(VALU_DEP_1) | instskip(NEXT) | instid1(VALU_DEP_1)
	v_and_b32_e32 v10, 0xff, v2
	v_cmpx_ne_u16_e32 0, v10
	s_cbranch_execz .LBB4_9026
; %bb.9019:                             ;   in Loop: Header=BB4_7930 Depth=2
	v_bfrev_b32_e32 v3, 1
	s_mov_b32 s27, exec_lo
	v_cmpx_ne_u16_e32 0x80, v10
	s_cbranch_execz .LBB4_9025
; %bb.9020:                             ;   in Loop: Header=BB4_7930 Depth=2
	v_bfe_u32 v10, v13, 16, 7
	v_mov_b32_e32 v3, 0x7f800001
	s_mov_b32 s28, exec_lo
	s_delay_alu instid0(VALU_DEP_2)
	v_cmpx_ne_u32_e32 0x7f, v10
	s_cbranch_execz .LBB4_9024
; %bb.9021:                             ;   in Loop: Header=BB4_7930 Depth=2
	v_and_b32_e32 v14, 7, v2
	v_lshrrev_b32_e32 v3, 3, v10
	s_mov_b32 s29, exec_lo
	v_cmpx_gt_u32_e32 8, v10
; %bb.9022:                             ;   in Loop: Header=BB4_7930 Depth=2
	s_delay_alu instid0(VALU_DEP_3) | instskip(NEXT) | instid1(VALU_DEP_1)
	v_clz_i32_u32_e32 v3, v14
	v_min_u32_e32 v3, 32, v3
	s_delay_alu instid0(VALU_DEP_1) | instskip(NEXT) | instid1(VALU_DEP_1)
	v_subrev_nc_u32_e32 v10, 28, v3
	v_lshlrev_b64_e32 v[10:11], v10, v[14:15]
	s_delay_alu instid0(VALU_DEP_1)
	v_dual_sub_nc_u32 v3, 29, v3 :: v_dual_bitop2_b32 v14, 7, v10 bitop3:0x40
; %bb.9023:                             ;   in Loop: Header=BB4_7930 Depth=2
	s_or_b32 exec_lo, exec_lo, s29
	v_lshlrev_b32_e32 v2, 24, v2
	s_delay_alu instid0(VALU_DEP_2) | instskip(NEXT) | instid1(VALU_DEP_3)
	v_lshlrev_b32_e32 v10, 20, v14
	v_lshl_add_u32 v3, v3, 23, 0x3c000000
	s_delay_alu instid0(VALU_DEP_3) | instskip(NEXT) | instid1(VALU_DEP_1)
	v_and_b32_e32 v2, 0x80000000, v2
	v_or3_b32 v3, v10, v2, v3
.LBB4_9024:                             ;   in Loop: Header=BB4_7930 Depth=2
	s_or_b32 exec_lo, exec_lo, s28
.LBB4_9025:                             ;   in Loop: Header=BB4_7930 Depth=2
	s_delay_alu instid0(SALU_CYCLE_1)
	s_or_b32 exec_lo, exec_lo, s27
.LBB4_9026:                             ;   in Loop: Header=BB4_7930 Depth=2
	s_delay_alu instid0(SALU_CYCLE_1) | instskip(NEXT) | instid1(VALU_DEP_1)
	s_or_b32 exec_lo, exec_lo, s10
	v_mul_f32_e32 v3, s26, v3
                                        ; implicit-def: $vgpr106
	s_mov_b32 s10, exec_lo
	s_delay_alu instid0(VALU_DEP_1) | instskip(SKIP_1) | instid1(VALU_DEP_2)
	v_and_b32_e32 v14, 0x7f800000, v3
	v_lshrrev_b32_e32 v2, 24, v3
	v_cmpx_ne_u64_e32 0x7f800000, v[14:15]
	s_xor_b32 s27, exec_lo, s10
	s_cbranch_execz .LBB4_9040
; %bb.9027:                             ;   in Loop: Header=BB4_7930 Depth=2
	v_and_b32_e32 v14, 0x7fffffff, v3
	v_and_b32_e32 v2, 0x80, v2
                                        ; implicit-def: $vgpr106
	s_mov_b32 s10, exec_lo
	s_delay_alu instid0(VALU_DEP_2)
	v_cmpx_gt_u64_e32 0x43e00001, v[14:15]
	s_xor_b32 s28, exec_lo, s10
	s_cbranch_execz .LBB4_9037
; %bb.9028:                             ;   in Loop: Header=BB4_7930 Depth=2
	v_mov_b32_e32 v106, 0
	s_mov_b32 s29, exec_lo
	v_cmpx_ne_u32_e32 0, v3
	s_cbranch_execz .LBB4_9036
; %bb.9029:                             ;   in Loop: Header=BB4_7930 Depth=2
	v_bfe_u32 v98, v3, 23, 8
	v_and_b32_e32 v3, 0x7fffff, v3
	s_delay_alu instid0(VALU_DEP_2) | instskip(SKIP_1) | instid1(VALU_DEP_3)
	v_sub_nc_u32_e32 v10, 0x79, v98
	v_cmp_gt_u32_e32 vcc_lo, 0x7a, v98
	v_or_b32_e32 v14, 0x800000, v3
	s_delay_alu instid0(VALU_DEP_3) | instskip(SKIP_1) | instid1(VALU_DEP_2)
	v_cndmask_b32_e32 v10, 0, v10, vcc_lo
	v_cmp_eq_u32_e32 vcc_lo, 0, v98
	v_cndmask_b32_e64 v113, v10, 0x78, vcc_lo
	s_delay_alu instid0(VALU_DEP_1) | instskip(SKIP_1) | instid1(VALU_DEP_2)
	v_dual_cndmask_b32 v14, v14, v3, vcc_lo :: v_dual_add_nc_u32 v10, 20, v113
	v_add_nc_u32_e32 v20, 19, v113
	v_lshlrev_b64_e64 v[10:11], v10, -1
	s_delay_alu instid0(VALU_DEP_2) | instskip(NEXT) | instid1(VALU_DEP_2)
	v_lshlrev_b64_e64 v[86:87], v20, 1
	v_bfi_b32 v107, v11, 0, 0
	s_delay_alu instid0(VALU_DEP_3) | instskip(SKIP_1) | instid1(VALU_DEP_2)
	v_bfi_b32 v106, v10, 0, v14
	v_lshrrev_b64 v[10:11], v113, v[14:15]
	v_cmp_eq_u64_e64 s10, v[106:107], v[86:87]
	s_delay_alu instid0(VALU_DEP_2)
	v_mov_b64_e32 v[86:87], v[10:11]
	s_and_saveexec_b32 s40, s10
; %bb.9030:                             ;   in Loop: Header=BB4_7930 Depth=2
	v_bfe_u32 v14, v10, 20, 1
	s_delay_alu instid0(VALU_DEP_1) | instskip(NEXT) | instid1(VALU_DEP_1)
	v_add_nc_u64_e32 v[86:87], v[10:11], v[14:15]
	v_add_nc_u64_e32 v[86:87], -1, v[86:87]
; %bb.9031:                             ;   in Loop: Header=BB4_7930 Depth=2
	s_or_b32 exec_lo, exec_lo, s40
	v_add_nc_u32_e32 v3, 0xffffff81, v98
	v_lshrrev_b32_e32 v11, 23, v10
	s_mov_b32 s10, exec_lo
	s_delay_alu instid0(VALU_DEP_2) | instskip(NEXT) | instid1(VALU_DEP_1)
	v_cndmask_b32_e64 v3, v3, 0xffffff82, vcc_lo
	v_add3_u32 v87, v113, v3, v11
	v_and_b32_e32 v3, 0xfffff, v86
	s_delay_alu instid0(VALU_DEP_1) | instskip(NEXT) | instid1(VALU_DEP_1)
	v_dual_add_nc_u32 v86, 6, v87 :: v_dual_add_nc_u32 v14, v3, v10
                                        ; implicit-def: $vgpr10_vgpr11
                                        ; implicit-def: $vgpr3
	v_cmpx_ne_u32_e32 0, v86
	s_xor_b32 s10, exec_lo, s10
; %bb.9032:                             ;   in Loop: Header=BB4_7930 Depth=2
	s_delay_alu instid0(VALU_DEP_2) | instskip(SKIP_2) | instid1(VALU_DEP_2)
	v_cmp_lt_u64_e32 vcc_lo, 0xffffff, v[14:15]
	v_add_nc_u32_e32 v3, 7, v87
	v_cndmask_b32_e64 v10, 0, 1, vcc_lo
	v_cndmask_b32_e32 v3, v86, v3, vcc_lo
	s_delay_alu instid0(VALU_DEP_2)
	v_lshrrev_b64 v[10:11], v10, v[14:15]
; %bb.9033:                             ;   in Loop: Header=BB4_7930 Depth=2
	s_and_not1_saveexec_b32 s10, s10
; %bb.9034:                             ;   in Loop: Header=BB4_7930 Depth=2
	v_mov_b64_e32 v[10:11], v[14:15]
	v_bfe_u32 v3, v14, 23, 1
; %bb.9035:                             ;   in Loop: Header=BB4_7930 Depth=2
	s_or_b32 exec_lo, exec_lo, s10
	s_delay_alu instid0(VALU_DEP_2) | instskip(NEXT) | instid1(VALU_DEP_2)
	v_lshrrev_b64 v[10:11], 20, v[10:11]
	v_cmp_gt_i32_e32 vcc_lo, 16, v3
	v_min_i32_e32 v14, 15, v3
	v_cmp_eq_u32_e64 s10, 0, v3
	s_delay_alu instid0(VALU_DEP_4) | instskip(NEXT) | instid1(VALU_DEP_3)
	v_cndmask_b32_e32 v10, 7, v10, vcc_lo
	v_dual_cndmask_b32 v11, 0, v11 :: v_dual_lshlrev_b32 v14, 3, v14
	s_delay_alu instid0(VALU_DEP_1) | instskip(NEXT) | instid1(VALU_DEP_2)
	v_and_b32_e32 v14, 0xf8, v14
	v_cmp_eq_u64_e32 vcc_lo, 0, v[10:11]
	s_delay_alu instid0(VALU_DEP_2)
	v_and_or_b32 v3, v10, 7, v14
	s_and_b32 s10, s10, vcc_lo
	s_delay_alu instid0(VALU_DEP_1) | instid1(SALU_CYCLE_1)
	v_cndmask_b32_e64 v3, v3, 0, s10
	s_delay_alu instid0(VALU_DEP_1)
	v_or_b32_e32 v106, v3, v2
.LBB4_9036:                             ;   in Loop: Header=BB4_7930 Depth=2
	s_or_b32 exec_lo, exec_lo, s29
                                        ; implicit-def: $vgpr2
.LBB4_9037:                             ;   in Loop: Header=BB4_7930 Depth=2
	s_and_not1_saveexec_b32 s10, s28
; %bb.9038:                             ;   in Loop: Header=BB4_7930 Depth=2
	v_or_b32_e32 v106, 0x7e, v2
; %bb.9039:                             ;   in Loop: Header=BB4_7930 Depth=2
	s_or_b32 exec_lo, exec_lo, s10
                                        ; implicit-def: $vgpr2
.LBB4_9040:                             ;   in Loop: Header=BB4_7930 Depth=2
	s_and_not1_saveexec_b32 s10, s27
; %bb.9041:                             ;   in Loop: Header=BB4_7930 Depth=2
	v_or_b32_e32 v106, 0x7f, v2
; %bb.9042:                             ;   in Loop: Header=BB4_7930 Depth=2
	s_or_b32 exec_lo, exec_lo, s10
	v_mov_b32_e32 v3, 0
	s_mov_b32 s10, exec_lo
	v_cmpx_lt_u64_e64 s[12:13], v[12:13]
	s_cbranch_execz .LBB4_9050
; %bb.9043:                             ;   in Loop: Header=BB4_7930 Depth=2
	v_lshrrev_b32_e32 v2, 24, v13
	v_bfrev_b32_e32 v3, 1
	s_mov_b32 s27, exec_lo
	s_delay_alu instid0(VALU_DEP_2)
	v_cmpx_ne_u32_e32 0x80, v2
	s_cbranch_execz .LBB4_9049
; %bb.9044:                             ;   in Loop: Header=BB4_7930 Depth=2
	v_bfe_u32 v10, v13, 24, 7
	v_mov_b32_e32 v3, 0x7f800001
	s_mov_b32 s28, exec_lo
	s_delay_alu instid0(VALU_DEP_2)
	v_cmpx_ne_u32_e32 0x7f, v10
	s_cbranch_execz .LBB4_9048
; %bb.9045:                             ;   in Loop: Header=BB4_7930 Depth=2
	v_and_b32_e32 v14, 7, v2
	v_lshrrev_b32_e32 v3, 3, v10
	s_mov_b32 s29, exec_lo
	v_cmpx_gt_u32_e32 8, v10
; %bb.9046:                             ;   in Loop: Header=BB4_7930 Depth=2
	s_delay_alu instid0(VALU_DEP_3) | instskip(NEXT) | instid1(VALU_DEP_1)
	v_clz_i32_u32_e32 v3, v14
	v_min_u32_e32 v3, 32, v3
	s_delay_alu instid0(VALU_DEP_1) | instskip(NEXT) | instid1(VALU_DEP_1)
	v_subrev_nc_u32_e32 v10, 28, v3
	v_lshlrev_b64_e32 v[10:11], v10, v[14:15]
	s_delay_alu instid0(VALU_DEP_1)
	v_dual_sub_nc_u32 v3, 29, v3 :: v_dual_bitop2_b32 v14, 7, v10 bitop3:0x40
; %bb.9047:                             ;   in Loop: Header=BB4_7930 Depth=2
	s_or_b32 exec_lo, exec_lo, s29
	v_lshlrev_b32_e32 v2, 24, v2
	s_delay_alu instid0(VALU_DEP_2) | instskip(NEXT) | instid1(VALU_DEP_3)
	v_lshlrev_b32_e32 v10, 20, v14
	v_lshl_add_u32 v3, v3, 23, 0x3c000000
	s_delay_alu instid0(VALU_DEP_3) | instskip(NEXT) | instid1(VALU_DEP_1)
	v_and_b32_e32 v2, 0x80000000, v2
	v_or3_b32 v3, v10, v2, v3
.LBB4_9048:                             ;   in Loop: Header=BB4_7930 Depth=2
	s_or_b32 exec_lo, exec_lo, s28
.LBB4_9049:                             ;   in Loop: Header=BB4_7930 Depth=2
	s_delay_alu instid0(SALU_CYCLE_1)
	s_or_b32 exec_lo, exec_lo, s27
.LBB4_9050:                             ;   in Loop: Header=BB4_7930 Depth=2
	s_delay_alu instid0(SALU_CYCLE_1) | instskip(NEXT) | instid1(VALU_DEP_1)
	s_or_b32 exec_lo, exec_lo, s10
	v_mul_f32_e32 v3, s26, v3
                                        ; implicit-def: $vgpr107
	s_mov_b32 s10, exec_lo
	s_delay_alu instid0(VALU_DEP_1) | instskip(SKIP_1) | instid1(VALU_DEP_2)
	v_and_b32_e32 v14, 0x7f800000, v3
	v_lshrrev_b32_e32 v2, 24, v3
	v_cmpx_ne_u64_e32 0x7f800000, v[14:15]
	s_xor_b32 s27, exec_lo, s10
	s_cbranch_execz .LBB4_9064
; %bb.9051:                             ;   in Loop: Header=BB4_7930 Depth=2
	v_and_b32_e32 v14, 0x7fffffff, v3
	v_and_b32_e32 v2, 0x80, v2
                                        ; implicit-def: $vgpr107
	s_mov_b32 s10, exec_lo
	s_delay_alu instid0(VALU_DEP_2)
	v_cmpx_gt_u64_e32 0x43e00001, v[14:15]
	s_xor_b32 s28, exec_lo, s10
	s_cbranch_execz .LBB4_9061
; %bb.9052:                             ;   in Loop: Header=BB4_7930 Depth=2
	v_mov_b32_e32 v107, 0
	s_mov_b32 s29, exec_lo
	v_cmpx_ne_u32_e32 0, v3
	s_cbranch_execz .LBB4_9060
; %bb.9053:                             ;   in Loop: Header=BB4_7930 Depth=2
	v_bfe_u32 v86, v3, 23, 8
	v_and_b32_e32 v3, 0x7fffff, v3
	s_delay_alu instid0(VALU_DEP_2) | instskip(SKIP_1) | instid1(VALU_DEP_3)
	v_sub_nc_u32_e32 v10, 0x79, v86
	v_cmp_gt_u32_e32 vcc_lo, 0x7a, v86
	v_or_b32_e32 v12, 0x800000, v3
	s_delay_alu instid0(VALU_DEP_3) | instskip(SKIP_1) | instid1(VALU_DEP_2)
	v_cndmask_b32_e32 v10, 0, v10, vcc_lo
	v_cmp_eq_u32_e32 vcc_lo, 0, v86
	v_cndmask_b32_e64 v87, v10, 0x78, vcc_lo
	s_delay_alu instid0(VALU_DEP_4) | instskip(NEXT) | instid1(VALU_DEP_2)
	v_cndmask_b32_e32 v14, v12, v3, vcc_lo
	v_dual_add_nc_u32 v10, 20, v87 :: v_dual_add_nc_u32 v13, 19, v87
	s_delay_alu instid0(VALU_DEP_1) | instskip(NEXT) | instid1(VALU_DEP_2)
	v_lshlrev_b64_e64 v[10:11], v10, -1
	v_lshlrev_b64_e64 v[12:13], v13, 1
	s_delay_alu instid0(VALU_DEP_2) | instskip(NEXT) | instid1(VALU_DEP_3)
	v_bfi_b32 v109, v11, 0, 0
	v_bfi_b32 v108, v10, 0, v14
	v_lshrrev_b64 v[10:11], v87, v[14:15]
	s_delay_alu instid0(VALU_DEP_2) | instskip(NEXT) | instid1(VALU_DEP_2)
	v_cmp_eq_u64_e64 s10, v[108:109], v[12:13]
	v_mov_b64_e32 v[12:13], v[10:11]
	s_and_saveexec_b32 s40, s10
; %bb.9054:                             ;   in Loop: Header=BB4_7930 Depth=2
	v_bfe_u32 v14, v10, 20, 1
	s_delay_alu instid0(VALU_DEP_1) | instskip(NEXT) | instid1(VALU_DEP_1)
	v_add_nc_u64_e32 v[12:13], v[10:11], v[14:15]
	v_add_nc_u64_e32 v[12:13], -1, v[12:13]
; %bb.9055:                             ;   in Loop: Header=BB4_7930 Depth=2
	s_or_b32 exec_lo, exec_lo, s40
	v_add_nc_u32_e32 v3, 0xffffff81, v86
	v_lshrrev_b32_e32 v11, 23, v10
	s_mov_b32 s10, exec_lo
	s_delay_alu instid0(VALU_DEP_2) | instskip(NEXT) | instid1(VALU_DEP_1)
	v_cndmask_b32_e64 v3, v3, 0xffffff82, vcc_lo
	v_add3_u32 v13, v87, v3, v11
	v_and_b32_e32 v3, 0xfffff, v12
	s_delay_alu instid0(VALU_DEP_1) | instskip(NEXT) | instid1(VALU_DEP_1)
	v_dual_add_nc_u32 v12, 6, v13 :: v_dual_add_nc_u32 v14, v3, v10
                                        ; implicit-def: $vgpr10_vgpr11
                                        ; implicit-def: $vgpr3
	v_cmpx_ne_u32_e32 0, v12
	s_xor_b32 s10, exec_lo, s10
; %bb.9056:                             ;   in Loop: Header=BB4_7930 Depth=2
	s_delay_alu instid0(VALU_DEP_2) | instskip(SKIP_2) | instid1(VALU_DEP_2)
	v_cmp_lt_u64_e32 vcc_lo, 0xffffff, v[14:15]
	v_add_nc_u32_e32 v3, 7, v13
	v_cndmask_b32_e64 v10, 0, 1, vcc_lo
	v_cndmask_b32_e32 v3, v12, v3, vcc_lo
	s_delay_alu instid0(VALU_DEP_2)
	v_lshrrev_b64 v[10:11], v10, v[14:15]
; %bb.9057:                             ;   in Loop: Header=BB4_7930 Depth=2
	s_and_not1_saveexec_b32 s10, s10
; %bb.9058:                             ;   in Loop: Header=BB4_7930 Depth=2
	v_mov_b64_e32 v[10:11], v[14:15]
	v_bfe_u32 v3, v14, 23, 1
; %bb.9059:                             ;   in Loop: Header=BB4_7930 Depth=2
	s_or_b32 exec_lo, exec_lo, s10
	s_delay_alu instid0(VALU_DEP_2) | instskip(NEXT) | instid1(VALU_DEP_2)
	v_lshrrev_b64 v[10:11], 20, v[10:11]
	v_cmp_gt_i32_e32 vcc_lo, 16, v3
	v_min_i32_e32 v12, 15, v3
	v_cmp_eq_u32_e64 s10, 0, v3
	s_delay_alu instid0(VALU_DEP_2) | instskip(SKIP_1) | instid1(VALU_DEP_2)
	v_dual_cndmask_b32 v10, 7, v10, vcc_lo :: v_dual_lshlrev_b32 v12, 3, v12
	v_cndmask_b32_e32 v11, 0, v11, vcc_lo
	v_and_b32_e32 v12, 0xf8, v12
	s_delay_alu instid0(VALU_DEP_2) | instskip(NEXT) | instid1(VALU_DEP_2)
	v_cmp_eq_u64_e32 vcc_lo, 0, v[10:11]
	v_and_or_b32 v3, v10, 7, v12
	s_and_b32 s10, s10, vcc_lo
	s_delay_alu instid0(VALU_DEP_1) | instid1(SALU_CYCLE_1)
	v_cndmask_b32_e64 v3, v3, 0, s10
	s_delay_alu instid0(VALU_DEP_1)
	v_or_b32_e32 v107, v3, v2
.LBB4_9060:                             ;   in Loop: Header=BB4_7930 Depth=2
	s_or_b32 exec_lo, exec_lo, s29
                                        ; implicit-def: $vgpr2
.LBB4_9061:                             ;   in Loop: Header=BB4_7930 Depth=2
	s_and_not1_saveexec_b32 s10, s28
; %bb.9062:                             ;   in Loop: Header=BB4_7930 Depth=2
	v_or_b32_e32 v107, 0x7e, v2
; %bb.9063:                             ;   in Loop: Header=BB4_7930 Depth=2
	s_or_b32 exec_lo, exec_lo, s10
                                        ; implicit-def: $vgpr2
.LBB4_9064:                             ;   in Loop: Header=BB4_7930 Depth=2
	s_and_not1_saveexec_b32 s10, s27
; %bb.9065:                             ;   in Loop: Header=BB4_7930 Depth=2
	v_or_b32_e32 v107, 0x7f, v2
; %bb.9066:                             ;   in Loop: Header=BB4_7930 Depth=2
	s_or_b32 exec_lo, exec_lo, s10
	global_load_b128 v[10:13], v[84:85], off offset:1536 th:TH_LOAD_NT
	v_mov_b32_e32 v2, 0
	s_mov_b32 s10, exec_lo
	s_wait_loadcnt 0x0
	v_and_b32_e32 v3, 0xff, v10
	s_wait_xcnt 0x0
	s_delay_alu instid0(VALU_DEP_1)
	v_cmpx_ne_u16_e32 0, v3
	s_cbranch_execz .LBB4_9072
; %bb.9067:                             ;   in Loop: Header=BB4_7930 Depth=2
	v_bfrev_b32_e32 v2, 1
	s_mov_b32 s27, exec_lo
	v_cmpx_ne_u16_e32 0x80, v3
	s_cbranch_execz .LBB4_9071
; %bb.9068:                             ;   in Loop: Header=BB4_7930 Depth=2
	v_and_b32_e32 v3, 0x7f, v10
	v_mov_b32_e32 v2, 0x7f800001
	s_mov_b32 s28, exec_lo
	s_delay_alu instid0(VALU_DEP_2)
	v_cmpx_ne_u32_e32 0x7f, v3
	s_cbranch_execz .LBB4_9070
; %bb.9069:                             ;   in Loop: Header=BB4_7930 Depth=2
	v_dual_lshrrev_b32 v14, 3, v3 :: v_dual_bitop2_b32 v2, 7, v10 bitop3:0x40
	v_cmp_gt_u32_e32 vcc_lo, 8, v3
	s_delay_alu instid0(VALU_DEP_2) | instskip(NEXT) | instid1(VALU_DEP_1)
	v_clz_i32_u32_e32 v2, v2
	v_min_u32_e32 v2, 32, v2
	s_delay_alu instid0(VALU_DEP_1) | instskip(SKIP_1) | instid1(VALU_DEP_1)
	v_subrev_nc_u32_e32 v20, 28, v2
	v_sub_nc_u32_e32 v2, 29, v2
	v_dual_cndmask_b32 v14, v14, v2, vcc_lo :: v_dual_cndmask_b32 v2, 0, v20, vcc_lo
	s_delay_alu instid0(VALU_DEP_1) | instskip(NEXT) | instid1(VALU_DEP_2)
	v_lshl_add_u32 v14, v14, 23, 0x3c000000
	v_lshlrev_b64_e32 v[2:3], v2, v[10:11]
	v_lshlrev_b32_e32 v3, 24, v10
	s_delay_alu instid0(VALU_DEP_1) | instskip(NEXT) | instid1(VALU_DEP_3)
	v_and_b32_e32 v3, 0x80000000, v3
	v_lshlrev_b32_e32 v2, 20, v2
	s_delay_alu instid0(VALU_DEP_1) | instskip(NEXT) | instid1(VALU_DEP_1)
	v_and_b32_e32 v2, 0x700000, v2
	v_or3_b32 v2, v2, v3, v14
.LBB4_9070:                             ;   in Loop: Header=BB4_7930 Depth=2
	s_or_b32 exec_lo, exec_lo, s28
.LBB4_9071:                             ;   in Loop: Header=BB4_7930 Depth=2
	s_delay_alu instid0(SALU_CYCLE_1)
	s_or_b32 exec_lo, exec_lo, s27
.LBB4_9072:                             ;   in Loop: Header=BB4_7930 Depth=2
	s_delay_alu instid0(SALU_CYCLE_1) | instskip(NEXT) | instid1(VALU_DEP_1)
	s_or_b32 exec_lo, exec_lo, s10
	v_mul_f32_e32 v3, s26, v2
                                        ; implicit-def: $vgpr108
	s_mov_b32 s10, exec_lo
	s_delay_alu instid0(VALU_DEP_1) | instskip(SKIP_1) | instid1(VALU_DEP_2)
	v_and_b32_e32 v14, 0x7f800000, v3
	v_lshrrev_b32_e32 v2, 24, v3
	v_cmpx_ne_u64_e32 0x7f800000, v[14:15]
	s_xor_b32 s27, exec_lo, s10
	s_cbranch_execz .LBB4_9086
; %bb.9073:                             ;   in Loop: Header=BB4_7930 Depth=2
	v_and_b32_e32 v14, 0x7fffffff, v3
	v_and_b32_e32 v2, 0x80, v2
                                        ; implicit-def: $vgpr108
	s_mov_b32 s10, exec_lo
	s_delay_alu instid0(VALU_DEP_2)
	v_cmpx_gt_u64_e32 0x43e00001, v[14:15]
	s_xor_b32 s28, exec_lo, s10
	s_cbranch_execz .LBB4_9083
; %bb.9074:                             ;   in Loop: Header=BB4_7930 Depth=2
	v_mov_b32_e32 v108, 0
	s_mov_b32 s29, exec_lo
	v_cmpx_ne_u32_e32 0, v3
	s_cbranch_execz .LBB4_9082
; %bb.9075:                             ;   in Loop: Header=BB4_7930 Depth=2
	v_bfe_u32 v98, v3, 23, 8
	v_and_b32_e32 v3, 0x7fffff, v3
	s_delay_alu instid0(VALU_DEP_2) | instskip(SKIP_1) | instid1(VALU_DEP_3)
	v_sub_nc_u32_e32 v14, 0x79, v98
	v_cmp_gt_u32_e32 vcc_lo, 0x7a, v98
	v_or_b32_e32 v20, 0x800000, v3
	s_delay_alu instid0(VALU_DEP_3) | instskip(SKIP_1) | instid1(VALU_DEP_2)
	v_cndmask_b32_e32 v14, 0, v14, vcc_lo
	v_cmp_eq_u32_e32 vcc_lo, 0, v98
	v_cndmask_b32_e64 v113, v14, 0x78, vcc_lo
	s_delay_alu instid0(VALU_DEP_1) | instskip(NEXT) | instid1(VALU_DEP_1)
	v_dual_add_nc_u32 v14, 20, v113 :: v_dual_add_nc_u32 v21, 19, v113
	v_lshlrev_b64_e64 v[84:85], v14, -1
	v_cndmask_b32_e32 v14, v20, v3, vcc_lo
	s_delay_alu instid0(VALU_DEP_3) | instskip(NEXT) | instid1(VALU_DEP_3)
	v_lshlrev_b64_e64 v[86:87], v21, 1
	v_bfi_b32 v109, v85, 0, 0
	s_delay_alu instid0(VALU_DEP_3) | instskip(SKIP_1) | instid1(VALU_DEP_2)
	v_bfi_b32 v108, v84, 0, v14
	v_lshrrev_b64 v[84:85], v113, v[14:15]
	v_cmp_eq_u64_e64 s10, v[108:109], v[86:87]
	s_delay_alu instid0(VALU_DEP_2)
	v_mov_b64_e32 v[86:87], v[84:85]
	s_and_saveexec_b32 s40, s10
; %bb.9076:                             ;   in Loop: Header=BB4_7930 Depth=2
	v_bfe_u32 v14, v84, 20, 1
	s_delay_alu instid0(VALU_DEP_1) | instskip(NEXT) | instid1(VALU_DEP_1)
	v_add_nc_u64_e32 v[86:87], v[84:85], v[14:15]
	v_add_nc_u64_e32 v[86:87], -1, v[86:87]
; %bb.9077:                             ;   in Loop: Header=BB4_7930 Depth=2
	s_or_b32 exec_lo, exec_lo, s40
	v_add_nc_u32_e32 v3, 0xffffff81, v98
	v_lshrrev_b32_e32 v14, 23, v84
	s_mov_b32 s10, exec_lo
	s_delay_alu instid0(VALU_DEP_2) | instskip(NEXT) | instid1(VALU_DEP_1)
	v_cndmask_b32_e64 v3, v3, 0xffffff82, vcc_lo
	v_add3_u32 v87, v113, v3, v14
	v_and_b32_e32 v3, 0xfffff, v86
	s_delay_alu instid0(VALU_DEP_1) | instskip(NEXT) | instid1(VALU_DEP_1)
	v_dual_add_nc_u32 v86, 6, v87 :: v_dual_add_nc_u32 v14, v3, v84
                                        ; implicit-def: $vgpr84_vgpr85
                                        ; implicit-def: $vgpr3
	v_cmpx_ne_u32_e32 0, v86
	s_xor_b32 s10, exec_lo, s10
; %bb.9078:                             ;   in Loop: Header=BB4_7930 Depth=2
	s_delay_alu instid0(VALU_DEP_2) | instskip(SKIP_2) | instid1(VALU_DEP_2)
	v_cmp_lt_u64_e32 vcc_lo, 0xffffff, v[14:15]
	v_add_nc_u32_e32 v3, 7, v87
	v_cndmask_b32_e64 v20, 0, 1, vcc_lo
	v_cndmask_b32_e32 v3, v86, v3, vcc_lo
	s_delay_alu instid0(VALU_DEP_2)
	v_lshrrev_b64 v[84:85], v20, v[14:15]
; %bb.9079:                             ;   in Loop: Header=BB4_7930 Depth=2
	s_and_not1_saveexec_b32 s10, s10
; %bb.9080:                             ;   in Loop: Header=BB4_7930 Depth=2
	v_mov_b64_e32 v[84:85], v[14:15]
	v_bfe_u32 v3, v14, 23, 1
; %bb.9081:                             ;   in Loop: Header=BB4_7930 Depth=2
	s_or_b32 exec_lo, exec_lo, s10
	s_delay_alu instid0(VALU_DEP_2) | instskip(NEXT) | instid1(VALU_DEP_2)
	v_lshrrev_b64 v[84:85], 20, v[84:85]
	v_cmp_gt_i32_e32 vcc_lo, 16, v3
	v_min_i32_e32 v14, 15, v3
	v_cmp_eq_u32_e64 s10, 0, v3
	s_delay_alu instid0(VALU_DEP_2) | instskip(SKIP_1) | instid1(VALU_DEP_2)
	v_dual_cndmask_b32 v85, 0, v85 :: v_dual_lshlrev_b32 v14, 3, v14
	v_cndmask_b32_e32 v84, 7, v84, vcc_lo
	v_and_b32_e32 v14, 0xf8, v14
	s_delay_alu instid0(VALU_DEP_2) | instskip(NEXT) | instid1(VALU_DEP_2)
	v_cmp_eq_u64_e32 vcc_lo, 0, v[84:85]
	v_and_or_b32 v3, v84, 7, v14
	s_and_b32 s10, s10, vcc_lo
	s_delay_alu instid0(VALU_DEP_1) | instid1(SALU_CYCLE_1)
	v_cndmask_b32_e64 v3, v3, 0, s10
	s_delay_alu instid0(VALU_DEP_1)
	v_or_b32_e32 v108, v3, v2
.LBB4_9082:                             ;   in Loop: Header=BB4_7930 Depth=2
	s_or_b32 exec_lo, exec_lo, s29
                                        ; implicit-def: $vgpr2
.LBB4_9083:                             ;   in Loop: Header=BB4_7930 Depth=2
	s_and_not1_saveexec_b32 s10, s28
; %bb.9084:                             ;   in Loop: Header=BB4_7930 Depth=2
	v_or_b32_e32 v108, 0x7e, v2
; %bb.9085:                             ;   in Loop: Header=BB4_7930 Depth=2
	s_or_b32 exec_lo, exec_lo, s10
                                        ; implicit-def: $vgpr2
.LBB4_9086:                             ;   in Loop: Header=BB4_7930 Depth=2
	s_and_not1_saveexec_b32 s10, s27
; %bb.9087:                             ;   in Loop: Header=BB4_7930 Depth=2
	v_or_b32_e32 v108, 0x7f, v2
; %bb.9088:                             ;   in Loop: Header=BB4_7930 Depth=2
	s_or_b32 exec_lo, exec_lo, s10
	v_lshrrev_b16 v3, 8, v10
	v_mov_b32_e32 v2, 0
	s_mov_b32 s10, exec_lo
	s_delay_alu instid0(VALU_DEP_2)
	v_cmpx_ne_u16_e32 0, v3
	s_cbranch_execz .LBB4_9096
; %bb.9089:                             ;   in Loop: Header=BB4_7930 Depth=2
	v_bfrev_b32_e32 v2, 1
	s_mov_b32 s27, exec_lo
	v_cmpx_ne_u16_e32 0x80, v3
	s_cbranch_execz .LBB4_9095
; %bb.9090:                             ;   in Loop: Header=BB4_7930 Depth=2
	v_and_b32_e32 v14, 0xffff, v3
	v_mov_b32_e32 v2, 0x7f800001
	s_mov_b32 s28, exec_lo
	s_delay_alu instid0(VALU_DEP_2) | instskip(NEXT) | instid1(VALU_DEP_1)
	v_and_b32_e32 v3, 0x7f, v14
	v_cmpx_ne_u32_e32 0x7f, v3
	s_cbranch_execz .LBB4_9094
; %bb.9091:                             ;   in Loop: Header=BB4_7930 Depth=2
	v_dual_lshrrev_b32 v2, 3, v3 :: v_dual_bitop2_b32 v14, 7, v14 bitop3:0x40
	s_mov_b32 s29, exec_lo
	v_cmpx_gt_u32_e32 8, v3
; %bb.9092:                             ;   in Loop: Header=BB4_7930 Depth=2
	s_delay_alu instid0(VALU_DEP_2) | instskip(NEXT) | instid1(VALU_DEP_1)
	v_clz_i32_u32_e32 v2, v14
	v_min_u32_e32 v2, 32, v2
	s_delay_alu instid0(VALU_DEP_1) | instskip(NEXT) | instid1(VALU_DEP_1)
	v_subrev_nc_u32_e32 v3, 28, v2
	v_lshlrev_b64_e32 v[84:85], v3, v[14:15]
	s_delay_alu instid0(VALU_DEP_1)
	v_dual_sub_nc_u32 v2, 29, v2 :: v_dual_bitop2_b32 v14, 7, v84 bitop3:0x40
; %bb.9093:                             ;   in Loop: Header=BB4_7930 Depth=2
	s_or_b32 exec_lo, exec_lo, s29
	v_lshlrev_b32_e32 v3, 16, v10
	s_delay_alu instid0(VALU_DEP_2) | instskip(NEXT) | instid1(VALU_DEP_3)
	v_lshlrev_b32_e32 v14, 20, v14
	v_lshl_add_u32 v2, v2, 23, 0x3c000000
	s_delay_alu instid0(VALU_DEP_3) | instskip(NEXT) | instid1(VALU_DEP_1)
	v_and_b32_e32 v3, 0x80000000, v3
	v_or3_b32 v2, v14, v3, v2
.LBB4_9094:                             ;   in Loop: Header=BB4_7930 Depth=2
	s_or_b32 exec_lo, exec_lo, s28
.LBB4_9095:                             ;   in Loop: Header=BB4_7930 Depth=2
	s_delay_alu instid0(SALU_CYCLE_1)
	s_or_b32 exec_lo, exec_lo, s27
.LBB4_9096:                             ;   in Loop: Header=BB4_7930 Depth=2
	s_delay_alu instid0(SALU_CYCLE_1) | instskip(NEXT) | instid1(VALU_DEP_1)
	s_or_b32 exec_lo, exec_lo, s10
	v_mul_f32_e32 v3, s26, v2
                                        ; implicit-def: $vgpr109
	s_mov_b32 s10, exec_lo
	s_delay_alu instid0(VALU_DEP_1) | instskip(SKIP_1) | instid1(VALU_DEP_2)
	v_and_b32_e32 v14, 0x7f800000, v3
	v_lshrrev_b32_e32 v2, 24, v3
	v_cmpx_ne_u64_e32 0x7f800000, v[14:15]
	s_xor_b32 s27, exec_lo, s10
	s_cbranch_execz .LBB4_9110
; %bb.9097:                             ;   in Loop: Header=BB4_7930 Depth=2
	v_and_b32_e32 v14, 0x7fffffff, v3
	v_and_b32_e32 v2, 0x80, v2
                                        ; implicit-def: $vgpr109
	s_mov_b32 s10, exec_lo
	s_delay_alu instid0(VALU_DEP_2)
	v_cmpx_gt_u64_e32 0x43e00001, v[14:15]
	s_xor_b32 s28, exec_lo, s10
	s_cbranch_execz .LBB4_9107
; %bb.9098:                             ;   in Loop: Header=BB4_7930 Depth=2
	v_mov_b32_e32 v109, 0
	s_mov_b32 s29, exec_lo
	v_cmpx_ne_u32_e32 0, v3
	s_cbranch_execz .LBB4_9106
; %bb.9099:                             ;   in Loop: Header=BB4_7930 Depth=2
	v_bfe_u32 v98, v3, 23, 8
	v_and_b32_e32 v3, 0x7fffff, v3
	s_delay_alu instid0(VALU_DEP_2) | instskip(SKIP_1) | instid1(VALU_DEP_3)
	v_sub_nc_u32_e32 v14, 0x79, v98
	v_cmp_gt_u32_e32 vcc_lo, 0x7a, v98
	v_or_b32_e32 v20, 0x800000, v3
	s_delay_alu instid0(VALU_DEP_3) | instskip(SKIP_1) | instid1(VALU_DEP_2)
	v_cndmask_b32_e32 v14, 0, v14, vcc_lo
	v_cmp_eq_u32_e32 vcc_lo, 0, v98
	v_cndmask_b32_e64 v113, v14, 0x78, vcc_lo
	s_delay_alu instid0(VALU_DEP_1) | instskip(NEXT) | instid1(VALU_DEP_1)
	v_dual_add_nc_u32 v14, 20, v113 :: v_dual_add_nc_u32 v21, 19, v113
	v_lshlrev_b64_e64 v[84:85], v14, -1
	v_cndmask_b32_e32 v14, v20, v3, vcc_lo
	s_delay_alu instid0(VALU_DEP_3) | instskip(NEXT) | instid1(VALU_DEP_3)
	v_lshlrev_b64_e64 v[86:87], v21, 1
	v_bfi_b32 v111, v85, 0, 0
	s_delay_alu instid0(VALU_DEP_3) | instskip(SKIP_1) | instid1(VALU_DEP_2)
	v_bfi_b32 v110, v84, 0, v14
	v_lshrrev_b64 v[84:85], v113, v[14:15]
	v_cmp_eq_u64_e64 s10, v[110:111], v[86:87]
	s_delay_alu instid0(VALU_DEP_2)
	v_mov_b64_e32 v[86:87], v[84:85]
	s_and_saveexec_b32 s40, s10
; %bb.9100:                             ;   in Loop: Header=BB4_7930 Depth=2
	v_bfe_u32 v14, v84, 20, 1
	s_delay_alu instid0(VALU_DEP_1) | instskip(NEXT) | instid1(VALU_DEP_1)
	v_add_nc_u64_e32 v[86:87], v[84:85], v[14:15]
	v_add_nc_u64_e32 v[86:87], -1, v[86:87]
; %bb.9101:                             ;   in Loop: Header=BB4_7930 Depth=2
	s_or_b32 exec_lo, exec_lo, s40
	v_add_nc_u32_e32 v3, 0xffffff81, v98
	v_lshrrev_b32_e32 v14, 23, v84
	s_mov_b32 s10, exec_lo
	s_delay_alu instid0(VALU_DEP_2) | instskip(NEXT) | instid1(VALU_DEP_1)
	v_cndmask_b32_e64 v3, v3, 0xffffff82, vcc_lo
	v_add3_u32 v87, v113, v3, v14
	v_and_b32_e32 v3, 0xfffff, v86
	s_delay_alu instid0(VALU_DEP_1) | instskip(NEXT) | instid1(VALU_DEP_1)
	v_dual_add_nc_u32 v86, 6, v87 :: v_dual_add_nc_u32 v14, v3, v84
                                        ; implicit-def: $vgpr84_vgpr85
                                        ; implicit-def: $vgpr3
	v_cmpx_ne_u32_e32 0, v86
	s_xor_b32 s10, exec_lo, s10
; %bb.9102:                             ;   in Loop: Header=BB4_7930 Depth=2
	s_delay_alu instid0(VALU_DEP_2) | instskip(SKIP_2) | instid1(VALU_DEP_2)
	v_cmp_lt_u64_e32 vcc_lo, 0xffffff, v[14:15]
	v_add_nc_u32_e32 v3, 7, v87
	v_cndmask_b32_e64 v20, 0, 1, vcc_lo
	v_cndmask_b32_e32 v3, v86, v3, vcc_lo
	s_delay_alu instid0(VALU_DEP_2)
	v_lshrrev_b64 v[84:85], v20, v[14:15]
; %bb.9103:                             ;   in Loop: Header=BB4_7930 Depth=2
	s_and_not1_saveexec_b32 s10, s10
; %bb.9104:                             ;   in Loop: Header=BB4_7930 Depth=2
	v_mov_b64_e32 v[84:85], v[14:15]
	v_bfe_u32 v3, v14, 23, 1
; %bb.9105:                             ;   in Loop: Header=BB4_7930 Depth=2
	s_or_b32 exec_lo, exec_lo, s10
	s_delay_alu instid0(VALU_DEP_2) | instskip(NEXT) | instid1(VALU_DEP_2)
	v_lshrrev_b64 v[84:85], 20, v[84:85]
	v_cmp_gt_i32_e32 vcc_lo, 16, v3
	v_min_i32_e32 v14, 15, v3
	v_cmp_eq_u32_e64 s10, 0, v3
	s_delay_alu instid0(VALU_DEP_2) | instskip(SKIP_1) | instid1(VALU_DEP_2)
	v_dual_cndmask_b32 v85, 0, v85 :: v_dual_lshlrev_b32 v14, 3, v14
	v_cndmask_b32_e32 v84, 7, v84, vcc_lo
	v_and_b32_e32 v14, 0xf8, v14
	s_delay_alu instid0(VALU_DEP_2) | instskip(NEXT) | instid1(VALU_DEP_2)
	v_cmp_eq_u64_e32 vcc_lo, 0, v[84:85]
	v_and_or_b32 v3, v84, 7, v14
	s_and_b32 s10, s10, vcc_lo
	s_delay_alu instid0(VALU_DEP_1) | instid1(SALU_CYCLE_1)
	v_cndmask_b32_e64 v3, v3, 0, s10
	s_delay_alu instid0(VALU_DEP_1)
	v_or_b32_e32 v109, v3, v2
.LBB4_9106:                             ;   in Loop: Header=BB4_7930 Depth=2
	s_or_b32 exec_lo, exec_lo, s29
                                        ; implicit-def: $vgpr2
.LBB4_9107:                             ;   in Loop: Header=BB4_7930 Depth=2
	s_and_not1_saveexec_b32 s10, s28
; %bb.9108:                             ;   in Loop: Header=BB4_7930 Depth=2
	v_or_b32_e32 v109, 0x7e, v2
; %bb.9109:                             ;   in Loop: Header=BB4_7930 Depth=2
	s_or_b32 exec_lo, exec_lo, s10
                                        ; implicit-def: $vgpr2
.LBB4_9110:                             ;   in Loop: Header=BB4_7930 Depth=2
	s_and_not1_saveexec_b32 s10, s27
; %bb.9111:                             ;   in Loop: Header=BB4_7930 Depth=2
	v_or_b32_e32 v109, 0x7f, v2
; %bb.9112:                             ;   in Loop: Header=BB4_7930 Depth=2
	s_or_b32 exec_lo, exec_lo, s10
	v_dual_mov_b32 v3, 0 :: v_dual_lshrrev_b32 v2, 16, v10
	s_mov_b32 s10, exec_lo
	s_delay_alu instid0(VALU_DEP_1) | instskip(NEXT) | instid1(VALU_DEP_1)
	v_and_b32_e32 v14, 0xff, v2
	v_cmpx_ne_u16_e32 0, v14
	s_cbranch_execz .LBB4_9120
; %bb.9113:                             ;   in Loop: Header=BB4_7930 Depth=2
	v_bfrev_b32_e32 v3, 1
	s_mov_b32 s27, exec_lo
	v_cmpx_ne_u16_e32 0x80, v14
	s_cbranch_execz .LBB4_9119
; %bb.9114:                             ;   in Loop: Header=BB4_7930 Depth=2
	v_bfe_u32 v84, v10, 16, 7
	v_mov_b32_e32 v3, 0x7f800001
	s_mov_b32 s28, exec_lo
	s_delay_alu instid0(VALU_DEP_2)
	v_cmpx_ne_u32_e32 0x7f, v84
	s_cbranch_execz .LBB4_9118
; %bb.9115:                             ;   in Loop: Header=BB4_7930 Depth=2
	v_dual_lshrrev_b32 v3, 3, v84 :: v_dual_bitop2_b32 v14, 7, v2 bitop3:0x40
	s_mov_b32 s29, exec_lo
	v_cmpx_gt_u32_e32 8, v84
; %bb.9116:                             ;   in Loop: Header=BB4_7930 Depth=2
	s_delay_alu instid0(VALU_DEP_2) | instskip(NEXT) | instid1(VALU_DEP_1)
	v_clz_i32_u32_e32 v3, v14
	v_min_u32_e32 v3, 32, v3
	s_delay_alu instid0(VALU_DEP_1) | instskip(NEXT) | instid1(VALU_DEP_1)
	v_subrev_nc_u32_e32 v20, 28, v3
	v_lshlrev_b64_e32 v[84:85], v20, v[14:15]
	s_delay_alu instid0(VALU_DEP_1)
	v_dual_sub_nc_u32 v3, 29, v3 :: v_dual_bitop2_b32 v14, 7, v84 bitop3:0x40
; %bb.9117:                             ;   in Loop: Header=BB4_7930 Depth=2
	s_or_b32 exec_lo, exec_lo, s29
	v_lshlrev_b32_e32 v2, 24, v2
	s_delay_alu instid0(VALU_DEP_2) | instskip(NEXT) | instid1(VALU_DEP_3)
	v_lshlrev_b32_e32 v14, 20, v14
	v_lshl_add_u32 v3, v3, 23, 0x3c000000
	s_delay_alu instid0(VALU_DEP_3) | instskip(NEXT) | instid1(VALU_DEP_1)
	v_and_b32_e32 v2, 0x80000000, v2
	v_or3_b32 v3, v14, v2, v3
.LBB4_9118:                             ;   in Loop: Header=BB4_7930 Depth=2
	s_or_b32 exec_lo, exec_lo, s28
.LBB4_9119:                             ;   in Loop: Header=BB4_7930 Depth=2
	s_delay_alu instid0(SALU_CYCLE_1)
	s_or_b32 exec_lo, exec_lo, s27
.LBB4_9120:                             ;   in Loop: Header=BB4_7930 Depth=2
	s_delay_alu instid0(SALU_CYCLE_1) | instskip(NEXT) | instid1(VALU_DEP_1)
	s_or_b32 exec_lo, exec_lo, s10
	v_mul_f32_e32 v3, s26, v3
                                        ; implicit-def: $vgpr110
	s_mov_b32 s10, exec_lo
	s_delay_alu instid0(VALU_DEP_1) | instskip(SKIP_1) | instid1(VALU_DEP_2)
	v_and_b32_e32 v14, 0x7f800000, v3
	v_lshrrev_b32_e32 v2, 24, v3
	v_cmpx_ne_u64_e32 0x7f800000, v[14:15]
	s_xor_b32 s27, exec_lo, s10
	s_cbranch_execz .LBB4_9134
; %bb.9121:                             ;   in Loop: Header=BB4_7930 Depth=2
	v_and_b32_e32 v14, 0x7fffffff, v3
	v_and_b32_e32 v2, 0x80, v2
                                        ; implicit-def: $vgpr110
	s_mov_b32 s10, exec_lo
	s_delay_alu instid0(VALU_DEP_2)
	v_cmpx_gt_u64_e32 0x43e00001, v[14:15]
	s_xor_b32 s28, exec_lo, s10
	s_cbranch_execz .LBB4_9131
; %bb.9122:                             ;   in Loop: Header=BB4_7930 Depth=2
	v_mov_b32_e32 v110, 0
	s_mov_b32 s29, exec_lo
	v_cmpx_ne_u32_e32 0, v3
	s_cbranch_execz .LBB4_9130
; %bb.9123:                             ;   in Loop: Header=BB4_7930 Depth=2
	v_bfe_u32 v98, v3, 23, 8
	v_and_b32_e32 v3, 0x7fffff, v3
	s_delay_alu instid0(VALU_DEP_2) | instskip(SKIP_1) | instid1(VALU_DEP_3)
	v_sub_nc_u32_e32 v14, 0x79, v98
	v_cmp_gt_u32_e32 vcc_lo, 0x7a, v98
	v_or_b32_e32 v20, 0x800000, v3
	s_delay_alu instid0(VALU_DEP_3) | instskip(SKIP_1) | instid1(VALU_DEP_2)
	v_cndmask_b32_e32 v14, 0, v14, vcc_lo
	v_cmp_eq_u32_e32 vcc_lo, 0, v98
	v_cndmask_b32_e64 v113, v14, 0x78, vcc_lo
	s_delay_alu instid0(VALU_DEP_1) | instskip(NEXT) | instid1(VALU_DEP_1)
	v_dual_add_nc_u32 v14, 20, v113 :: v_dual_add_nc_u32 v21, 19, v113
	v_lshlrev_b64_e64 v[84:85], v14, -1
	v_cndmask_b32_e32 v14, v20, v3, vcc_lo
	s_delay_alu instid0(VALU_DEP_3) | instskip(NEXT) | instid1(VALU_DEP_3)
	v_lshlrev_b64_e64 v[86:87], v21, 1
	v_bfi_b32 v111, v85, 0, 0
	s_delay_alu instid0(VALU_DEP_3) | instskip(SKIP_1) | instid1(VALU_DEP_2)
	v_bfi_b32 v110, v84, 0, v14
	v_lshrrev_b64 v[84:85], v113, v[14:15]
	v_cmp_eq_u64_e64 s10, v[110:111], v[86:87]
	s_delay_alu instid0(VALU_DEP_2)
	v_mov_b64_e32 v[86:87], v[84:85]
	s_and_saveexec_b32 s40, s10
; %bb.9124:                             ;   in Loop: Header=BB4_7930 Depth=2
	v_bfe_u32 v14, v84, 20, 1
	s_delay_alu instid0(VALU_DEP_1) | instskip(NEXT) | instid1(VALU_DEP_1)
	v_add_nc_u64_e32 v[86:87], v[84:85], v[14:15]
	v_add_nc_u64_e32 v[86:87], -1, v[86:87]
; %bb.9125:                             ;   in Loop: Header=BB4_7930 Depth=2
	s_or_b32 exec_lo, exec_lo, s40
	v_add_nc_u32_e32 v3, 0xffffff81, v98
	v_lshrrev_b32_e32 v14, 23, v84
	s_mov_b32 s10, exec_lo
	s_delay_alu instid0(VALU_DEP_2) | instskip(NEXT) | instid1(VALU_DEP_1)
	v_cndmask_b32_e64 v3, v3, 0xffffff82, vcc_lo
	v_add3_u32 v87, v113, v3, v14
	v_and_b32_e32 v3, 0xfffff, v86
	s_delay_alu instid0(VALU_DEP_1) | instskip(NEXT) | instid1(VALU_DEP_1)
	v_dual_add_nc_u32 v86, 6, v87 :: v_dual_add_nc_u32 v14, v3, v84
                                        ; implicit-def: $vgpr84_vgpr85
                                        ; implicit-def: $vgpr3
	v_cmpx_ne_u32_e32 0, v86
	s_xor_b32 s10, exec_lo, s10
; %bb.9126:                             ;   in Loop: Header=BB4_7930 Depth=2
	s_delay_alu instid0(VALU_DEP_2) | instskip(SKIP_2) | instid1(VALU_DEP_2)
	v_cmp_lt_u64_e32 vcc_lo, 0xffffff, v[14:15]
	v_add_nc_u32_e32 v3, 7, v87
	v_cndmask_b32_e64 v20, 0, 1, vcc_lo
	v_cndmask_b32_e32 v3, v86, v3, vcc_lo
	s_delay_alu instid0(VALU_DEP_2)
	v_lshrrev_b64 v[84:85], v20, v[14:15]
; %bb.9127:                             ;   in Loop: Header=BB4_7930 Depth=2
	s_and_not1_saveexec_b32 s10, s10
; %bb.9128:                             ;   in Loop: Header=BB4_7930 Depth=2
	v_mov_b64_e32 v[84:85], v[14:15]
	v_bfe_u32 v3, v14, 23, 1
; %bb.9129:                             ;   in Loop: Header=BB4_7930 Depth=2
	s_or_b32 exec_lo, exec_lo, s10
	s_delay_alu instid0(VALU_DEP_2) | instskip(NEXT) | instid1(VALU_DEP_2)
	v_lshrrev_b64 v[84:85], 20, v[84:85]
	v_cmp_gt_i32_e32 vcc_lo, 16, v3
	v_min_i32_e32 v14, 15, v3
	v_cmp_eq_u32_e64 s10, 0, v3
	s_delay_alu instid0(VALU_DEP_2) | instskip(SKIP_1) | instid1(VALU_DEP_2)
	v_dual_cndmask_b32 v85, 0, v85 :: v_dual_lshlrev_b32 v14, 3, v14
	v_cndmask_b32_e32 v84, 7, v84, vcc_lo
	v_and_b32_e32 v14, 0xf8, v14
	s_delay_alu instid0(VALU_DEP_2) | instskip(NEXT) | instid1(VALU_DEP_2)
	v_cmp_eq_u64_e32 vcc_lo, 0, v[84:85]
	v_and_or_b32 v3, v84, 7, v14
	s_and_b32 s10, s10, vcc_lo
	s_delay_alu instid0(VALU_DEP_1) | instid1(SALU_CYCLE_1)
	v_cndmask_b32_e64 v3, v3, 0, s10
	s_delay_alu instid0(VALU_DEP_1)
	v_or_b32_e32 v110, v3, v2
.LBB4_9130:                             ;   in Loop: Header=BB4_7930 Depth=2
	s_or_b32 exec_lo, exec_lo, s29
                                        ; implicit-def: $vgpr2
.LBB4_9131:                             ;   in Loop: Header=BB4_7930 Depth=2
	s_and_not1_saveexec_b32 s10, s28
; %bb.9132:                             ;   in Loop: Header=BB4_7930 Depth=2
	v_or_b32_e32 v110, 0x7e, v2
; %bb.9133:                             ;   in Loop: Header=BB4_7930 Depth=2
	s_or_b32 exec_lo, exec_lo, s10
                                        ; implicit-def: $vgpr2
.LBB4_9134:                             ;   in Loop: Header=BB4_7930 Depth=2
	s_and_not1_saveexec_b32 s10, s27
; %bb.9135:                             ;   in Loop: Header=BB4_7930 Depth=2
	v_or_b32_e32 v110, 0x7f, v2
; %bb.9136:                             ;   in Loop: Header=BB4_7930 Depth=2
	s_or_b32 exec_lo, exec_lo, s10
	v_mov_b32_e32 v3, 0
	s_mov_b32 s10, exec_lo
	v_cmpx_lt_u32_e32 0xffffff, v10
	s_cbranch_execz .LBB4_9144
; %bb.9137:                             ;   in Loop: Header=BB4_7930 Depth=2
	v_lshrrev_b32_e32 v2, 24, v10
	v_bfrev_b32_e32 v3, 1
	s_mov_b32 s27, exec_lo
	s_delay_alu instid0(VALU_DEP_2)
	v_cmpx_ne_u32_e32 0x80, v2
	s_cbranch_execz .LBB4_9143
; %bb.9138:                             ;   in Loop: Header=BB4_7930 Depth=2
	v_bfe_u32 v84, v10, 24, 7
	v_mov_b32_e32 v3, 0x7f800001
	s_mov_b32 s28, exec_lo
	s_delay_alu instid0(VALU_DEP_2)
	v_cmpx_ne_u32_e32 0x7f, v84
	s_cbranch_execz .LBB4_9142
; %bb.9139:                             ;   in Loop: Header=BB4_7930 Depth=2
	v_dual_lshrrev_b32 v3, 3, v84 :: v_dual_bitop2_b32 v14, 7, v2 bitop3:0x40
	s_mov_b32 s29, exec_lo
	v_cmpx_gt_u32_e32 8, v84
; %bb.9140:                             ;   in Loop: Header=BB4_7930 Depth=2
	s_delay_alu instid0(VALU_DEP_2) | instskip(NEXT) | instid1(VALU_DEP_1)
	v_clz_i32_u32_e32 v3, v14
	v_min_u32_e32 v3, 32, v3
	s_delay_alu instid0(VALU_DEP_1) | instskip(NEXT) | instid1(VALU_DEP_1)
	v_subrev_nc_u32_e32 v20, 28, v3
	v_lshlrev_b64_e32 v[84:85], v20, v[14:15]
	s_delay_alu instid0(VALU_DEP_1)
	v_dual_sub_nc_u32 v3, 29, v3 :: v_dual_bitop2_b32 v14, 7, v84 bitop3:0x40
; %bb.9141:                             ;   in Loop: Header=BB4_7930 Depth=2
	s_or_b32 exec_lo, exec_lo, s29
	v_lshlrev_b32_e32 v2, 24, v2
	s_delay_alu instid0(VALU_DEP_2) | instskip(NEXT) | instid1(VALU_DEP_3)
	v_lshlrev_b32_e32 v14, 20, v14
	v_lshl_add_u32 v3, v3, 23, 0x3c000000
	s_delay_alu instid0(VALU_DEP_3) | instskip(NEXT) | instid1(VALU_DEP_1)
	v_and_b32_e32 v2, 0x80000000, v2
	v_or3_b32 v3, v14, v2, v3
.LBB4_9142:                             ;   in Loop: Header=BB4_7930 Depth=2
	s_or_b32 exec_lo, exec_lo, s28
.LBB4_9143:                             ;   in Loop: Header=BB4_7930 Depth=2
	s_delay_alu instid0(SALU_CYCLE_1)
	s_or_b32 exec_lo, exec_lo, s27
.LBB4_9144:                             ;   in Loop: Header=BB4_7930 Depth=2
	s_delay_alu instid0(SALU_CYCLE_1) | instskip(NEXT) | instid1(VALU_DEP_1)
	s_or_b32 exec_lo, exec_lo, s10
	v_mul_f32_e32 v3, s26, v3
                                        ; implicit-def: $vgpr111
	s_mov_b32 s10, exec_lo
	s_delay_alu instid0(VALU_DEP_1) | instskip(SKIP_1) | instid1(VALU_DEP_2)
	v_and_b32_e32 v14, 0x7f800000, v3
	v_lshrrev_b32_e32 v2, 24, v3
	v_cmpx_ne_u64_e32 0x7f800000, v[14:15]
	s_xor_b32 s27, exec_lo, s10
	s_cbranch_execz .LBB4_9158
; %bb.9145:                             ;   in Loop: Header=BB4_7930 Depth=2
	v_and_b32_e32 v14, 0x7fffffff, v3
	v_and_b32_e32 v2, 0x80, v2
                                        ; implicit-def: $vgpr111
	s_mov_b32 s10, exec_lo
	s_delay_alu instid0(VALU_DEP_2)
	v_cmpx_gt_u64_e32 0x43e00001, v[14:15]
	s_xor_b32 s28, exec_lo, s10
	s_cbranch_execz .LBB4_9155
; %bb.9146:                             ;   in Loop: Header=BB4_7930 Depth=2
	v_mov_b32_e32 v111, 0
	s_mov_b32 s29, exec_lo
	v_cmpx_ne_u32_e32 0, v3
	s_cbranch_execz .LBB4_9154
; %bb.9147:                             ;   in Loop: Header=BB4_7930 Depth=2
	v_bfe_u32 v98, v3, 23, 8
	v_and_b32_e32 v3, 0x7fffff, v3
	s_delay_alu instid0(VALU_DEP_2) | instskip(SKIP_1) | instid1(VALU_DEP_3)
	v_sub_nc_u32_e32 v14, 0x79, v98
	v_cmp_gt_u32_e32 vcc_lo, 0x7a, v98
	v_or_b32_e32 v20, 0x800000, v3
	s_delay_alu instid0(VALU_DEP_3) | instskip(SKIP_1) | instid1(VALU_DEP_2)
	v_cndmask_b32_e32 v14, 0, v14, vcc_lo
	v_cmp_eq_u32_e32 vcc_lo, 0, v98
	v_cndmask_b32_e64 v113, v14, 0x78, vcc_lo
	s_delay_alu instid0(VALU_DEP_1) | instskip(NEXT) | instid1(VALU_DEP_1)
	v_dual_add_nc_u32 v14, 20, v113 :: v_dual_add_nc_u32 v21, 19, v113
	v_lshlrev_b64_e64 v[84:85], v14, -1
	v_cndmask_b32_e32 v14, v20, v3, vcc_lo
	s_delay_alu instid0(VALU_DEP_3) | instskip(NEXT) | instid1(VALU_DEP_3)
	v_lshlrev_b64_e64 v[86:87], v21, 1
	v_bfi_b32 v121, v85, 0, 0
	s_delay_alu instid0(VALU_DEP_3) | instskip(SKIP_1) | instid1(VALU_DEP_2)
	v_bfi_b32 v120, v84, 0, v14
	v_lshrrev_b64 v[84:85], v113, v[14:15]
	v_cmp_eq_u64_e64 s10, v[120:121], v[86:87]
	s_delay_alu instid0(VALU_DEP_2)
	v_mov_b64_e32 v[86:87], v[84:85]
	s_and_saveexec_b32 s40, s10
; %bb.9148:                             ;   in Loop: Header=BB4_7930 Depth=2
	v_bfe_u32 v14, v84, 20, 1
	s_delay_alu instid0(VALU_DEP_1) | instskip(NEXT) | instid1(VALU_DEP_1)
	v_add_nc_u64_e32 v[86:87], v[84:85], v[14:15]
	v_add_nc_u64_e32 v[86:87], -1, v[86:87]
; %bb.9149:                             ;   in Loop: Header=BB4_7930 Depth=2
	s_or_b32 exec_lo, exec_lo, s40
	v_add_nc_u32_e32 v3, 0xffffff81, v98
	v_lshrrev_b32_e32 v14, 23, v84
	s_mov_b32 s10, exec_lo
	s_delay_alu instid0(VALU_DEP_2) | instskip(NEXT) | instid1(VALU_DEP_1)
	v_cndmask_b32_e64 v3, v3, 0xffffff82, vcc_lo
	v_add3_u32 v87, v113, v3, v14
	v_and_b32_e32 v3, 0xfffff, v86
	s_delay_alu instid0(VALU_DEP_1) | instskip(NEXT) | instid1(VALU_DEP_1)
	v_dual_add_nc_u32 v86, 6, v87 :: v_dual_add_nc_u32 v14, v3, v84
                                        ; implicit-def: $vgpr84_vgpr85
                                        ; implicit-def: $vgpr3
	v_cmpx_ne_u32_e32 0, v86
	s_xor_b32 s10, exec_lo, s10
; %bb.9150:                             ;   in Loop: Header=BB4_7930 Depth=2
	s_delay_alu instid0(VALU_DEP_2) | instskip(SKIP_2) | instid1(VALU_DEP_2)
	v_cmp_lt_u64_e32 vcc_lo, 0xffffff, v[14:15]
	v_add_nc_u32_e32 v3, 7, v87
	v_cndmask_b32_e64 v20, 0, 1, vcc_lo
	v_cndmask_b32_e32 v3, v86, v3, vcc_lo
	s_delay_alu instid0(VALU_DEP_2)
	v_lshrrev_b64 v[84:85], v20, v[14:15]
; %bb.9151:                             ;   in Loop: Header=BB4_7930 Depth=2
	s_and_not1_saveexec_b32 s10, s10
; %bb.9152:                             ;   in Loop: Header=BB4_7930 Depth=2
	v_mov_b64_e32 v[84:85], v[14:15]
	v_bfe_u32 v3, v14, 23, 1
; %bb.9153:                             ;   in Loop: Header=BB4_7930 Depth=2
	s_or_b32 exec_lo, exec_lo, s10
	s_delay_alu instid0(VALU_DEP_2) | instskip(NEXT) | instid1(VALU_DEP_2)
	v_lshrrev_b64 v[84:85], 20, v[84:85]
	v_cmp_gt_i32_e32 vcc_lo, 16, v3
	v_min_i32_e32 v14, 15, v3
	v_cmp_eq_u32_e64 s10, 0, v3
	s_delay_alu instid0(VALU_DEP_2) | instskip(SKIP_1) | instid1(VALU_DEP_2)
	v_dual_cndmask_b32 v85, 0, v85 :: v_dual_lshlrev_b32 v14, 3, v14
	v_cndmask_b32_e32 v84, 7, v84, vcc_lo
	v_and_b32_e32 v14, 0xf8, v14
	s_delay_alu instid0(VALU_DEP_2) | instskip(NEXT) | instid1(VALU_DEP_2)
	v_cmp_eq_u64_e32 vcc_lo, 0, v[84:85]
	v_and_or_b32 v3, v84, 7, v14
	s_and_b32 s10, s10, vcc_lo
	s_delay_alu instid0(VALU_DEP_1) | instid1(SALU_CYCLE_1)
	v_cndmask_b32_e64 v3, v3, 0, s10
	s_delay_alu instid0(VALU_DEP_1)
	v_or_b32_e32 v111, v3, v2
.LBB4_9154:                             ;   in Loop: Header=BB4_7930 Depth=2
	s_or_b32 exec_lo, exec_lo, s29
                                        ; implicit-def: $vgpr2
.LBB4_9155:                             ;   in Loop: Header=BB4_7930 Depth=2
	s_and_not1_saveexec_b32 s10, s28
; %bb.9156:                             ;   in Loop: Header=BB4_7930 Depth=2
	v_or_b32_e32 v111, 0x7e, v2
; %bb.9157:                             ;   in Loop: Header=BB4_7930 Depth=2
	s_or_b32 exec_lo, exec_lo, s10
                                        ; implicit-def: $vgpr2
.LBB4_9158:                             ;   in Loop: Header=BB4_7930 Depth=2
	s_and_not1_saveexec_b32 s10, s27
; %bb.9159:                             ;   in Loop: Header=BB4_7930 Depth=2
	v_or_b32_e32 v111, 0x7f, v2
; %bb.9160:                             ;   in Loop: Header=BB4_7930 Depth=2
	s_or_b32 exec_lo, exec_lo, s10
	v_and_b32_e32 v3, 0xff, v11
	v_dual_mov_b32 v14, v11 :: v_dual_mov_b32 v2, 0
	s_mov_b32 s10, exec_lo
	s_delay_alu instid0(VALU_DEP_2)
	v_cmpx_ne_u16_e32 0, v3
	s_cbranch_execz .LBB4_9166
; %bb.9161:                             ;   in Loop: Header=BB4_7930 Depth=2
	v_bfrev_b32_e32 v2, 1
	s_mov_b32 s27, exec_lo
	v_cmpx_ne_u16_e32 0x80, v3
	s_cbranch_execz .LBB4_9165
; %bb.9162:                             ;   in Loop: Header=BB4_7930 Depth=2
	v_and_b32_e32 v3, 0x7f, v11
	v_mov_b32_e32 v2, 0x7f800001
	s_mov_b32 s28, exec_lo
	s_delay_alu instid0(VALU_DEP_2)
	v_cmpx_ne_u32_e32 0x7f, v3
	s_cbranch_execz .LBB4_9164
; %bb.9163:                             ;   in Loop: Header=BB4_7930 Depth=2
	v_and_b32_e32 v2, 7, v11
	v_cmp_gt_u32_e32 vcc_lo, 8, v3
	s_delay_alu instid0(VALU_DEP_2) | instskip(NEXT) | instid1(VALU_DEP_1)
	v_clz_i32_u32_e32 v2, v2
	v_min_u32_e32 v2, 32, v2
	v_lshrrev_b32_e32 v20, 3, v3
	s_delay_alu instid0(VALU_DEP_2) | instskip(SKIP_1) | instid1(VALU_DEP_1)
	v_subrev_nc_u32_e32 v21, 28, v2
	v_sub_nc_u32_e32 v2, 29, v2
	v_dual_cndmask_b32 v20, v20, v2, vcc_lo :: v_dual_cndmask_b32 v2, 0, v21, vcc_lo
	s_delay_alu instid0(VALU_DEP_1) | instskip(NEXT) | instid1(VALU_DEP_2)
	v_lshl_add_u32 v20, v20, 23, 0x3c000000
	v_lshlrev_b64_e32 v[2:3], v2, v[14:15]
	v_lshlrev_b32_e32 v3, 24, v14
	s_delay_alu instid0(VALU_DEP_1) | instskip(NEXT) | instid1(VALU_DEP_3)
	v_and_b32_e32 v3, 0x80000000, v3
	v_lshlrev_b32_e32 v2, 20, v2
	s_delay_alu instid0(VALU_DEP_1) | instskip(NEXT) | instid1(VALU_DEP_1)
	v_and_b32_e32 v2, 0x700000, v2
	v_or3_b32 v2, v2, v3, v20
.LBB4_9164:                             ;   in Loop: Header=BB4_7930 Depth=2
	s_or_b32 exec_lo, exec_lo, s28
.LBB4_9165:                             ;   in Loop: Header=BB4_7930 Depth=2
	s_delay_alu instid0(SALU_CYCLE_1)
	s_or_b32 exec_lo, exec_lo, s27
.LBB4_9166:                             ;   in Loop: Header=BB4_7930 Depth=2
	s_delay_alu instid0(SALU_CYCLE_1) | instskip(NEXT) | instid1(VALU_DEP_1)
	s_or_b32 exec_lo, exec_lo, s10
	v_dual_mul_f32 v3, s26, v2 :: v_dual_mov_b32 v85, v15
                                        ; implicit-def: $vgpr120
	s_mov_b32 s10, exec_lo
	s_delay_alu instid0(VALU_DEP_1) | instskip(SKIP_1) | instid1(VALU_DEP_2)
	v_and_b32_e32 v84, 0x7f800000, v3
	v_lshrrev_b32_e32 v2, 24, v3
	v_cmpx_ne_u64_e32 0x7f800000, v[84:85]
	s_xor_b32 s27, exec_lo, s10
	s_cbranch_execz .LBB4_9180
; %bb.9167:                             ;   in Loop: Header=BB4_7930 Depth=2
	v_and_b32_e32 v84, 0x7fffffff, v3
	v_mov_b32_e32 v85, v15
	v_and_b32_e32 v2, 0x80, v2
                                        ; implicit-def: $vgpr120
	s_mov_b32 s10, exec_lo
	s_delay_alu instid0(VALU_DEP_2)
	v_cmpx_gt_u64_e32 0x43e00001, v[84:85]
	s_xor_b32 s28, exec_lo, s10
	s_cbranch_execz .LBB4_9177
; %bb.9168:                             ;   in Loop: Header=BB4_7930 Depth=2
	v_mov_b32_e32 v120, 0
	s_mov_b32 s29, exec_lo
	v_cmpx_ne_u32_e32 0, v3
	s_cbranch_execz .LBB4_9176
; %bb.9169:                             ;   in Loop: Header=BB4_7930 Depth=2
	v_and_b32_e32 v20, 0x7fffff, v3
	v_bfe_u32 v3, v3, 23, 8
	v_mov_b32_e32 v85, v15
	s_delay_alu instid0(VALU_DEP_3) | instskip(NEXT) | instid1(VALU_DEP_3)
	v_or_b32_e32 v84, 0x800000, v20
	v_cmp_eq_u32_e32 vcc_lo, 0, v3
	v_cmp_gt_u32_e64 s10, 0x7a, v3
	s_delay_alu instid0(VALU_DEP_3) | instskip(NEXT) | instid1(VALU_DEP_1)
	v_dual_cndmask_b32 v84, v84, v20 :: v_dual_sub_nc_u32 v21, 0x79, v3
	v_cndmask_b32_e64 v21, 0, v21, s10
	s_delay_alu instid0(VALU_DEP_1) | instskip(NEXT) | instid1(VALU_DEP_1)
	v_cndmask_b32_e64 v113, v21, 0x78, vcc_lo
	v_add_nc_u32_e32 v20, 20, v113
	s_delay_alu instid0(VALU_DEP_1) | instskip(SKIP_1) | instid1(VALU_DEP_1)
	v_lshlrev_b64_e64 v[86:87], v20, -1
	v_add_nc_u32_e32 v20, 19, v113
	v_lshlrev_b64_e64 v[120:121], v20, 1
	s_delay_alu instid0(VALU_DEP_3) | instskip(SKIP_2) | instid1(VALU_DEP_1)
	v_bfi_b32 v86, v86, 0, v84
	v_lshrrev_b64 v[84:85], v113, v[84:85]
	v_bfi_b32 v87, v87, 0, 0
	v_cmp_eq_u64_e64 s10, v[86:87], v[120:121]
	s_delay_alu instid0(VALU_DEP_3)
	v_mov_b64_e32 v[86:87], v[84:85]
	s_and_saveexec_b32 s40, s10
; %bb.9170:                             ;   in Loop: Header=BB4_7930 Depth=2
	v_bfe_u32 v86, v84, 20, 1
	v_mov_b32_e32 v87, v15
	s_delay_alu instid0(VALU_DEP_1) | instskip(NEXT) | instid1(VALU_DEP_1)
	v_add_nc_u64_e32 v[86:87], v[84:85], v[86:87]
	v_add_nc_u64_e32 v[86:87], -1, v[86:87]
; %bb.9171:                             ;   in Loop: Header=BB4_7930 Depth=2
	s_or_b32 exec_lo, exec_lo, s40
	v_add_nc_u32_e32 v3, 0xffffff81, v3
	v_dual_mov_b32 v85, v15 :: v_dual_lshrrev_b32 v20, 23, v84
	s_mov_b32 s10, exec_lo
	s_delay_alu instid0(VALU_DEP_2) | instskip(NEXT) | instid1(VALU_DEP_1)
	v_cndmask_b32_e64 v3, v3, 0xffffff82, vcc_lo
	v_add3_u32 v87, v113, v3, v20
	v_and_b32_e32 v3, 0xfffff, v86
	s_delay_alu instid0(VALU_DEP_1) | instskip(NEXT) | instid1(VALU_DEP_1)
	v_dual_add_nc_u32 v86, 6, v87 :: v_dual_add_nc_u32 v84, v3, v84
                                        ; implicit-def: $vgpr3
	v_cmpx_ne_u32_e32 0, v86
	s_xor_b32 s10, exec_lo, s10
; %bb.9172:                             ;   in Loop: Header=BB4_7930 Depth=2
	s_delay_alu instid0(VALU_DEP_2) | instskip(SKIP_2) | instid1(VALU_DEP_2)
	v_cmp_lt_u64_e32 vcc_lo, 0xffffff, v[84:85]
	v_add_nc_u32_e32 v3, 7, v87
	v_cndmask_b32_e64 v20, 0, 1, vcc_lo
	v_cndmask_b32_e32 v3, v86, v3, vcc_lo
	s_delay_alu instid0(VALU_DEP_2)
	v_lshrrev_b64 v[84:85], v20, v[84:85]
; %bb.9173:                             ;   in Loop: Header=BB4_7930 Depth=2
	s_and_not1_saveexec_b32 s10, s10
; %bb.9174:                             ;   in Loop: Header=BB4_7930 Depth=2
	s_delay_alu instid0(VALU_DEP_1)
	v_bfe_u32 v3, v84, 23, 1
; %bb.9175:                             ;   in Loop: Header=BB4_7930 Depth=2
	s_or_b32 exec_lo, exec_lo, s10
	s_delay_alu instid0(VALU_DEP_2) | instskip(NEXT) | instid1(VALU_DEP_2)
	v_lshrrev_b64 v[84:85], 20, v[84:85]
	v_cmp_gt_i32_e32 vcc_lo, 16, v3
	v_min_i32_e32 v20, 15, v3
	v_cmp_eq_u32_e64 s10, 0, v3
	s_delay_alu instid0(VALU_DEP_2) | instskip(SKIP_1) | instid1(VALU_DEP_2)
	v_dual_cndmask_b32 v85, 0, v85 :: v_dual_lshlrev_b32 v20, 3, v20
	v_cndmask_b32_e32 v84, 7, v84, vcc_lo
	v_and_b32_e32 v20, 0xf8, v20
	s_delay_alu instid0(VALU_DEP_2) | instskip(NEXT) | instid1(VALU_DEP_2)
	v_cmp_eq_u64_e32 vcc_lo, 0, v[84:85]
	v_and_or_b32 v3, v84, 7, v20
	s_and_b32 s10, s10, vcc_lo
	s_delay_alu instid0(VALU_DEP_1) | instid1(SALU_CYCLE_1)
	v_cndmask_b32_e64 v3, v3, 0, s10
	s_delay_alu instid0(VALU_DEP_1)
	v_or_b32_e32 v120, v3, v2
.LBB4_9176:                             ;   in Loop: Header=BB4_7930 Depth=2
	s_or_b32 exec_lo, exec_lo, s29
                                        ; implicit-def: $vgpr2
.LBB4_9177:                             ;   in Loop: Header=BB4_7930 Depth=2
	s_and_not1_saveexec_b32 s10, s28
; %bb.9178:                             ;   in Loop: Header=BB4_7930 Depth=2
	v_or_b32_e32 v120, 0x7e, v2
; %bb.9179:                             ;   in Loop: Header=BB4_7930 Depth=2
	s_or_b32 exec_lo, exec_lo, s10
                                        ; implicit-def: $vgpr2
.LBB4_9180:                             ;   in Loop: Header=BB4_7930 Depth=2
	s_and_not1_saveexec_b32 s10, s27
; %bb.9181:                             ;   in Loop: Header=BB4_7930 Depth=2
	v_or_b32_e32 v120, 0x7f, v2
; %bb.9182:                             ;   in Loop: Header=BB4_7930 Depth=2
	s_or_b32 exec_lo, exec_lo, s10
	v_lshrrev_b16 v3, 8, v14
	v_mov_b32_e32 v2, 0
	s_mov_b32 s10, exec_lo
	s_delay_alu instid0(VALU_DEP_2)
	v_cmpx_ne_u16_e32 0, v3
	s_cbranch_execz .LBB4_9190
; %bb.9183:                             ;   in Loop: Header=BB4_7930 Depth=2
	v_bfrev_b32_e32 v2, 1
	s_mov_b32 s27, exec_lo
	v_cmpx_ne_u16_e32 0x80, v3
	s_cbranch_execz .LBB4_9189
; %bb.9184:                             ;   in Loop: Header=BB4_7930 Depth=2
	v_and_b32_e32 v84, 0xffff, v3
	v_mov_b32_e32 v2, 0x7f800001
	s_mov_b32 s28, exec_lo
	s_delay_alu instid0(VALU_DEP_2) | instskip(NEXT) | instid1(VALU_DEP_1)
	v_and_b32_e32 v3, 0x7f, v84
	v_cmpx_ne_u32_e32 0x7f, v3
	s_cbranch_execz .LBB4_9188
; %bb.9185:                             ;   in Loop: Header=BB4_7930 Depth=2
	v_dual_mov_b32 v85, v15 :: v_dual_bitop2_b32 v84, 7, v84 bitop3:0x40
	v_lshrrev_b32_e32 v2, 3, v3
	s_mov_b32 s29, exec_lo
	v_cmpx_gt_u32_e32 8, v3
; %bb.9186:                             ;   in Loop: Header=BB4_7930 Depth=2
	s_delay_alu instid0(VALU_DEP_3) | instskip(NEXT) | instid1(VALU_DEP_1)
	v_clz_i32_u32_e32 v2, v84
	v_min_u32_e32 v2, 32, v2
	s_delay_alu instid0(VALU_DEP_1) | instskip(NEXT) | instid1(VALU_DEP_1)
	v_subrev_nc_u32_e32 v3, 28, v2
	v_lshlrev_b64_e32 v[84:85], v3, v[84:85]
	s_delay_alu instid0(VALU_DEP_1)
	v_dual_sub_nc_u32 v2, 29, v2 :: v_dual_bitop2_b32 v84, 7, v84 bitop3:0x40
; %bb.9187:                             ;   in Loop: Header=BB4_7930 Depth=2
	s_or_b32 exec_lo, exec_lo, s29
	s_delay_alu instid0(VALU_DEP_1) | instskip(NEXT) | instid1(VALU_DEP_2)
	v_dual_lshlrev_b32 v3, 16, v14 :: v_dual_lshlrev_b32 v14, 20, v84
	v_lshl_add_u32 v2, v2, 23, 0x3c000000
	s_delay_alu instid0(VALU_DEP_2) | instskip(NEXT) | instid1(VALU_DEP_1)
	v_and_b32_e32 v3, 0x80000000, v3
	v_or3_b32 v2, v14, v3, v2
.LBB4_9188:                             ;   in Loop: Header=BB4_7930 Depth=2
	s_or_b32 exec_lo, exec_lo, s28
.LBB4_9189:                             ;   in Loop: Header=BB4_7930 Depth=2
	s_delay_alu instid0(SALU_CYCLE_1)
	s_or_b32 exec_lo, exec_lo, s27
.LBB4_9190:                             ;   in Loop: Header=BB4_7930 Depth=2
	s_delay_alu instid0(SALU_CYCLE_1) | instskip(NEXT) | instid1(VALU_DEP_1)
	s_or_b32 exec_lo, exec_lo, s10
	v_mul_f32_e32 v3, s26, v2
                                        ; implicit-def: $vgpr121
	s_mov_b32 s10, exec_lo
	s_delay_alu instid0(VALU_DEP_1) | instskip(SKIP_1) | instid1(VALU_DEP_2)
	v_and_b32_e32 v14, 0x7f800000, v3
	v_lshrrev_b32_e32 v2, 24, v3
	v_cmpx_ne_u64_e32 0x7f800000, v[14:15]
	s_xor_b32 s27, exec_lo, s10
	s_cbranch_execz .LBB4_9204
; %bb.9191:                             ;   in Loop: Header=BB4_7930 Depth=2
	v_and_b32_e32 v14, 0x7fffffff, v3
	v_and_b32_e32 v2, 0x80, v2
                                        ; implicit-def: $vgpr121
	s_mov_b32 s10, exec_lo
	s_delay_alu instid0(VALU_DEP_2)
	v_cmpx_gt_u64_e32 0x43e00001, v[14:15]
	s_xor_b32 s28, exec_lo, s10
	s_cbranch_execz .LBB4_9201
; %bb.9192:                             ;   in Loop: Header=BB4_7930 Depth=2
	v_mov_b32_e32 v121, 0
	s_mov_b32 s29, exec_lo
	v_cmpx_ne_u32_e32 0, v3
	s_cbranch_execz .LBB4_9200
; %bb.9193:                             ;   in Loop: Header=BB4_7930 Depth=2
	v_bfe_u32 v98, v3, 23, 8
	v_and_b32_e32 v3, 0x7fffff, v3
	s_delay_alu instid0(VALU_DEP_2) | instskip(SKIP_1) | instid1(VALU_DEP_3)
	v_sub_nc_u32_e32 v14, 0x79, v98
	v_cmp_gt_u32_e32 vcc_lo, 0x7a, v98
	v_or_b32_e32 v20, 0x800000, v3
	s_delay_alu instid0(VALU_DEP_3) | instskip(SKIP_1) | instid1(VALU_DEP_2)
	v_cndmask_b32_e32 v14, 0, v14, vcc_lo
	v_cmp_eq_u32_e32 vcc_lo, 0, v98
	v_cndmask_b32_e64 v113, v14, 0x78, vcc_lo
	s_delay_alu instid0(VALU_DEP_1) | instskip(NEXT) | instid1(VALU_DEP_1)
	v_dual_add_nc_u32 v14, 20, v113 :: v_dual_add_nc_u32 v21, 19, v113
	v_lshlrev_b64_e64 v[84:85], v14, -1
	v_cndmask_b32_e32 v14, v20, v3, vcc_lo
	s_delay_alu instid0(VALU_DEP_3) | instskip(NEXT) | instid1(VALU_DEP_3)
	v_lshlrev_b64_e64 v[86:87], v21, 1
	v_bfi_b32 v123, v85, 0, 0
	s_delay_alu instid0(VALU_DEP_3) | instskip(SKIP_1) | instid1(VALU_DEP_2)
	v_bfi_b32 v122, v84, 0, v14
	v_lshrrev_b64 v[84:85], v113, v[14:15]
	v_cmp_eq_u64_e64 s10, v[122:123], v[86:87]
	s_delay_alu instid0(VALU_DEP_2)
	v_mov_b64_e32 v[86:87], v[84:85]
	s_and_saveexec_b32 s40, s10
; %bb.9194:                             ;   in Loop: Header=BB4_7930 Depth=2
	v_bfe_u32 v14, v84, 20, 1
	s_delay_alu instid0(VALU_DEP_1) | instskip(NEXT) | instid1(VALU_DEP_1)
	v_add_nc_u64_e32 v[86:87], v[84:85], v[14:15]
	v_add_nc_u64_e32 v[86:87], -1, v[86:87]
; %bb.9195:                             ;   in Loop: Header=BB4_7930 Depth=2
	s_or_b32 exec_lo, exec_lo, s40
	v_add_nc_u32_e32 v3, 0xffffff81, v98
	v_lshrrev_b32_e32 v14, 23, v84
	s_mov_b32 s10, exec_lo
	s_delay_alu instid0(VALU_DEP_2) | instskip(NEXT) | instid1(VALU_DEP_1)
	v_cndmask_b32_e64 v3, v3, 0xffffff82, vcc_lo
	v_add3_u32 v87, v113, v3, v14
	v_and_b32_e32 v3, 0xfffff, v86
	s_delay_alu instid0(VALU_DEP_1) | instskip(NEXT) | instid1(VALU_DEP_1)
	v_dual_add_nc_u32 v86, 6, v87 :: v_dual_add_nc_u32 v14, v3, v84
                                        ; implicit-def: $vgpr84_vgpr85
                                        ; implicit-def: $vgpr3
	v_cmpx_ne_u32_e32 0, v86
	s_xor_b32 s10, exec_lo, s10
; %bb.9196:                             ;   in Loop: Header=BB4_7930 Depth=2
	s_delay_alu instid0(VALU_DEP_2) | instskip(SKIP_2) | instid1(VALU_DEP_2)
	v_cmp_lt_u64_e32 vcc_lo, 0xffffff, v[14:15]
	v_add_nc_u32_e32 v3, 7, v87
	v_cndmask_b32_e64 v20, 0, 1, vcc_lo
	v_cndmask_b32_e32 v3, v86, v3, vcc_lo
	s_delay_alu instid0(VALU_DEP_2)
	v_lshrrev_b64 v[84:85], v20, v[14:15]
; %bb.9197:                             ;   in Loop: Header=BB4_7930 Depth=2
	s_and_not1_saveexec_b32 s10, s10
; %bb.9198:                             ;   in Loop: Header=BB4_7930 Depth=2
	v_mov_b64_e32 v[84:85], v[14:15]
	v_bfe_u32 v3, v14, 23, 1
; %bb.9199:                             ;   in Loop: Header=BB4_7930 Depth=2
	s_or_b32 exec_lo, exec_lo, s10
	s_delay_alu instid0(VALU_DEP_2) | instskip(NEXT) | instid1(VALU_DEP_2)
	v_lshrrev_b64 v[84:85], 20, v[84:85]
	v_cmp_gt_i32_e32 vcc_lo, 16, v3
	v_min_i32_e32 v14, 15, v3
	v_cmp_eq_u32_e64 s10, 0, v3
	s_delay_alu instid0(VALU_DEP_2) | instskip(SKIP_1) | instid1(VALU_DEP_2)
	v_dual_cndmask_b32 v85, 0, v85 :: v_dual_lshlrev_b32 v14, 3, v14
	v_cndmask_b32_e32 v84, 7, v84, vcc_lo
	v_and_b32_e32 v14, 0xf8, v14
	s_delay_alu instid0(VALU_DEP_2) | instskip(NEXT) | instid1(VALU_DEP_2)
	v_cmp_eq_u64_e32 vcc_lo, 0, v[84:85]
	v_and_or_b32 v3, v84, 7, v14
	s_and_b32 s10, s10, vcc_lo
	s_delay_alu instid0(VALU_DEP_1) | instid1(SALU_CYCLE_1)
	v_cndmask_b32_e64 v3, v3, 0, s10
	s_delay_alu instid0(VALU_DEP_1)
	v_or_b32_e32 v121, v3, v2
.LBB4_9200:                             ;   in Loop: Header=BB4_7930 Depth=2
	s_or_b32 exec_lo, exec_lo, s29
                                        ; implicit-def: $vgpr2
.LBB4_9201:                             ;   in Loop: Header=BB4_7930 Depth=2
	s_and_not1_saveexec_b32 s10, s28
; %bb.9202:                             ;   in Loop: Header=BB4_7930 Depth=2
	v_or_b32_e32 v121, 0x7e, v2
; %bb.9203:                             ;   in Loop: Header=BB4_7930 Depth=2
	s_or_b32 exec_lo, exec_lo, s10
                                        ; implicit-def: $vgpr2
.LBB4_9204:                             ;   in Loop: Header=BB4_7930 Depth=2
	s_and_not1_saveexec_b32 s10, s27
; %bb.9205:                             ;   in Loop: Header=BB4_7930 Depth=2
	v_or_b32_e32 v121, 0x7f, v2
; %bb.9206:                             ;   in Loop: Header=BB4_7930 Depth=2
	s_or_b32 exec_lo, exec_lo, s10
	v_dual_mov_b32 v3, 0 :: v_dual_lshrrev_b32 v2, 16, v11
	s_mov_b32 s10, exec_lo
	s_delay_alu instid0(VALU_DEP_1) | instskip(NEXT) | instid1(VALU_DEP_1)
	v_and_b32_e32 v14, 0xff, v2
	v_cmpx_ne_u16_e32 0, v14
	s_cbranch_execz .LBB4_9214
; %bb.9207:                             ;   in Loop: Header=BB4_7930 Depth=2
	v_bfrev_b32_e32 v3, 1
	s_mov_b32 s27, exec_lo
	v_cmpx_ne_u16_e32 0x80, v14
	s_cbranch_execz .LBB4_9213
; %bb.9208:                             ;   in Loop: Header=BB4_7930 Depth=2
	v_bfe_u32 v84, v11, 16, 7
	v_mov_b32_e32 v3, 0x7f800001
	s_mov_b32 s28, exec_lo
	s_delay_alu instid0(VALU_DEP_2)
	v_cmpx_ne_u32_e32 0x7f, v84
	s_cbranch_execz .LBB4_9212
; %bb.9209:                             ;   in Loop: Header=BB4_7930 Depth=2
	v_dual_lshrrev_b32 v3, 3, v84 :: v_dual_bitop2_b32 v14, 7, v2 bitop3:0x40
	s_mov_b32 s29, exec_lo
	v_cmpx_gt_u32_e32 8, v84
; %bb.9210:                             ;   in Loop: Header=BB4_7930 Depth=2
	s_delay_alu instid0(VALU_DEP_2) | instskip(NEXT) | instid1(VALU_DEP_1)
	v_clz_i32_u32_e32 v3, v14
	v_min_u32_e32 v3, 32, v3
	s_delay_alu instid0(VALU_DEP_1) | instskip(NEXT) | instid1(VALU_DEP_1)
	v_subrev_nc_u32_e32 v20, 28, v3
	v_lshlrev_b64_e32 v[84:85], v20, v[14:15]
	s_delay_alu instid0(VALU_DEP_1)
	v_dual_sub_nc_u32 v3, 29, v3 :: v_dual_bitop2_b32 v14, 7, v84 bitop3:0x40
; %bb.9211:                             ;   in Loop: Header=BB4_7930 Depth=2
	s_or_b32 exec_lo, exec_lo, s29
	v_lshlrev_b32_e32 v2, 24, v2
	s_delay_alu instid0(VALU_DEP_2) | instskip(NEXT) | instid1(VALU_DEP_3)
	v_lshlrev_b32_e32 v14, 20, v14
	v_lshl_add_u32 v3, v3, 23, 0x3c000000
	s_delay_alu instid0(VALU_DEP_3) | instskip(NEXT) | instid1(VALU_DEP_1)
	v_and_b32_e32 v2, 0x80000000, v2
	v_or3_b32 v3, v14, v2, v3
.LBB4_9212:                             ;   in Loop: Header=BB4_7930 Depth=2
	s_or_b32 exec_lo, exec_lo, s28
.LBB4_9213:                             ;   in Loop: Header=BB4_7930 Depth=2
	s_delay_alu instid0(SALU_CYCLE_1)
	s_or_b32 exec_lo, exec_lo, s27
.LBB4_9214:                             ;   in Loop: Header=BB4_7930 Depth=2
	s_delay_alu instid0(SALU_CYCLE_1) | instskip(NEXT) | instid1(VALU_DEP_1)
	s_or_b32 exec_lo, exec_lo, s10
	v_mul_f32_e32 v3, s26, v3
                                        ; implicit-def: $vgpr86
	s_mov_b32 s10, exec_lo
	s_delay_alu instid0(VALU_DEP_1) | instskip(SKIP_1) | instid1(VALU_DEP_2)
	v_and_b32_e32 v14, 0x7f800000, v3
	v_lshrrev_b32_e32 v2, 24, v3
	v_cmpx_ne_u64_e32 0x7f800000, v[14:15]
	s_xor_b32 s27, exec_lo, s10
	s_cbranch_execz .LBB4_9228
; %bb.9215:                             ;   in Loop: Header=BB4_7930 Depth=2
	v_and_b32_e32 v14, 0x7fffffff, v3
	v_and_b32_e32 v2, 0x80, v2
                                        ; implicit-def: $vgpr86
	s_mov_b32 s10, exec_lo
	s_delay_alu instid0(VALU_DEP_2)
	v_cmpx_gt_u64_e32 0x43e00001, v[14:15]
	s_xor_b32 s28, exec_lo, s10
	s_cbranch_execz .LBB4_9225
; %bb.9216:                             ;   in Loop: Header=BB4_7930 Depth=2
	v_mov_b32_e32 v86, 0
	s_mov_b32 s29, exec_lo
	v_cmpx_ne_u32_e32 0, v3
	s_cbranch_execz .LBB4_9224
; %bb.9217:                             ;   in Loop: Header=BB4_7930 Depth=2
	v_and_b32_e32 v14, 0x7fffff, v3
	v_bfe_u32 v3, v3, 23, 8
	s_delay_alu instid0(VALU_DEP_2) | instskip(NEXT) | instid1(VALU_DEP_2)
	v_or_b32_e32 v21, 0x800000, v14
	v_cmp_gt_u32_e64 s10, 0x7a, v3
	v_sub_nc_u32_e32 v20, 0x79, v3
	v_cmp_eq_u32_e32 vcc_lo, 0, v3
	s_delay_alu instid0(VALU_DEP_2) | instskip(NEXT) | instid1(VALU_DEP_1)
	v_dual_cndmask_b32 v20, 0, v20, s10 :: v_dual_cndmask_b32 v14, v21, v14, vcc_lo
	v_cndmask_b32_e64 v113, v20, 0x78, vcc_lo
	s_delay_alu instid0(VALU_DEP_1) | instskip(NEXT) | instid1(VALU_DEP_1)
	v_add_nc_u32_e32 v20, 20, v113
	v_lshlrev_b64_e64 v[84:85], v20, -1
	v_add_nc_u32_e32 v20, 19, v113
	s_delay_alu instid0(VALU_DEP_1) | instskip(NEXT) | instid1(VALU_DEP_3)
	v_lshlrev_b64_e64 v[86:87], v20, 1
	v_bfi_b32 v85, v85, 0, 0
	s_delay_alu instid0(VALU_DEP_4) | instskip(NEXT) | instid1(VALU_DEP_1)
	v_bfi_b32 v84, v84, 0, v14
	v_cmp_eq_u64_e64 s10, v[84:85], v[86:87]
	v_lshrrev_b64 v[84:85], v113, v[14:15]
	s_delay_alu instid0(VALU_DEP_1)
	v_mov_b64_e32 v[86:87], v[84:85]
	s_and_saveexec_b32 s40, s10
; %bb.9218:                             ;   in Loop: Header=BB4_7930 Depth=2
	v_bfe_u32 v14, v84, 20, 1
	s_delay_alu instid0(VALU_DEP_1) | instskip(NEXT) | instid1(VALU_DEP_1)
	v_add_nc_u64_e32 v[86:87], v[84:85], v[14:15]
	v_add_nc_u64_e32 v[86:87], -1, v[86:87]
; %bb.9219:                             ;   in Loop: Header=BB4_7930 Depth=2
	s_or_b32 exec_lo, exec_lo, s40
	v_add_nc_u32_e32 v3, 0xffffff81, v3
	v_lshrrev_b32_e32 v14, 23, v84
	s_mov_b32 s10, exec_lo
	s_delay_alu instid0(VALU_DEP_2) | instskip(NEXT) | instid1(VALU_DEP_1)
	v_cndmask_b32_e64 v3, v3, 0xffffff82, vcc_lo
	v_add3_u32 v87, v113, v3, v14
	v_and_b32_e32 v3, 0xfffff, v86
	s_delay_alu instid0(VALU_DEP_1) | instskip(NEXT) | instid1(VALU_DEP_1)
	v_dual_add_nc_u32 v86, 6, v87 :: v_dual_add_nc_u32 v14, v3, v84
                                        ; implicit-def: $vgpr84_vgpr85
                                        ; implicit-def: $vgpr3
	v_cmpx_ne_u32_e32 0, v86
	s_xor_b32 s10, exec_lo, s10
; %bb.9220:                             ;   in Loop: Header=BB4_7930 Depth=2
	s_delay_alu instid0(VALU_DEP_2) | instskip(SKIP_2) | instid1(VALU_DEP_2)
	v_cmp_lt_u64_e32 vcc_lo, 0xffffff, v[14:15]
	v_add_nc_u32_e32 v3, 7, v87
	v_cndmask_b32_e64 v20, 0, 1, vcc_lo
	v_cndmask_b32_e32 v3, v86, v3, vcc_lo
	s_delay_alu instid0(VALU_DEP_2)
	v_lshrrev_b64 v[84:85], v20, v[14:15]
; %bb.9221:                             ;   in Loop: Header=BB4_7930 Depth=2
	s_and_not1_saveexec_b32 s10, s10
; %bb.9222:                             ;   in Loop: Header=BB4_7930 Depth=2
	v_mov_b64_e32 v[84:85], v[14:15]
	v_bfe_u32 v3, v14, 23, 1
; %bb.9223:                             ;   in Loop: Header=BB4_7930 Depth=2
	s_or_b32 exec_lo, exec_lo, s10
	s_delay_alu instid0(VALU_DEP_2) | instskip(NEXT) | instid1(VALU_DEP_2)
	v_lshrrev_b64 v[84:85], 20, v[84:85]
	v_cmp_gt_i32_e32 vcc_lo, 16, v3
	v_min_i32_e32 v14, 15, v3
	v_cmp_eq_u32_e64 s10, 0, v3
	s_delay_alu instid0(VALU_DEP_2) | instskip(SKIP_1) | instid1(VALU_DEP_2)
	v_dual_cndmask_b32 v85, 0, v85 :: v_dual_lshlrev_b32 v14, 3, v14
	v_cndmask_b32_e32 v84, 7, v84, vcc_lo
	v_and_b32_e32 v14, 0xf8, v14
	s_delay_alu instid0(VALU_DEP_2) | instskip(NEXT) | instid1(VALU_DEP_2)
	v_cmp_eq_u64_e32 vcc_lo, 0, v[84:85]
	v_and_or_b32 v3, v84, 7, v14
	s_and_b32 s10, s10, vcc_lo
	s_delay_alu instid0(VALU_DEP_1) | instid1(SALU_CYCLE_1)
	v_cndmask_b32_e64 v3, v3, 0, s10
	s_delay_alu instid0(VALU_DEP_1)
	v_or_b32_e32 v86, v3, v2
.LBB4_9224:                             ;   in Loop: Header=BB4_7930 Depth=2
	s_or_b32 exec_lo, exec_lo, s29
                                        ; implicit-def: $vgpr2
.LBB4_9225:                             ;   in Loop: Header=BB4_7930 Depth=2
	s_and_not1_saveexec_b32 s10, s28
; %bb.9226:                             ;   in Loop: Header=BB4_7930 Depth=2
	v_or_b32_e32 v86, 0x7e, v2
; %bb.9227:                             ;   in Loop: Header=BB4_7930 Depth=2
	s_or_b32 exec_lo, exec_lo, s10
                                        ; implicit-def: $vgpr2
.LBB4_9228:                             ;   in Loop: Header=BB4_7930 Depth=2
	s_and_not1_saveexec_b32 s10, s27
; %bb.9229:                             ;   in Loop: Header=BB4_7930 Depth=2
	v_or_b32_e32 v86, 0x7f, v2
; %bb.9230:                             ;   in Loop: Header=BB4_7930 Depth=2
	s_or_b32 exec_lo, exec_lo, s10
	v_mov_b32_e32 v3, 0
	s_mov_b32 s10, exec_lo
	v_cmpx_lt_u64_e64 s[12:13], v[10:11]
	s_cbranch_execz .LBB4_9238
; %bb.9231:                             ;   in Loop: Header=BB4_7930 Depth=2
	v_lshrrev_b32_e32 v2, 24, v11
	v_bfrev_b32_e32 v3, 1
	s_mov_b32 s27, exec_lo
	s_delay_alu instid0(VALU_DEP_2)
	v_cmpx_ne_u32_e32 0x80, v2
	s_cbranch_execz .LBB4_9237
; %bb.9232:                             ;   in Loop: Header=BB4_7930 Depth=2
	v_bfe_u32 v10, v11, 24, 7
	v_mov_b32_e32 v3, 0x7f800001
	s_mov_b32 s28, exec_lo
	s_delay_alu instid0(VALU_DEP_2)
	v_cmpx_ne_u32_e32 0x7f, v10
	s_cbranch_execz .LBB4_9236
; %bb.9233:                             ;   in Loop: Header=BB4_7930 Depth=2
	v_and_b32_e32 v14, 7, v2
	v_lshrrev_b32_e32 v3, 3, v10
	s_mov_b32 s29, exec_lo
	v_cmpx_gt_u32_e32 8, v10
; %bb.9234:                             ;   in Loop: Header=BB4_7930 Depth=2
	s_delay_alu instid0(VALU_DEP_3) | instskip(NEXT) | instid1(VALU_DEP_1)
	v_clz_i32_u32_e32 v3, v14
	v_min_u32_e32 v3, 32, v3
	s_delay_alu instid0(VALU_DEP_1) | instskip(NEXT) | instid1(VALU_DEP_1)
	v_subrev_nc_u32_e32 v10, 28, v3
	v_lshlrev_b64_e32 v[10:11], v10, v[14:15]
	s_delay_alu instid0(VALU_DEP_1)
	v_dual_sub_nc_u32 v3, 29, v3 :: v_dual_bitop2_b32 v14, 7, v10 bitop3:0x40
; %bb.9235:                             ;   in Loop: Header=BB4_7930 Depth=2
	s_or_b32 exec_lo, exec_lo, s29
	v_lshlrev_b32_e32 v2, 24, v2
	s_delay_alu instid0(VALU_DEP_2) | instskip(NEXT) | instid1(VALU_DEP_3)
	v_lshlrev_b32_e32 v10, 20, v14
	v_lshl_add_u32 v3, v3, 23, 0x3c000000
	s_delay_alu instid0(VALU_DEP_3) | instskip(NEXT) | instid1(VALU_DEP_1)
	v_and_b32_e32 v2, 0x80000000, v2
	v_or3_b32 v3, v10, v2, v3
.LBB4_9236:                             ;   in Loop: Header=BB4_7930 Depth=2
	s_or_b32 exec_lo, exec_lo, s28
.LBB4_9237:                             ;   in Loop: Header=BB4_7930 Depth=2
	s_delay_alu instid0(SALU_CYCLE_1)
	s_or_b32 exec_lo, exec_lo, s27
.LBB4_9238:                             ;   in Loop: Header=BB4_7930 Depth=2
	s_delay_alu instid0(SALU_CYCLE_1) | instskip(NEXT) | instid1(VALU_DEP_1)
	s_or_b32 exec_lo, exec_lo, s10
	v_mul_f32_e32 v3, s26, v3
                                        ; implicit-def: $vgpr87
	s_mov_b32 s10, exec_lo
	s_delay_alu instid0(VALU_DEP_1) | instskip(SKIP_1) | instid1(VALU_DEP_2)
	v_and_b32_e32 v14, 0x7f800000, v3
	v_lshrrev_b32_e32 v2, 24, v3
	v_cmpx_ne_u64_e32 0x7f800000, v[14:15]
	s_xor_b32 s27, exec_lo, s10
	s_cbranch_execz .LBB4_9252
; %bb.9239:                             ;   in Loop: Header=BB4_7930 Depth=2
	v_and_b32_e32 v14, 0x7fffffff, v3
	v_and_b32_e32 v2, 0x80, v2
                                        ; implicit-def: $vgpr87
	s_mov_b32 s10, exec_lo
	s_delay_alu instid0(VALU_DEP_2)
	v_cmpx_gt_u64_e32 0x43e00001, v[14:15]
	s_xor_b32 s28, exec_lo, s10
	s_cbranch_execz .LBB4_9249
; %bb.9240:                             ;   in Loop: Header=BB4_7930 Depth=2
	v_mov_b32_e32 v87, 0
	s_mov_b32 s29, exec_lo
	v_cmpx_ne_u32_e32 0, v3
	s_cbranch_execz .LBB4_9248
; %bb.9241:                             ;   in Loop: Header=BB4_7930 Depth=2
	v_bfe_u32 v87, v3, 23, 8
	v_and_b32_e32 v3, 0x7fffff, v3
	s_delay_alu instid0(VALU_DEP_2) | instskip(SKIP_1) | instid1(VALU_DEP_3)
	v_sub_nc_u32_e32 v10, 0x79, v87
	v_cmp_gt_u32_e32 vcc_lo, 0x7a, v87
	v_or_b32_e32 v14, 0x800000, v3
	s_delay_alu instid0(VALU_DEP_3) | instskip(SKIP_1) | instid1(VALU_DEP_3)
	v_cndmask_b32_e32 v10, 0, v10, vcc_lo
	v_cmp_eq_u32_e32 vcc_lo, 0, v87
	v_cndmask_b32_e32 v14, v14, v3, vcc_lo
	s_delay_alu instid0(VALU_DEP_3) | instskip(NEXT) | instid1(VALU_DEP_1)
	v_cndmask_b32_e64 v98, v10, 0x78, vcc_lo
	v_dual_add_nc_u32 v10, 20, v98 :: v_dual_add_nc_u32 v20, 19, v98
	s_delay_alu instid0(VALU_DEP_1) | instskip(NEXT) | instid1(VALU_DEP_2)
	v_lshlrev_b64_e64 v[10:11], v10, -1
	v_lshlrev_b64_e64 v[84:85], v20, 1
	s_delay_alu instid0(VALU_DEP_2) | instskip(NEXT) | instid1(VALU_DEP_3)
	v_bfi_b32 v123, v11, 0, 0
	v_bfi_b32 v122, v10, 0, v14
	v_lshrrev_b64 v[10:11], v98, v[14:15]
	s_delay_alu instid0(VALU_DEP_2) | instskip(NEXT) | instid1(VALU_DEP_2)
	v_cmp_eq_u64_e64 s10, v[122:123], v[84:85]
	v_mov_b64_e32 v[84:85], v[10:11]
	s_and_saveexec_b32 s40, s10
; %bb.9242:                             ;   in Loop: Header=BB4_7930 Depth=2
	v_bfe_u32 v14, v10, 20, 1
	s_delay_alu instid0(VALU_DEP_1) | instskip(NEXT) | instid1(VALU_DEP_1)
	v_add_nc_u64_e32 v[84:85], v[10:11], v[14:15]
	v_add_nc_u64_e32 v[84:85], -1, v[84:85]
; %bb.9243:                             ;   in Loop: Header=BB4_7930 Depth=2
	s_or_b32 exec_lo, exec_lo, s40
	v_add_nc_u32_e32 v3, 0xffffff81, v87
	v_lshrrev_b32_e32 v11, 23, v10
	s_mov_b32 s10, exec_lo
	s_delay_alu instid0(VALU_DEP_2) | instskip(NEXT) | instid1(VALU_DEP_1)
	v_cndmask_b32_e64 v3, v3, 0xffffff82, vcc_lo
	v_add3_u32 v85, v98, v3, v11
	v_and_b32_e32 v3, 0xfffff, v84
	s_delay_alu instid0(VALU_DEP_1) | instskip(NEXT) | instid1(VALU_DEP_1)
	v_dual_add_nc_u32 v84, 6, v85 :: v_dual_add_nc_u32 v14, v3, v10
                                        ; implicit-def: $vgpr10_vgpr11
                                        ; implicit-def: $vgpr3
	v_cmpx_ne_u32_e32 0, v84
	s_xor_b32 s10, exec_lo, s10
; %bb.9244:                             ;   in Loop: Header=BB4_7930 Depth=2
	s_delay_alu instid0(VALU_DEP_2) | instskip(SKIP_2) | instid1(VALU_DEP_2)
	v_cmp_lt_u64_e32 vcc_lo, 0xffffff, v[14:15]
	v_add_nc_u32_e32 v3, 7, v85
	v_cndmask_b32_e64 v10, 0, 1, vcc_lo
	v_cndmask_b32_e32 v3, v84, v3, vcc_lo
	s_delay_alu instid0(VALU_DEP_2)
	v_lshrrev_b64 v[10:11], v10, v[14:15]
; %bb.9245:                             ;   in Loop: Header=BB4_7930 Depth=2
	s_and_not1_saveexec_b32 s10, s10
; %bb.9246:                             ;   in Loop: Header=BB4_7930 Depth=2
	v_mov_b64_e32 v[10:11], v[14:15]
	v_bfe_u32 v3, v14, 23, 1
; %bb.9247:                             ;   in Loop: Header=BB4_7930 Depth=2
	s_or_b32 exec_lo, exec_lo, s10
	s_delay_alu instid0(VALU_DEP_2) | instskip(NEXT) | instid1(VALU_DEP_2)
	v_lshrrev_b64 v[10:11], 20, v[10:11]
	v_cmp_gt_i32_e32 vcc_lo, 16, v3
	v_min_i32_e32 v14, 15, v3
	v_cmp_eq_u32_e64 s10, 0, v3
	s_delay_alu instid0(VALU_DEP_4) | instskip(NEXT) | instid1(VALU_DEP_3)
	v_cndmask_b32_e32 v10, 7, v10, vcc_lo
	v_dual_cndmask_b32 v11, 0, v11 :: v_dual_lshlrev_b32 v14, 3, v14
	s_delay_alu instid0(VALU_DEP_1) | instskip(NEXT) | instid1(VALU_DEP_2)
	v_and_b32_e32 v14, 0xf8, v14
	v_cmp_eq_u64_e32 vcc_lo, 0, v[10:11]
	s_delay_alu instid0(VALU_DEP_2)
	v_and_or_b32 v3, v10, 7, v14
	s_and_b32 s10, s10, vcc_lo
	s_delay_alu instid0(VALU_DEP_1) | instid1(SALU_CYCLE_1)
	v_cndmask_b32_e64 v3, v3, 0, s10
	s_delay_alu instid0(VALU_DEP_1)
	v_or_b32_e32 v87, v3, v2
.LBB4_9248:                             ;   in Loop: Header=BB4_7930 Depth=2
	s_or_b32 exec_lo, exec_lo, s29
                                        ; implicit-def: $vgpr2
.LBB4_9249:                             ;   in Loop: Header=BB4_7930 Depth=2
	s_and_not1_saveexec_b32 s10, s28
; %bb.9250:                             ;   in Loop: Header=BB4_7930 Depth=2
	v_or_b32_e32 v87, 0x7e, v2
; %bb.9251:                             ;   in Loop: Header=BB4_7930 Depth=2
	s_or_b32 exec_lo, exec_lo, s10
                                        ; implicit-def: $vgpr2
.LBB4_9252:                             ;   in Loop: Header=BB4_7930 Depth=2
	s_and_not1_saveexec_b32 s10, s27
; %bb.9253:                             ;   in Loop: Header=BB4_7930 Depth=2
	v_or_b32_e32 v87, 0x7f, v2
; %bb.9254:                             ;   in Loop: Header=BB4_7930 Depth=2
	s_or_b32 exec_lo, exec_lo, s10
	v_and_b32_e32 v3, 0xff, v12
	v_mov_b32_e32 v2, 0
	s_mov_b32 s10, exec_lo
	s_delay_alu instid0(VALU_DEP_2)
	v_cmpx_ne_u16_e32 0, v3
	s_cbranch_execz .LBB4_9260
; %bb.9255:                             ;   in Loop: Header=BB4_7930 Depth=2
	v_bfrev_b32_e32 v2, 1
	s_mov_b32 s27, exec_lo
	v_cmpx_ne_u16_e32 0x80, v3
	s_cbranch_execz .LBB4_9259
; %bb.9256:                             ;   in Loop: Header=BB4_7930 Depth=2
	v_and_b32_e32 v3, 0x7f, v12
	v_mov_b32_e32 v2, 0x7f800001
	s_mov_b32 s28, exec_lo
	s_delay_alu instid0(VALU_DEP_2)
	v_cmpx_ne_u32_e32 0x7f, v3
	s_cbranch_execz .LBB4_9258
; %bb.9257:                             ;   in Loop: Header=BB4_7930 Depth=2
	v_dual_lshrrev_b32 v10, 3, v3 :: v_dual_bitop2_b32 v2, 7, v12 bitop3:0x40
	v_cmp_gt_u32_e32 vcc_lo, 8, v3
	s_delay_alu instid0(VALU_DEP_2) | instskip(NEXT) | instid1(VALU_DEP_1)
	v_clz_i32_u32_e32 v2, v2
	v_min_u32_e32 v2, 32, v2
	s_delay_alu instid0(VALU_DEP_1) | instskip(SKIP_1) | instid1(VALU_DEP_1)
	v_subrev_nc_u32_e32 v11, 28, v2
	v_sub_nc_u32_e32 v2, 29, v2
	v_dual_cndmask_b32 v10, v10, v2, vcc_lo :: v_dual_cndmask_b32 v2, 0, v11, vcc_lo
	s_delay_alu instid0(VALU_DEP_1) | instskip(NEXT) | instid1(VALU_DEP_2)
	v_lshl_add_u32 v10, v10, 23, 0x3c000000
	v_lshlrev_b64_e32 v[2:3], v2, v[12:13]
	v_lshlrev_b32_e32 v3, 24, v12
	s_delay_alu instid0(VALU_DEP_1) | instskip(NEXT) | instid1(VALU_DEP_3)
	v_and_b32_e32 v3, 0x80000000, v3
	v_lshlrev_b32_e32 v2, 20, v2
	s_delay_alu instid0(VALU_DEP_1) | instskip(NEXT) | instid1(VALU_DEP_1)
	v_and_b32_e32 v2, 0x700000, v2
	v_or3_b32 v2, v2, v3, v10
.LBB4_9258:                             ;   in Loop: Header=BB4_7930 Depth=2
	s_or_b32 exec_lo, exec_lo, s28
.LBB4_9259:                             ;   in Loop: Header=BB4_7930 Depth=2
	s_delay_alu instid0(SALU_CYCLE_1)
	s_or_b32 exec_lo, exec_lo, s27
.LBB4_9260:                             ;   in Loop: Header=BB4_7930 Depth=2
	s_delay_alu instid0(SALU_CYCLE_1) | instskip(NEXT) | instid1(VALU_DEP_1)
	s_or_b32 exec_lo, exec_lo, s10
	v_mul_f32_e32 v3, s26, v2
                                        ; implicit-def: $vgpr122
	s_mov_b32 s10, exec_lo
	s_delay_alu instid0(VALU_DEP_1) | instskip(SKIP_1) | instid1(VALU_DEP_2)
	v_and_b32_e32 v14, 0x7f800000, v3
	v_lshrrev_b32_e32 v2, 24, v3
	v_cmpx_ne_u64_e32 0x7f800000, v[14:15]
	s_xor_b32 s27, exec_lo, s10
	s_cbranch_execz .LBB4_9274
; %bb.9261:                             ;   in Loop: Header=BB4_7930 Depth=2
	v_and_b32_e32 v14, 0x7fffffff, v3
	v_and_b32_e32 v2, 0x80, v2
                                        ; implicit-def: $vgpr122
	s_mov_b32 s10, exec_lo
	s_delay_alu instid0(VALU_DEP_2)
	v_cmpx_gt_u64_e32 0x43e00001, v[14:15]
	s_xor_b32 s28, exec_lo, s10
	s_cbranch_execz .LBB4_9271
; %bb.9262:                             ;   in Loop: Header=BB4_7930 Depth=2
	v_mov_b32_e32 v122, 0
	s_mov_b32 s29, exec_lo
	v_cmpx_ne_u32_e32 0, v3
	s_cbranch_execz .LBB4_9270
; %bb.9263:                             ;   in Loop: Header=BB4_7930 Depth=2
	v_and_b32_e32 v10, 0x7fffff, v3
	v_bfe_u32 v3, v3, 23, 8
	s_delay_alu instid0(VALU_DEP_2) | instskip(NEXT) | instid1(VALU_DEP_2)
	v_or_b32_e32 v14, 0x800000, v10
	v_cmp_eq_u32_e32 vcc_lo, 0, v3
	v_cmp_gt_u32_e64 s10, 0x7a, v3
	s_delay_alu instid0(VALU_DEP_3) | instskip(NEXT) | instid1(VALU_DEP_1)
	v_dual_cndmask_b32 v14, v14, v10 :: v_dual_sub_nc_u32 v11, 0x79, v3
	v_cndmask_b32_e64 v11, 0, v11, s10
	s_delay_alu instid0(VALU_DEP_1) | instskip(NEXT) | instid1(VALU_DEP_1)
	v_cndmask_b32_e64 v113, v11, 0x78, vcc_lo
	v_dual_add_nc_u32 v10, 20, v113 :: v_dual_add_nc_u32 v20, 19, v113
	s_delay_alu instid0(VALU_DEP_1) | instskip(NEXT) | instid1(VALU_DEP_2)
	v_lshlrev_b64_e64 v[10:11], v10, -1
	v_lshlrev_b64_e64 v[84:85], v20, 1
	s_delay_alu instid0(VALU_DEP_2) | instskip(NEXT) | instid1(VALU_DEP_3)
	v_bfi_b32 v11, v11, 0, 0
	v_bfi_b32 v10, v10, 0, v14
	s_delay_alu instid0(VALU_DEP_1) | instskip(SKIP_1) | instid1(VALU_DEP_1)
	v_cmp_eq_u64_e64 s10, v[10:11], v[84:85]
	v_lshrrev_b64 v[10:11], v113, v[14:15]
	v_mov_b64_e32 v[84:85], v[10:11]
	s_and_saveexec_b32 s40, s10
; %bb.9264:                             ;   in Loop: Header=BB4_7930 Depth=2
	v_bfe_u32 v14, v10, 20, 1
	s_delay_alu instid0(VALU_DEP_1) | instskip(NEXT) | instid1(VALU_DEP_1)
	v_add_nc_u64_e32 v[84:85], v[10:11], v[14:15]
	v_add_nc_u64_e32 v[84:85], -1, v[84:85]
; %bb.9265:                             ;   in Loop: Header=BB4_7930 Depth=2
	s_or_b32 exec_lo, exec_lo, s40
	v_add_nc_u32_e32 v3, 0xffffff81, v3
	v_lshrrev_b32_e32 v11, 23, v10
	s_mov_b32 s10, exec_lo
	s_delay_alu instid0(VALU_DEP_2) | instskip(NEXT) | instid1(VALU_DEP_1)
	v_cndmask_b32_e64 v3, v3, 0xffffff82, vcc_lo
	v_add3_u32 v85, v113, v3, v11
	v_and_b32_e32 v3, 0xfffff, v84
	s_delay_alu instid0(VALU_DEP_1) | instskip(NEXT) | instid1(VALU_DEP_1)
	v_dual_add_nc_u32 v84, 6, v85 :: v_dual_add_nc_u32 v14, v3, v10
                                        ; implicit-def: $vgpr10_vgpr11
                                        ; implicit-def: $vgpr3
	v_cmpx_ne_u32_e32 0, v84
	s_xor_b32 s10, exec_lo, s10
; %bb.9266:                             ;   in Loop: Header=BB4_7930 Depth=2
	s_delay_alu instid0(VALU_DEP_2) | instskip(SKIP_2) | instid1(VALU_DEP_2)
	v_cmp_lt_u64_e32 vcc_lo, 0xffffff, v[14:15]
	v_add_nc_u32_e32 v3, 7, v85
	v_cndmask_b32_e64 v10, 0, 1, vcc_lo
	v_cndmask_b32_e32 v3, v84, v3, vcc_lo
	s_delay_alu instid0(VALU_DEP_2)
	v_lshrrev_b64 v[10:11], v10, v[14:15]
; %bb.9267:                             ;   in Loop: Header=BB4_7930 Depth=2
	s_and_not1_saveexec_b32 s10, s10
; %bb.9268:                             ;   in Loop: Header=BB4_7930 Depth=2
	v_mov_b64_e32 v[10:11], v[14:15]
	v_bfe_u32 v3, v14, 23, 1
; %bb.9269:                             ;   in Loop: Header=BB4_7930 Depth=2
	s_or_b32 exec_lo, exec_lo, s10
	s_delay_alu instid0(VALU_DEP_2) | instskip(NEXT) | instid1(VALU_DEP_2)
	v_lshrrev_b64 v[10:11], 20, v[10:11]
	v_cmp_gt_i32_e32 vcc_lo, 16, v3
	v_min_i32_e32 v14, 15, v3
	v_cmp_eq_u32_e64 s10, 0, v3
	s_delay_alu instid0(VALU_DEP_4) | instskip(NEXT) | instid1(VALU_DEP_3)
	v_cndmask_b32_e32 v10, 7, v10, vcc_lo
	v_dual_cndmask_b32 v11, 0, v11 :: v_dual_lshlrev_b32 v14, 3, v14
	s_delay_alu instid0(VALU_DEP_1) | instskip(NEXT) | instid1(VALU_DEP_2)
	v_and_b32_e32 v14, 0xf8, v14
	v_cmp_eq_u64_e32 vcc_lo, 0, v[10:11]
	s_delay_alu instid0(VALU_DEP_2)
	v_and_or_b32 v3, v10, 7, v14
	s_and_b32 s10, s10, vcc_lo
	s_delay_alu instid0(VALU_DEP_1) | instid1(SALU_CYCLE_1)
	v_cndmask_b32_e64 v3, v3, 0, s10
	s_delay_alu instid0(VALU_DEP_1)
	v_or_b32_e32 v122, v3, v2
.LBB4_9270:                             ;   in Loop: Header=BB4_7930 Depth=2
	s_or_b32 exec_lo, exec_lo, s29
                                        ; implicit-def: $vgpr2
.LBB4_9271:                             ;   in Loop: Header=BB4_7930 Depth=2
	s_and_not1_saveexec_b32 s10, s28
; %bb.9272:                             ;   in Loop: Header=BB4_7930 Depth=2
	v_or_b32_e32 v122, 0x7e, v2
; %bb.9273:                             ;   in Loop: Header=BB4_7930 Depth=2
	s_or_b32 exec_lo, exec_lo, s10
                                        ; implicit-def: $vgpr2
.LBB4_9274:                             ;   in Loop: Header=BB4_7930 Depth=2
	s_and_not1_saveexec_b32 s10, s27
; %bb.9275:                             ;   in Loop: Header=BB4_7930 Depth=2
	v_or_b32_e32 v122, 0x7f, v2
; %bb.9276:                             ;   in Loop: Header=BB4_7930 Depth=2
	s_or_b32 exec_lo, exec_lo, s10
	v_lshrrev_b16 v3, 8, v12
	v_mov_b32_e32 v2, 0
	s_mov_b32 s10, exec_lo
	s_delay_alu instid0(VALU_DEP_2)
	v_cmpx_ne_u16_e32 0, v3
	s_cbranch_execz .LBB4_9284
; %bb.9277:                             ;   in Loop: Header=BB4_7930 Depth=2
	v_bfrev_b32_e32 v2, 1
	s_mov_b32 s27, exec_lo
	v_cmpx_ne_u16_e32 0x80, v3
	s_cbranch_execz .LBB4_9283
; %bb.9278:                             ;   in Loop: Header=BB4_7930 Depth=2
	v_and_b32_e32 v10, 0xffff, v3
	v_mov_b32_e32 v2, 0x7f800001
	s_mov_b32 s28, exec_lo
	s_delay_alu instid0(VALU_DEP_2) | instskip(NEXT) | instid1(VALU_DEP_1)
	v_and_b32_e32 v3, 0x7f, v10
	v_cmpx_ne_u32_e32 0x7f, v3
	s_cbranch_execz .LBB4_9282
; %bb.9279:                             ;   in Loop: Header=BB4_7930 Depth=2
	v_dual_lshrrev_b32 v2, 3, v3 :: v_dual_bitop2_b32 v14, 7, v10 bitop3:0x40
	s_mov_b32 s29, exec_lo
	v_cmpx_gt_u32_e32 8, v3
; %bb.9280:                             ;   in Loop: Header=BB4_7930 Depth=2
	s_delay_alu instid0(VALU_DEP_2) | instskip(NEXT) | instid1(VALU_DEP_1)
	v_clz_i32_u32_e32 v2, v14
	v_min_u32_e32 v2, 32, v2
	s_delay_alu instid0(VALU_DEP_1) | instskip(SKIP_1) | instid1(VALU_DEP_2)
	v_subrev_nc_u32_e32 v3, 28, v2
	v_sub_nc_u32_e32 v2, 29, v2
	v_lshlrev_b64_e32 v[10:11], v3, v[14:15]
	s_delay_alu instid0(VALU_DEP_1)
	v_and_b32_e32 v14, 7, v10
; %bb.9281:                             ;   in Loop: Header=BB4_7930 Depth=2
	s_or_b32 exec_lo, exec_lo, s29
	s_delay_alu instid0(VALU_DEP_1) | instskip(SKIP_1) | instid1(VALU_DEP_2)
	v_dual_lshlrev_b32 v3, 16, v12 :: v_dual_lshlrev_b32 v10, 20, v14
	v_lshl_add_u32 v2, v2, 23, 0x3c000000
	v_and_b32_e32 v3, 0x80000000, v3
	s_delay_alu instid0(VALU_DEP_1)
	v_or3_b32 v2, v10, v3, v2
.LBB4_9282:                             ;   in Loop: Header=BB4_7930 Depth=2
	s_or_b32 exec_lo, exec_lo, s28
.LBB4_9283:                             ;   in Loop: Header=BB4_7930 Depth=2
	s_delay_alu instid0(SALU_CYCLE_1)
	s_or_b32 exec_lo, exec_lo, s27
.LBB4_9284:                             ;   in Loop: Header=BB4_7930 Depth=2
	s_delay_alu instid0(SALU_CYCLE_1) | instskip(NEXT) | instid1(VALU_DEP_1)
	s_or_b32 exec_lo, exec_lo, s10
	v_mul_f32_e32 v3, s26, v2
                                        ; implicit-def: $vgpr123
	s_mov_b32 s10, exec_lo
	s_delay_alu instid0(VALU_DEP_1) | instskip(SKIP_1) | instid1(VALU_DEP_2)
	v_and_b32_e32 v14, 0x7f800000, v3
	v_lshrrev_b32_e32 v2, 24, v3
	v_cmpx_ne_u64_e32 0x7f800000, v[14:15]
	s_xor_b32 s27, exec_lo, s10
	s_cbranch_execz .LBB4_9298
; %bb.9285:                             ;   in Loop: Header=BB4_7930 Depth=2
	v_and_b32_e32 v14, 0x7fffffff, v3
	v_and_b32_e32 v2, 0x80, v2
                                        ; implicit-def: $vgpr123
	s_mov_b32 s10, exec_lo
	s_delay_alu instid0(VALU_DEP_2)
	v_cmpx_gt_u64_e32 0x43e00001, v[14:15]
	s_xor_b32 s28, exec_lo, s10
	s_cbranch_execz .LBB4_9295
; %bb.9286:                             ;   in Loop: Header=BB4_7930 Depth=2
	v_mov_b32_e32 v123, 0
	s_mov_b32 s29, exec_lo
	v_cmpx_ne_u32_e32 0, v3
	s_cbranch_execz .LBB4_9294
; %bb.9287:                             ;   in Loop: Header=BB4_7930 Depth=2
	v_and_b32_e32 v10, 0x7fffff, v3
	v_bfe_u32 v3, v3, 23, 8
	s_delay_alu instid0(VALU_DEP_2) | instskip(NEXT) | instid1(VALU_DEP_2)
	v_or_b32_e32 v14, 0x800000, v10
	v_cmp_eq_u32_e32 vcc_lo, 0, v3
	v_cmp_gt_u32_e64 s10, 0x7a, v3
	s_delay_alu instid0(VALU_DEP_3) | instskip(NEXT) | instid1(VALU_DEP_1)
	v_dual_cndmask_b32 v14, v14, v10 :: v_dual_sub_nc_u32 v11, 0x79, v3
	v_cndmask_b32_e64 v11, 0, v11, s10
	s_delay_alu instid0(VALU_DEP_1) | instskip(NEXT) | instid1(VALU_DEP_1)
	v_cndmask_b32_e64 v113, v11, 0x78, vcc_lo
	v_dual_add_nc_u32 v10, 20, v113 :: v_dual_add_nc_u32 v20, 19, v113
	s_delay_alu instid0(VALU_DEP_1) | instskip(NEXT) | instid1(VALU_DEP_2)
	v_lshlrev_b64_e64 v[10:11], v10, -1
	v_lshlrev_b64_e64 v[84:85], v20, 1
	s_delay_alu instid0(VALU_DEP_2) | instskip(NEXT) | instid1(VALU_DEP_3)
	v_bfi_b32 v11, v11, 0, 0
	v_bfi_b32 v10, v10, 0, v14
	s_delay_alu instid0(VALU_DEP_1) | instskip(SKIP_1) | instid1(VALU_DEP_1)
	v_cmp_eq_u64_e64 s10, v[10:11], v[84:85]
	v_lshrrev_b64 v[10:11], v113, v[14:15]
	v_mov_b64_e32 v[84:85], v[10:11]
	s_and_saveexec_b32 s40, s10
; %bb.9288:                             ;   in Loop: Header=BB4_7930 Depth=2
	v_bfe_u32 v14, v10, 20, 1
	s_delay_alu instid0(VALU_DEP_1) | instskip(NEXT) | instid1(VALU_DEP_1)
	v_add_nc_u64_e32 v[84:85], v[10:11], v[14:15]
	v_add_nc_u64_e32 v[84:85], -1, v[84:85]
; %bb.9289:                             ;   in Loop: Header=BB4_7930 Depth=2
	s_or_b32 exec_lo, exec_lo, s40
	v_add_nc_u32_e32 v3, 0xffffff81, v3
	v_lshrrev_b32_e32 v11, 23, v10
	s_mov_b32 s10, exec_lo
	s_delay_alu instid0(VALU_DEP_2) | instskip(NEXT) | instid1(VALU_DEP_1)
	v_cndmask_b32_e64 v3, v3, 0xffffff82, vcc_lo
	v_add3_u32 v85, v113, v3, v11
	v_and_b32_e32 v3, 0xfffff, v84
	s_delay_alu instid0(VALU_DEP_1) | instskip(NEXT) | instid1(VALU_DEP_1)
	v_dual_add_nc_u32 v84, 6, v85 :: v_dual_add_nc_u32 v14, v3, v10
                                        ; implicit-def: $vgpr10_vgpr11
                                        ; implicit-def: $vgpr3
	v_cmpx_ne_u32_e32 0, v84
	s_xor_b32 s10, exec_lo, s10
; %bb.9290:                             ;   in Loop: Header=BB4_7930 Depth=2
	s_delay_alu instid0(VALU_DEP_2) | instskip(SKIP_2) | instid1(VALU_DEP_2)
	v_cmp_lt_u64_e32 vcc_lo, 0xffffff, v[14:15]
	v_add_nc_u32_e32 v3, 7, v85
	v_cndmask_b32_e64 v10, 0, 1, vcc_lo
	v_cndmask_b32_e32 v3, v84, v3, vcc_lo
	s_delay_alu instid0(VALU_DEP_2)
	v_lshrrev_b64 v[10:11], v10, v[14:15]
; %bb.9291:                             ;   in Loop: Header=BB4_7930 Depth=2
	s_and_not1_saveexec_b32 s10, s10
; %bb.9292:                             ;   in Loop: Header=BB4_7930 Depth=2
	v_mov_b64_e32 v[10:11], v[14:15]
	v_bfe_u32 v3, v14, 23, 1
; %bb.9293:                             ;   in Loop: Header=BB4_7930 Depth=2
	s_or_b32 exec_lo, exec_lo, s10
	s_delay_alu instid0(VALU_DEP_2) | instskip(NEXT) | instid1(VALU_DEP_2)
	v_lshrrev_b64 v[10:11], 20, v[10:11]
	v_cmp_gt_i32_e32 vcc_lo, 16, v3
	v_min_i32_e32 v14, 15, v3
	v_cmp_eq_u32_e64 s10, 0, v3
	s_delay_alu instid0(VALU_DEP_4) | instskip(NEXT) | instid1(VALU_DEP_3)
	v_cndmask_b32_e32 v10, 7, v10, vcc_lo
	v_dual_cndmask_b32 v11, 0, v11 :: v_dual_lshlrev_b32 v14, 3, v14
	s_delay_alu instid0(VALU_DEP_1) | instskip(NEXT) | instid1(VALU_DEP_2)
	v_and_b32_e32 v14, 0xf8, v14
	v_cmp_eq_u64_e32 vcc_lo, 0, v[10:11]
	s_delay_alu instid0(VALU_DEP_2)
	v_and_or_b32 v3, v10, 7, v14
	s_and_b32 s10, s10, vcc_lo
	s_delay_alu instid0(VALU_DEP_1) | instid1(SALU_CYCLE_1)
	v_cndmask_b32_e64 v3, v3, 0, s10
	s_delay_alu instid0(VALU_DEP_1)
	v_or_b32_e32 v123, v3, v2
.LBB4_9294:                             ;   in Loop: Header=BB4_7930 Depth=2
	s_or_b32 exec_lo, exec_lo, s29
                                        ; implicit-def: $vgpr2
.LBB4_9295:                             ;   in Loop: Header=BB4_7930 Depth=2
	s_and_not1_saveexec_b32 s10, s28
; %bb.9296:                             ;   in Loop: Header=BB4_7930 Depth=2
	v_or_b32_e32 v123, 0x7e, v2
; %bb.9297:                             ;   in Loop: Header=BB4_7930 Depth=2
	s_or_b32 exec_lo, exec_lo, s10
                                        ; implicit-def: $vgpr2
.LBB4_9298:                             ;   in Loop: Header=BB4_7930 Depth=2
	s_and_not1_saveexec_b32 s10, s27
; %bb.9299:                             ;   in Loop: Header=BB4_7930 Depth=2
	v_or_b32_e32 v123, 0x7f, v2
; %bb.9300:                             ;   in Loop: Header=BB4_7930 Depth=2
	s_or_b32 exec_lo, exec_lo, s10
	v_dual_mov_b32 v3, 0 :: v_dual_lshrrev_b32 v2, 16, v12
	s_mov_b32 s10, exec_lo
	s_delay_alu instid0(VALU_DEP_1) | instskip(NEXT) | instid1(VALU_DEP_1)
	v_and_b32_e32 v10, 0xff, v2
	v_cmpx_ne_u16_e32 0, v10
	s_cbranch_execz .LBB4_9308
; %bb.9301:                             ;   in Loop: Header=BB4_7930 Depth=2
	v_bfrev_b32_e32 v3, 1
	s_mov_b32 s27, exec_lo
	v_cmpx_ne_u16_e32 0x80, v10
	s_cbranch_execz .LBB4_9307
; %bb.9302:                             ;   in Loop: Header=BB4_7930 Depth=2
	v_bfe_u32 v10, v12, 16, 7
	v_mov_b32_e32 v3, 0x7f800001
	s_mov_b32 s28, exec_lo
	s_delay_alu instid0(VALU_DEP_2)
	v_cmpx_ne_u32_e32 0x7f, v10
	s_cbranch_execz .LBB4_9306
; %bb.9303:                             ;   in Loop: Header=BB4_7930 Depth=2
	v_and_b32_e32 v14, 7, v2
	v_lshrrev_b32_e32 v3, 3, v10
	s_mov_b32 s29, exec_lo
	v_cmpx_gt_u32_e32 8, v10
; %bb.9304:                             ;   in Loop: Header=BB4_7930 Depth=2
	s_delay_alu instid0(VALU_DEP_3) | instskip(NEXT) | instid1(VALU_DEP_1)
	v_clz_i32_u32_e32 v3, v14
	v_min_u32_e32 v3, 32, v3
	s_delay_alu instid0(VALU_DEP_1) | instskip(NEXT) | instid1(VALU_DEP_1)
	v_subrev_nc_u32_e32 v10, 28, v3
	v_lshlrev_b64_e32 v[10:11], v10, v[14:15]
	s_delay_alu instid0(VALU_DEP_1)
	v_dual_sub_nc_u32 v3, 29, v3 :: v_dual_bitop2_b32 v14, 7, v10 bitop3:0x40
; %bb.9305:                             ;   in Loop: Header=BB4_7930 Depth=2
	s_or_b32 exec_lo, exec_lo, s29
	v_lshlrev_b32_e32 v2, 24, v2
	s_delay_alu instid0(VALU_DEP_2) | instskip(NEXT) | instid1(VALU_DEP_3)
	v_lshlrev_b32_e32 v10, 20, v14
	v_lshl_add_u32 v3, v3, 23, 0x3c000000
	s_delay_alu instid0(VALU_DEP_3) | instskip(NEXT) | instid1(VALU_DEP_1)
	v_and_b32_e32 v2, 0x80000000, v2
	v_or3_b32 v3, v10, v2, v3
.LBB4_9306:                             ;   in Loop: Header=BB4_7930 Depth=2
	s_or_b32 exec_lo, exec_lo, s28
.LBB4_9307:                             ;   in Loop: Header=BB4_7930 Depth=2
	s_delay_alu instid0(SALU_CYCLE_1)
	s_or_b32 exec_lo, exec_lo, s27
.LBB4_9308:                             ;   in Loop: Header=BB4_7930 Depth=2
	s_delay_alu instid0(SALU_CYCLE_1) | instskip(NEXT) | instid1(VALU_DEP_1)
	s_or_b32 exec_lo, exec_lo, s10
	v_mul_f32_e32 v3, s26, v3
                                        ; implicit-def: $vgpr124
	s_mov_b32 s10, exec_lo
	s_delay_alu instid0(VALU_DEP_1) | instskip(SKIP_1) | instid1(VALU_DEP_2)
	v_and_b32_e32 v14, 0x7f800000, v3
	v_lshrrev_b32_e32 v2, 24, v3
	v_cmpx_ne_u64_e32 0x7f800000, v[14:15]
	s_xor_b32 s27, exec_lo, s10
	s_cbranch_execz .LBB4_9322
; %bb.9309:                             ;   in Loop: Header=BB4_7930 Depth=2
	v_and_b32_e32 v14, 0x7fffffff, v3
	v_and_b32_e32 v2, 0x80, v2
                                        ; implicit-def: $vgpr124
	s_mov_b32 s10, exec_lo
	s_delay_alu instid0(VALU_DEP_2)
	v_cmpx_gt_u64_e32 0x43e00001, v[14:15]
	s_xor_b32 s28, exec_lo, s10
	s_cbranch_execz .LBB4_9319
; %bb.9310:                             ;   in Loop: Header=BB4_7930 Depth=2
	v_mov_b32_e32 v124, 0
	s_mov_b32 s29, exec_lo
	v_cmpx_ne_u32_e32 0, v3
	s_cbranch_execz .LBB4_9318
; %bb.9311:                             ;   in Loop: Header=BB4_7930 Depth=2
	v_and_b32_e32 v10, 0x7fffff, v3
	v_bfe_u32 v3, v3, 23, 8
	s_delay_alu instid0(VALU_DEP_2) | instskip(NEXT) | instid1(VALU_DEP_2)
	v_or_b32_e32 v14, 0x800000, v10
	v_cmp_eq_u32_e32 vcc_lo, 0, v3
	v_cmp_gt_u32_e64 s10, 0x7a, v3
	s_delay_alu instid0(VALU_DEP_3) | instskip(NEXT) | instid1(VALU_DEP_1)
	v_dual_cndmask_b32 v14, v14, v10 :: v_dual_sub_nc_u32 v11, 0x79, v3
	v_cndmask_b32_e64 v11, 0, v11, s10
	s_delay_alu instid0(VALU_DEP_1) | instskip(NEXT) | instid1(VALU_DEP_1)
	v_cndmask_b32_e64 v113, v11, 0x78, vcc_lo
	v_dual_add_nc_u32 v10, 20, v113 :: v_dual_add_nc_u32 v20, 19, v113
	s_delay_alu instid0(VALU_DEP_1) | instskip(NEXT) | instid1(VALU_DEP_2)
	v_lshlrev_b64_e64 v[10:11], v10, -1
	v_lshlrev_b64_e64 v[84:85], v20, 1
	s_delay_alu instid0(VALU_DEP_2) | instskip(NEXT) | instid1(VALU_DEP_3)
	v_bfi_b32 v11, v11, 0, 0
	v_bfi_b32 v10, v10, 0, v14
	s_delay_alu instid0(VALU_DEP_1) | instskip(SKIP_1) | instid1(VALU_DEP_1)
	v_cmp_eq_u64_e64 s10, v[10:11], v[84:85]
	v_lshrrev_b64 v[10:11], v113, v[14:15]
	v_mov_b64_e32 v[84:85], v[10:11]
	s_and_saveexec_b32 s40, s10
; %bb.9312:                             ;   in Loop: Header=BB4_7930 Depth=2
	v_bfe_u32 v14, v10, 20, 1
	s_delay_alu instid0(VALU_DEP_1) | instskip(NEXT) | instid1(VALU_DEP_1)
	v_add_nc_u64_e32 v[84:85], v[10:11], v[14:15]
	v_add_nc_u64_e32 v[84:85], -1, v[84:85]
; %bb.9313:                             ;   in Loop: Header=BB4_7930 Depth=2
	s_or_b32 exec_lo, exec_lo, s40
	v_add_nc_u32_e32 v3, 0xffffff81, v3
	v_lshrrev_b32_e32 v11, 23, v10
	s_mov_b32 s10, exec_lo
	s_delay_alu instid0(VALU_DEP_2) | instskip(NEXT) | instid1(VALU_DEP_1)
	v_cndmask_b32_e64 v3, v3, 0xffffff82, vcc_lo
	v_add3_u32 v85, v113, v3, v11
	v_and_b32_e32 v3, 0xfffff, v84
	s_delay_alu instid0(VALU_DEP_1) | instskip(NEXT) | instid1(VALU_DEP_1)
	v_dual_add_nc_u32 v84, 6, v85 :: v_dual_add_nc_u32 v14, v3, v10
                                        ; implicit-def: $vgpr10_vgpr11
                                        ; implicit-def: $vgpr3
	v_cmpx_ne_u32_e32 0, v84
	s_xor_b32 s10, exec_lo, s10
; %bb.9314:                             ;   in Loop: Header=BB4_7930 Depth=2
	s_delay_alu instid0(VALU_DEP_2) | instskip(SKIP_2) | instid1(VALU_DEP_2)
	v_cmp_lt_u64_e32 vcc_lo, 0xffffff, v[14:15]
	v_add_nc_u32_e32 v3, 7, v85
	v_cndmask_b32_e64 v10, 0, 1, vcc_lo
	v_cndmask_b32_e32 v3, v84, v3, vcc_lo
	s_delay_alu instid0(VALU_DEP_2)
	v_lshrrev_b64 v[10:11], v10, v[14:15]
; %bb.9315:                             ;   in Loop: Header=BB4_7930 Depth=2
	s_and_not1_saveexec_b32 s10, s10
; %bb.9316:                             ;   in Loop: Header=BB4_7930 Depth=2
	v_mov_b64_e32 v[10:11], v[14:15]
	v_bfe_u32 v3, v14, 23, 1
; %bb.9317:                             ;   in Loop: Header=BB4_7930 Depth=2
	s_or_b32 exec_lo, exec_lo, s10
	s_delay_alu instid0(VALU_DEP_2) | instskip(NEXT) | instid1(VALU_DEP_2)
	v_lshrrev_b64 v[10:11], 20, v[10:11]
	v_cmp_gt_i32_e32 vcc_lo, 16, v3
	v_min_i32_e32 v14, 15, v3
	v_cmp_eq_u32_e64 s10, 0, v3
	s_delay_alu instid0(VALU_DEP_4) | instskip(NEXT) | instid1(VALU_DEP_3)
	v_cndmask_b32_e32 v10, 7, v10, vcc_lo
	v_dual_cndmask_b32 v11, 0, v11 :: v_dual_lshlrev_b32 v14, 3, v14
	s_delay_alu instid0(VALU_DEP_1) | instskip(NEXT) | instid1(VALU_DEP_2)
	v_and_b32_e32 v14, 0xf8, v14
	v_cmp_eq_u64_e32 vcc_lo, 0, v[10:11]
	s_delay_alu instid0(VALU_DEP_2)
	v_and_or_b32 v3, v10, 7, v14
	s_and_b32 s10, s10, vcc_lo
	s_delay_alu instid0(VALU_DEP_1) | instid1(SALU_CYCLE_1)
	v_cndmask_b32_e64 v3, v3, 0, s10
	s_delay_alu instid0(VALU_DEP_1)
	v_or_b32_e32 v124, v3, v2
.LBB4_9318:                             ;   in Loop: Header=BB4_7930 Depth=2
	s_or_b32 exec_lo, exec_lo, s29
                                        ; implicit-def: $vgpr2
.LBB4_9319:                             ;   in Loop: Header=BB4_7930 Depth=2
	s_and_not1_saveexec_b32 s10, s28
; %bb.9320:                             ;   in Loop: Header=BB4_7930 Depth=2
	v_or_b32_e32 v124, 0x7e, v2
; %bb.9321:                             ;   in Loop: Header=BB4_7930 Depth=2
	s_or_b32 exec_lo, exec_lo, s10
                                        ; implicit-def: $vgpr2
.LBB4_9322:                             ;   in Loop: Header=BB4_7930 Depth=2
	s_and_not1_saveexec_b32 s10, s27
; %bb.9323:                             ;   in Loop: Header=BB4_7930 Depth=2
	v_or_b32_e32 v124, 0x7f, v2
; %bb.9324:                             ;   in Loop: Header=BB4_7930 Depth=2
	s_or_b32 exec_lo, exec_lo, s10
	v_mov_b32_e32 v3, 0
	s_mov_b32 s10, exec_lo
	v_cmpx_lt_u32_e32 0xffffff, v12
	s_cbranch_execz .LBB4_9332
; %bb.9325:                             ;   in Loop: Header=BB4_7930 Depth=2
	v_lshrrev_b32_e32 v2, 24, v12
	v_bfrev_b32_e32 v3, 1
	s_mov_b32 s27, exec_lo
	s_delay_alu instid0(VALU_DEP_2)
	v_cmpx_ne_u32_e32 0x80, v2
	s_cbranch_execz .LBB4_9331
; %bb.9326:                             ;   in Loop: Header=BB4_7930 Depth=2
	v_bfe_u32 v10, v12, 24, 7
	v_mov_b32_e32 v3, 0x7f800001
	s_mov_b32 s28, exec_lo
	s_delay_alu instid0(VALU_DEP_2)
	v_cmpx_ne_u32_e32 0x7f, v10
	s_cbranch_execz .LBB4_9330
; %bb.9327:                             ;   in Loop: Header=BB4_7930 Depth=2
	v_and_b32_e32 v14, 7, v2
	v_lshrrev_b32_e32 v3, 3, v10
	s_mov_b32 s29, exec_lo
	v_cmpx_gt_u32_e32 8, v10
; %bb.9328:                             ;   in Loop: Header=BB4_7930 Depth=2
	s_delay_alu instid0(VALU_DEP_3) | instskip(NEXT) | instid1(VALU_DEP_1)
	v_clz_i32_u32_e32 v3, v14
	v_min_u32_e32 v3, 32, v3
	s_delay_alu instid0(VALU_DEP_1) | instskip(NEXT) | instid1(VALU_DEP_1)
	v_subrev_nc_u32_e32 v10, 28, v3
	v_lshlrev_b64_e32 v[10:11], v10, v[14:15]
	s_delay_alu instid0(VALU_DEP_1)
	v_dual_sub_nc_u32 v3, 29, v3 :: v_dual_bitop2_b32 v14, 7, v10 bitop3:0x40
; %bb.9329:                             ;   in Loop: Header=BB4_7930 Depth=2
	s_or_b32 exec_lo, exec_lo, s29
	v_lshlrev_b32_e32 v2, 24, v2
	s_delay_alu instid0(VALU_DEP_2) | instskip(NEXT) | instid1(VALU_DEP_3)
	v_lshlrev_b32_e32 v10, 20, v14
	v_lshl_add_u32 v3, v3, 23, 0x3c000000
	s_delay_alu instid0(VALU_DEP_3) | instskip(NEXT) | instid1(VALU_DEP_1)
	v_and_b32_e32 v2, 0x80000000, v2
	v_or3_b32 v3, v10, v2, v3
.LBB4_9330:                             ;   in Loop: Header=BB4_7930 Depth=2
	s_or_b32 exec_lo, exec_lo, s28
.LBB4_9331:                             ;   in Loop: Header=BB4_7930 Depth=2
	s_delay_alu instid0(SALU_CYCLE_1)
	s_or_b32 exec_lo, exec_lo, s27
.LBB4_9332:                             ;   in Loop: Header=BB4_7930 Depth=2
	s_delay_alu instid0(SALU_CYCLE_1) | instskip(NEXT) | instid1(VALU_DEP_1)
	s_or_b32 exec_lo, exec_lo, s10
	v_mul_f32_e32 v3, s26, v3
                                        ; implicit-def: $vgpr125
	s_mov_b32 s10, exec_lo
	s_delay_alu instid0(VALU_DEP_1) | instskip(SKIP_1) | instid1(VALU_DEP_2)
	v_and_b32_e32 v14, 0x7f800000, v3
	v_lshrrev_b32_e32 v2, 24, v3
	v_cmpx_ne_u64_e32 0x7f800000, v[14:15]
	s_xor_b32 s27, exec_lo, s10
	s_cbranch_execz .LBB4_9346
; %bb.9333:                             ;   in Loop: Header=BB4_7930 Depth=2
	v_and_b32_e32 v14, 0x7fffffff, v3
	v_and_b32_e32 v2, 0x80, v2
                                        ; implicit-def: $vgpr125
	s_mov_b32 s10, exec_lo
	s_delay_alu instid0(VALU_DEP_2)
	v_cmpx_gt_u64_e32 0x43e00001, v[14:15]
	s_xor_b32 s28, exec_lo, s10
	s_cbranch_execz .LBB4_9343
; %bb.9334:                             ;   in Loop: Header=BB4_7930 Depth=2
	v_mov_b32_e32 v125, 0
	s_mov_b32 s29, exec_lo
	v_cmpx_ne_u32_e32 0, v3
	s_cbranch_execz .LBB4_9342
; %bb.9335:                             ;   in Loop: Header=BB4_7930 Depth=2
	v_and_b32_e32 v10, 0x7fffff, v3
	v_bfe_u32 v3, v3, 23, 8
	s_delay_alu instid0(VALU_DEP_2) | instskip(NEXT) | instid1(VALU_DEP_2)
	v_or_b32_e32 v14, 0x800000, v10
	v_cmp_eq_u32_e32 vcc_lo, 0, v3
	v_cmp_gt_u32_e64 s10, 0x7a, v3
	s_delay_alu instid0(VALU_DEP_3) | instskip(NEXT) | instid1(VALU_DEP_1)
	v_dual_cndmask_b32 v14, v14, v10 :: v_dual_sub_nc_u32 v11, 0x79, v3
	v_cndmask_b32_e64 v11, 0, v11, s10
	s_delay_alu instid0(VALU_DEP_1) | instskip(NEXT) | instid1(VALU_DEP_1)
	v_cndmask_b32_e64 v113, v11, 0x78, vcc_lo
	v_dual_add_nc_u32 v10, 20, v113 :: v_dual_add_nc_u32 v20, 19, v113
	s_delay_alu instid0(VALU_DEP_1) | instskip(NEXT) | instid1(VALU_DEP_2)
	v_lshlrev_b64_e64 v[10:11], v10, -1
	v_lshlrev_b64_e64 v[84:85], v20, 1
	s_delay_alu instid0(VALU_DEP_2) | instskip(NEXT) | instid1(VALU_DEP_3)
	v_bfi_b32 v11, v11, 0, 0
	v_bfi_b32 v10, v10, 0, v14
	s_delay_alu instid0(VALU_DEP_1) | instskip(SKIP_1) | instid1(VALU_DEP_1)
	v_cmp_eq_u64_e64 s10, v[10:11], v[84:85]
	v_lshrrev_b64 v[10:11], v113, v[14:15]
	v_mov_b64_e32 v[84:85], v[10:11]
	s_and_saveexec_b32 s40, s10
; %bb.9336:                             ;   in Loop: Header=BB4_7930 Depth=2
	v_bfe_u32 v14, v10, 20, 1
	s_delay_alu instid0(VALU_DEP_1) | instskip(NEXT) | instid1(VALU_DEP_1)
	v_add_nc_u64_e32 v[84:85], v[10:11], v[14:15]
	v_add_nc_u64_e32 v[84:85], -1, v[84:85]
; %bb.9337:                             ;   in Loop: Header=BB4_7930 Depth=2
	s_or_b32 exec_lo, exec_lo, s40
	v_add_nc_u32_e32 v3, 0xffffff81, v3
	v_lshrrev_b32_e32 v11, 23, v10
	s_mov_b32 s10, exec_lo
	s_delay_alu instid0(VALU_DEP_2) | instskip(NEXT) | instid1(VALU_DEP_1)
	v_cndmask_b32_e64 v3, v3, 0xffffff82, vcc_lo
	v_add3_u32 v85, v113, v3, v11
	v_and_b32_e32 v3, 0xfffff, v84
	s_delay_alu instid0(VALU_DEP_1) | instskip(NEXT) | instid1(VALU_DEP_1)
	v_dual_add_nc_u32 v84, 6, v85 :: v_dual_add_nc_u32 v14, v3, v10
                                        ; implicit-def: $vgpr10_vgpr11
                                        ; implicit-def: $vgpr3
	v_cmpx_ne_u32_e32 0, v84
	s_xor_b32 s10, exec_lo, s10
; %bb.9338:                             ;   in Loop: Header=BB4_7930 Depth=2
	s_delay_alu instid0(VALU_DEP_2) | instskip(SKIP_2) | instid1(VALU_DEP_2)
	v_cmp_lt_u64_e32 vcc_lo, 0xffffff, v[14:15]
	v_add_nc_u32_e32 v3, 7, v85
	v_cndmask_b32_e64 v10, 0, 1, vcc_lo
	v_cndmask_b32_e32 v3, v84, v3, vcc_lo
	s_delay_alu instid0(VALU_DEP_2)
	v_lshrrev_b64 v[10:11], v10, v[14:15]
; %bb.9339:                             ;   in Loop: Header=BB4_7930 Depth=2
	s_and_not1_saveexec_b32 s10, s10
; %bb.9340:                             ;   in Loop: Header=BB4_7930 Depth=2
	v_mov_b64_e32 v[10:11], v[14:15]
	v_bfe_u32 v3, v14, 23, 1
; %bb.9341:                             ;   in Loop: Header=BB4_7930 Depth=2
	s_or_b32 exec_lo, exec_lo, s10
	s_delay_alu instid0(VALU_DEP_2) | instskip(NEXT) | instid1(VALU_DEP_2)
	v_lshrrev_b64 v[10:11], 20, v[10:11]
	v_cmp_gt_i32_e32 vcc_lo, 16, v3
	v_min_i32_e32 v14, 15, v3
	v_cmp_eq_u32_e64 s10, 0, v3
	s_delay_alu instid0(VALU_DEP_4) | instskip(NEXT) | instid1(VALU_DEP_3)
	v_cndmask_b32_e32 v10, 7, v10, vcc_lo
	v_dual_cndmask_b32 v11, 0, v11 :: v_dual_lshlrev_b32 v14, 3, v14
	s_delay_alu instid0(VALU_DEP_1) | instskip(NEXT) | instid1(VALU_DEP_2)
	v_and_b32_e32 v14, 0xf8, v14
	v_cmp_eq_u64_e32 vcc_lo, 0, v[10:11]
	s_delay_alu instid0(VALU_DEP_2)
	v_and_or_b32 v3, v10, 7, v14
	s_and_b32 s10, s10, vcc_lo
	s_delay_alu instid0(VALU_DEP_1) | instid1(SALU_CYCLE_1)
	v_cndmask_b32_e64 v3, v3, 0, s10
	s_delay_alu instid0(VALU_DEP_1)
	v_or_b32_e32 v125, v3, v2
.LBB4_9342:                             ;   in Loop: Header=BB4_7930 Depth=2
	s_or_b32 exec_lo, exec_lo, s29
                                        ; implicit-def: $vgpr2
.LBB4_9343:                             ;   in Loop: Header=BB4_7930 Depth=2
	s_and_not1_saveexec_b32 s10, s28
; %bb.9344:                             ;   in Loop: Header=BB4_7930 Depth=2
	v_or_b32_e32 v125, 0x7e, v2
; %bb.9345:                             ;   in Loop: Header=BB4_7930 Depth=2
	s_or_b32 exec_lo, exec_lo, s10
                                        ; implicit-def: $vgpr2
.LBB4_9346:                             ;   in Loop: Header=BB4_7930 Depth=2
	s_and_not1_saveexec_b32 s10, s27
; %bb.9347:                             ;   in Loop: Header=BB4_7930 Depth=2
	v_or_b32_e32 v125, 0x7f, v2
; %bb.9348:                             ;   in Loop: Header=BB4_7930 Depth=2
	s_or_b32 exec_lo, exec_lo, s10
	v_and_b32_e32 v3, 0xff, v13
	v_dual_mov_b32 v14, v13 :: v_dual_mov_b32 v2, 0
	s_mov_b32 s10, exec_lo
	s_delay_alu instid0(VALU_DEP_2)
	v_cmpx_ne_u16_e32 0, v3
	s_cbranch_execz .LBB4_9354
; %bb.9349:                             ;   in Loop: Header=BB4_7930 Depth=2
	v_bfrev_b32_e32 v2, 1
	s_mov_b32 s27, exec_lo
	v_cmpx_ne_u16_e32 0x80, v3
	s_cbranch_execz .LBB4_9353
; %bb.9350:                             ;   in Loop: Header=BB4_7930 Depth=2
	v_and_b32_e32 v3, 0x7f, v13
	v_mov_b32_e32 v2, 0x7f800001
	s_mov_b32 s28, exec_lo
	s_delay_alu instid0(VALU_DEP_2)
	v_cmpx_ne_u32_e32 0x7f, v3
	s_cbranch_execz .LBB4_9352
; %bb.9351:                             ;   in Loop: Header=BB4_7930 Depth=2
	v_dual_lshrrev_b32 v10, 3, v3 :: v_dual_bitop2_b32 v2, 7, v13 bitop3:0x40
	v_cmp_gt_u32_e32 vcc_lo, 8, v3
	s_delay_alu instid0(VALU_DEP_2) | instskip(NEXT) | instid1(VALU_DEP_1)
	v_clz_i32_u32_e32 v2, v2
	v_min_u32_e32 v2, 32, v2
	s_delay_alu instid0(VALU_DEP_1) | instskip(SKIP_1) | instid1(VALU_DEP_1)
	v_subrev_nc_u32_e32 v3, 28, v2
	v_sub_nc_u32_e32 v2, 29, v2
	v_dual_cndmask_b32 v10, v10, v2, vcc_lo :: v_dual_cndmask_b32 v2, 0, v3, vcc_lo
	s_delay_alu instid0(VALU_DEP_1) | instskip(NEXT) | instid1(VALU_DEP_2)
	v_lshl_add_u32 v10, v10, 23, 0x3c000000
	v_lshlrev_b64_e32 v[2:3], v2, v[14:15]
	v_lshlrev_b32_e32 v3, 24, v14
	s_delay_alu instid0(VALU_DEP_1) | instskip(NEXT) | instid1(VALU_DEP_3)
	v_and_b32_e32 v3, 0x80000000, v3
	v_lshlrev_b32_e32 v2, 20, v2
	s_delay_alu instid0(VALU_DEP_1) | instskip(NEXT) | instid1(VALU_DEP_1)
	v_and_b32_e32 v2, 0x700000, v2
	v_or3_b32 v2, v2, v3, v10
.LBB4_9352:                             ;   in Loop: Header=BB4_7930 Depth=2
	s_or_b32 exec_lo, exec_lo, s28
.LBB4_9353:                             ;   in Loop: Header=BB4_7930 Depth=2
	s_delay_alu instid0(SALU_CYCLE_1)
	s_or_b32 exec_lo, exec_lo, s27
.LBB4_9354:                             ;   in Loop: Header=BB4_7930 Depth=2
	s_delay_alu instid0(SALU_CYCLE_1) | instskip(NEXT) | instid1(VALU_DEP_1)
	s_or_b32 exec_lo, exec_lo, s10
	v_dual_mul_f32 v3, s26, v2 :: v_dual_mov_b32 v11, v15
                                        ; implicit-def: $vgpr126
	s_mov_b32 s10, exec_lo
	s_delay_alu instid0(VALU_DEP_1) | instskip(SKIP_1) | instid1(VALU_DEP_2)
	v_and_b32_e32 v10, 0x7f800000, v3
	v_lshrrev_b32_e32 v2, 24, v3
	v_cmpx_ne_u64_e32 0x7f800000, v[10:11]
	s_xor_b32 s27, exec_lo, s10
	s_cbranch_execz .LBB4_9368
; %bb.9355:                             ;   in Loop: Header=BB4_7930 Depth=2
	v_and_b32_e32 v10, 0x7fffffff, v3
	v_mov_b32_e32 v11, v15
	v_and_b32_e32 v2, 0x80, v2
                                        ; implicit-def: $vgpr126
	s_mov_b32 s10, exec_lo
	s_delay_alu instid0(VALU_DEP_2)
	v_cmpx_gt_u64_e32 0x43e00001, v[10:11]
	s_xor_b32 s28, exec_lo, s10
	s_cbranch_execz .LBB4_9365
; %bb.9356:                             ;   in Loop: Header=BB4_7930 Depth=2
	v_mov_b32_e32 v126, 0
	s_mov_b32 s29, exec_lo
	v_cmpx_ne_u32_e32 0, v3
	s_cbranch_execz .LBB4_9364
; %bb.9357:                             ;   in Loop: Header=BB4_7930 Depth=2
	v_and_b32_e32 v10, 0x7fffff, v3
	v_bfe_u32 v3, v3, 23, 8
	s_delay_alu instid0(VALU_DEP_2) | instskip(NEXT) | instid1(VALU_DEP_2)
	v_or_b32_e32 v20, 0x800000, v10
	v_cmp_eq_u32_e32 vcc_lo, 0, v3
	v_cmp_gt_u32_e64 s10, 0x7a, v3
	s_delay_alu instid0(VALU_DEP_3) | instskip(NEXT) | instid1(VALU_DEP_1)
	v_dual_cndmask_b32 v10, v20, v10 :: v_dual_sub_nc_u32 v11, 0x79, v3
	v_cndmask_b32_e64 v11, 0, v11, s10
	s_delay_alu instid0(VALU_DEP_1) | instskip(NEXT) | instid1(VALU_DEP_1)
	v_cndmask_b32_e64 v113, v11, 0x78, vcc_lo
	v_dual_mov_b32 v11, v15 :: v_dual_add_nc_u32 v20, 20, v113
	s_delay_alu instid0(VALU_DEP_1) | instskip(SKIP_1) | instid1(VALU_DEP_1)
	v_lshlrev_b64_e64 v[84:85], v20, -1
	v_add_nc_u32_e32 v20, 19, v113
	v_lshlrev_b64_e64 v[20:21], v20, 1
	s_delay_alu instid0(VALU_DEP_3) | instskip(SKIP_2) | instid1(VALU_DEP_1)
	v_bfi_b32 v84, v84, 0, v10
	v_lshrrev_b64 v[10:11], v113, v[10:11]
	v_bfi_b32 v85, v85, 0, 0
	v_cmp_eq_u64_e64 s10, v[84:85], v[20:21]
	s_delay_alu instid0(VALU_DEP_3)
	v_mov_b64_e32 v[84:85], v[10:11]
	s_and_saveexec_b32 s40, s10
; %bb.9358:                             ;   in Loop: Header=BB4_7930 Depth=2
	v_bfe_u32 v20, v10, 20, 1
	v_mov_b32_e32 v21, v15
	s_delay_alu instid0(VALU_DEP_1) | instskip(NEXT) | instid1(VALU_DEP_1)
	v_add_nc_u64_e32 v[20:21], v[10:11], v[20:21]
	v_add_nc_u64_e32 v[84:85], -1, v[20:21]
; %bb.9359:                             ;   in Loop: Header=BB4_7930 Depth=2
	s_or_b32 exec_lo, exec_lo, s40
	v_add_nc_u32_e32 v3, 0xffffff81, v3
	v_lshrrev_b32_e32 v11, 23, v10
	s_mov_b32 s10, exec_lo
	s_delay_alu instid0(VALU_DEP_2) | instskip(NEXT) | instid1(VALU_DEP_1)
	v_cndmask_b32_e64 v3, v3, 0xffffff82, vcc_lo
	v_add3_u32 v85, v113, v3, v11
	v_and_b32_e32 v3, 0xfffff, v84
	s_delay_alu instid0(VALU_DEP_2) | instskip(NEXT) | instid1(VALU_DEP_2)
	v_dual_mov_b32 v11, v15 :: v_dual_add_nc_u32 v84, 6, v85
	v_add_nc_u32_e32 v10, v3, v10
                                        ; implicit-def: $vgpr3
	s_delay_alu instid0(VALU_DEP_2)
	v_cmpx_ne_u32_e32 0, v84
	s_xor_b32 s10, exec_lo, s10
; %bb.9360:                             ;   in Loop: Header=BB4_7930 Depth=2
	s_delay_alu instid0(VALU_DEP_2) | instskip(SKIP_2) | instid1(VALU_DEP_2)
	v_cmp_lt_u64_e32 vcc_lo, 0xffffff, v[10:11]
	v_add_nc_u32_e32 v3, 7, v85
	v_cndmask_b32_e64 v20, 0, 1, vcc_lo
	v_cndmask_b32_e32 v3, v84, v3, vcc_lo
	s_delay_alu instid0(VALU_DEP_2)
	v_lshrrev_b64 v[10:11], v20, v[10:11]
; %bb.9361:                             ;   in Loop: Header=BB4_7930 Depth=2
	s_and_not1_saveexec_b32 s10, s10
; %bb.9362:                             ;   in Loop: Header=BB4_7930 Depth=2
	s_delay_alu instid0(VALU_DEP_1)
	v_bfe_u32 v3, v10, 23, 1
; %bb.9363:                             ;   in Loop: Header=BB4_7930 Depth=2
	s_or_b32 exec_lo, exec_lo, s10
	s_delay_alu instid0(VALU_DEP_2) | instskip(NEXT) | instid1(VALU_DEP_2)
	v_lshrrev_b64 v[10:11], 20, v[10:11]
	v_cmp_gt_i32_e32 vcc_lo, 16, v3
	v_min_i32_e32 v20, 15, v3
	v_cmp_eq_u32_e64 s10, 0, v3
	s_delay_alu instid0(VALU_DEP_2) | instskip(SKIP_1) | instid1(VALU_DEP_2)
	v_dual_cndmask_b32 v10, 7, v10, vcc_lo :: v_dual_lshlrev_b32 v20, 3, v20
	v_cndmask_b32_e32 v11, 0, v11, vcc_lo
	v_and_b32_e32 v20, 0xf8, v20
	s_delay_alu instid0(VALU_DEP_2) | instskip(NEXT) | instid1(VALU_DEP_2)
	v_cmp_eq_u64_e32 vcc_lo, 0, v[10:11]
	v_and_or_b32 v3, v10, 7, v20
	s_and_b32 s10, s10, vcc_lo
	s_delay_alu instid0(VALU_DEP_1) | instid1(SALU_CYCLE_1)
	v_cndmask_b32_e64 v3, v3, 0, s10
	s_delay_alu instid0(VALU_DEP_1)
	v_or_b32_e32 v126, v3, v2
.LBB4_9364:                             ;   in Loop: Header=BB4_7930 Depth=2
	s_or_b32 exec_lo, exec_lo, s29
                                        ; implicit-def: $vgpr2
.LBB4_9365:                             ;   in Loop: Header=BB4_7930 Depth=2
	s_and_not1_saveexec_b32 s10, s28
; %bb.9366:                             ;   in Loop: Header=BB4_7930 Depth=2
	v_or_b32_e32 v126, 0x7e, v2
; %bb.9367:                             ;   in Loop: Header=BB4_7930 Depth=2
	s_or_b32 exec_lo, exec_lo, s10
                                        ; implicit-def: $vgpr2
.LBB4_9368:                             ;   in Loop: Header=BB4_7930 Depth=2
	s_and_not1_saveexec_b32 s10, s27
; %bb.9369:                             ;   in Loop: Header=BB4_7930 Depth=2
	v_or_b32_e32 v126, 0x7f, v2
; %bb.9370:                             ;   in Loop: Header=BB4_7930 Depth=2
	s_or_b32 exec_lo, exec_lo, s10
	v_lshrrev_b16 v3, 8, v14
	v_mov_b32_e32 v2, 0
	s_mov_b32 s10, exec_lo
	s_delay_alu instid0(VALU_DEP_2)
	v_cmpx_ne_u16_e32 0, v3
	s_cbranch_execz .LBB4_9378
; %bb.9371:                             ;   in Loop: Header=BB4_7930 Depth=2
	v_bfrev_b32_e32 v2, 1
	s_mov_b32 s27, exec_lo
	v_cmpx_ne_u16_e32 0x80, v3
	s_cbranch_execz .LBB4_9377
; %bb.9372:                             ;   in Loop: Header=BB4_7930 Depth=2
	v_and_b32_e32 v10, 0xffff, v3
	v_mov_b32_e32 v2, 0x7f800001
	s_mov_b32 s28, exec_lo
	s_delay_alu instid0(VALU_DEP_2) | instskip(NEXT) | instid1(VALU_DEP_1)
	v_and_b32_e32 v3, 0x7f, v10
	v_cmpx_ne_u32_e32 0x7f, v3
	s_cbranch_execz .LBB4_9376
; %bb.9373:                             ;   in Loop: Header=BB4_7930 Depth=2
	v_dual_mov_b32 v11, v15 :: v_dual_bitop2_b32 v10, 7, v10 bitop3:0x40
	v_lshrrev_b32_e32 v2, 3, v3
	s_mov_b32 s29, exec_lo
	v_cmpx_gt_u32_e32 8, v3
; %bb.9374:                             ;   in Loop: Header=BB4_7930 Depth=2
	s_delay_alu instid0(VALU_DEP_3) | instskip(NEXT) | instid1(VALU_DEP_1)
	v_clz_i32_u32_e32 v2, v10
	v_min_u32_e32 v2, 32, v2
	s_delay_alu instid0(VALU_DEP_1) | instskip(SKIP_1) | instid1(VALU_DEP_2)
	v_subrev_nc_u32_e32 v3, 28, v2
	v_sub_nc_u32_e32 v2, 29, v2
	v_lshlrev_b64_e32 v[10:11], v3, v[10:11]
	s_delay_alu instid0(VALU_DEP_1)
	v_and_b32_e32 v10, 7, v10
; %bb.9375:                             ;   in Loop: Header=BB4_7930 Depth=2
	s_or_b32 exec_lo, exec_lo, s29
	v_lshlrev_b32_e32 v3, 16, v14
	s_delay_alu instid0(VALU_DEP_2) | instskip(SKIP_1) | instid1(VALU_DEP_3)
	v_lshlrev_b32_e32 v10, 20, v10
	v_lshl_add_u32 v2, v2, 23, 0x3c000000
	v_and_b32_e32 v3, 0x80000000, v3
	s_delay_alu instid0(VALU_DEP_1)
	v_or3_b32 v2, v10, v3, v2
.LBB4_9376:                             ;   in Loop: Header=BB4_7930 Depth=2
	s_or_b32 exec_lo, exec_lo, s28
.LBB4_9377:                             ;   in Loop: Header=BB4_7930 Depth=2
	s_delay_alu instid0(SALU_CYCLE_1)
	s_or_b32 exec_lo, exec_lo, s27
.LBB4_9378:                             ;   in Loop: Header=BB4_7930 Depth=2
	s_delay_alu instid0(SALU_CYCLE_1) | instskip(NEXT) | instid1(VALU_DEP_1)
	s_or_b32 exec_lo, exec_lo, s10
	v_mul_f32_e32 v10, s26, v2
                                        ; implicit-def: $vgpr2
	s_mov_b32 s10, exec_lo
	s_delay_alu instid0(VALU_DEP_1) | instskip(SKIP_1) | instid1(VALU_DEP_2)
	v_and_b32_e32 v14, 0x7f800000, v10
	v_lshrrev_b32_e32 v3, 24, v10
	v_cmpx_ne_u64_e32 0x7f800000, v[14:15]
	s_xor_b32 s27, exec_lo, s10
	s_cbranch_execz .LBB4_9392
; %bb.9379:                             ;   in Loop: Header=BB4_7930 Depth=2
	v_and_b32_e32 v14, 0x7fffffff, v10
	v_and_b32_e32 v3, 0x80, v3
                                        ; implicit-def: $vgpr2
	s_mov_b32 s10, exec_lo
	s_delay_alu instid0(VALU_DEP_2)
	v_cmpx_gt_u64_e32 0x43e00001, v[14:15]
	s_xor_b32 s28, exec_lo, s10
	s_cbranch_execz .LBB4_9389
; %bb.9380:                             ;   in Loop: Header=BB4_7930 Depth=2
	v_mov_b32_e32 v2, 0
	s_mov_b32 s29, exec_lo
	v_cmpx_ne_u32_e32 0, v10
	s_cbranch_execz .LBB4_9388
; %bb.9381:                             ;   in Loop: Header=BB4_7930 Depth=2
	v_bfe_u32 v2, v10, 23, 8
	v_and_b32_e32 v11, 0x7fffff, v10
	s_delay_alu instid0(VALU_DEP_2) | instskip(SKIP_2) | instid1(VALU_DEP_4)
	v_cmp_gt_u32_e64 s10, 0x7a, v2
	v_sub_nc_u32_e32 v10, 0x79, v2
	v_cmp_eq_u32_e32 vcc_lo, 0, v2
	v_or_b32_e32 v14, 0x800000, v11
	s_delay_alu instid0(VALU_DEP_1) | instskip(NEXT) | instid1(VALU_DEP_1)
	v_dual_cndmask_b32 v10, 0, v10, s10 :: v_dual_cndmask_b32 v14, v14, v11, vcc_lo
	v_cndmask_b32_e64 v113, v10, 0x78, vcc_lo
	s_delay_alu instid0(VALU_DEP_1) | instskip(NEXT) | instid1(VALU_DEP_1)
	v_dual_add_nc_u32 v10, 20, v113 :: v_dual_add_nc_u32 v20, 19, v113
	v_lshlrev_b64_e64 v[10:11], v10, -1
	s_delay_alu instid0(VALU_DEP_2) | instskip(NEXT) | instid1(VALU_DEP_2)
	v_lshlrev_b64_e64 v[20:21], v20, 1
	v_bfi_b32 v11, v11, 0, 0
	s_delay_alu instid0(VALU_DEP_3) | instskip(NEXT) | instid1(VALU_DEP_1)
	v_bfi_b32 v10, v10, 0, v14
	v_cmp_eq_u64_e64 s10, v[10:11], v[20:21]
	v_lshrrev_b64 v[10:11], v113, v[14:15]
	s_delay_alu instid0(VALU_DEP_1)
	v_mov_b64_e32 v[84:85], v[10:11]
	s_and_saveexec_b32 s40, s10
; %bb.9382:                             ;   in Loop: Header=BB4_7930 Depth=2
	v_bfe_u32 v14, v10, 20, 1
	s_delay_alu instid0(VALU_DEP_1) | instskip(NEXT) | instid1(VALU_DEP_1)
	v_add_nc_u64_e32 v[20:21], v[10:11], v[14:15]
	v_add_nc_u64_e32 v[84:85], -1, v[20:21]
; %bb.9383:                             ;   in Loop: Header=BB4_7930 Depth=2
	s_or_b32 exec_lo, exec_lo, s40
	v_add_nc_u32_e32 v2, 0xffffff81, v2
	v_lshrrev_b32_e32 v11, 23, v10
	s_mov_b32 s10, exec_lo
	s_delay_alu instid0(VALU_DEP_2) | instskip(NEXT) | instid1(VALU_DEP_1)
	v_cndmask_b32_e64 v2, v2, 0xffffff82, vcc_lo
	v_add3_u32 v85, v113, v2, v11
	v_and_b32_e32 v2, 0xfffff, v84
	s_delay_alu instid0(VALU_DEP_1) | instskip(NEXT) | instid1(VALU_DEP_1)
	v_dual_add_nc_u32 v84, 6, v85 :: v_dual_add_nc_u32 v14, v2, v10
                                        ; implicit-def: $vgpr10_vgpr11
                                        ; implicit-def: $vgpr2
	v_cmpx_ne_u32_e32 0, v84
	s_xor_b32 s10, exec_lo, s10
; %bb.9384:                             ;   in Loop: Header=BB4_7930 Depth=2
	s_delay_alu instid0(VALU_DEP_2) | instskip(SKIP_2) | instid1(VALU_DEP_2)
	v_cmp_lt_u64_e32 vcc_lo, 0xffffff, v[14:15]
	v_add_nc_u32_e32 v2, 7, v85
	v_cndmask_b32_e64 v10, 0, 1, vcc_lo
	v_cndmask_b32_e32 v2, v84, v2, vcc_lo
	s_delay_alu instid0(VALU_DEP_2)
	v_lshrrev_b64 v[10:11], v10, v[14:15]
; %bb.9385:                             ;   in Loop: Header=BB4_7930 Depth=2
	s_and_not1_saveexec_b32 s10, s10
; %bb.9386:                             ;   in Loop: Header=BB4_7930 Depth=2
	v_mov_b64_e32 v[10:11], v[14:15]
	v_bfe_u32 v2, v14, 23, 1
; %bb.9387:                             ;   in Loop: Header=BB4_7930 Depth=2
	s_or_b32 exec_lo, exec_lo, s10
	s_delay_alu instid0(VALU_DEP_2) | instskip(NEXT) | instid1(VALU_DEP_2)
	v_lshrrev_b64 v[10:11], 20, v[10:11]
	v_cmp_gt_i32_e32 vcc_lo, 16, v2
	v_min_i32_e32 v14, 15, v2
	v_cmp_eq_u32_e64 s10, 0, v2
	s_delay_alu instid0(VALU_DEP_2) | instskip(SKIP_1) | instid1(VALU_DEP_2)
	v_dual_cndmask_b32 v11, 0, v11 :: v_dual_lshlrev_b32 v14, 3, v14
	v_cndmask_b32_e32 v10, 7, v10, vcc_lo
	v_and_b32_e32 v14, 0xf8, v14
	s_delay_alu instid0(VALU_DEP_2) | instskip(NEXT) | instid1(VALU_DEP_2)
	v_cmp_eq_u64_e32 vcc_lo, 0, v[10:11]
	v_and_or_b32 v2, v10, 7, v14
	s_and_b32 s10, s10, vcc_lo
	s_delay_alu instid0(VALU_DEP_1) | instid1(SALU_CYCLE_1)
	v_cndmask_b32_e64 v2, v2, 0, s10
	s_delay_alu instid0(VALU_DEP_1)
	v_or_b32_e32 v2, v2, v3
.LBB4_9388:                             ;   in Loop: Header=BB4_7930 Depth=2
	s_or_b32 exec_lo, exec_lo, s29
                                        ; implicit-def: $vgpr3
.LBB4_9389:                             ;   in Loop: Header=BB4_7930 Depth=2
	s_and_not1_saveexec_b32 s10, s28
; %bb.9390:                             ;   in Loop: Header=BB4_7930 Depth=2
	v_or_b32_e32 v2, 0x7e, v3
; %bb.9391:                             ;   in Loop: Header=BB4_7930 Depth=2
	s_or_b32 exec_lo, exec_lo, s10
                                        ; implicit-def: $vgpr3
.LBB4_9392:                             ;   in Loop: Header=BB4_7930 Depth=2
	s_and_not1_saveexec_b32 s10, s27
; %bb.9393:                             ;   in Loop: Header=BB4_7930 Depth=2
	v_or_b32_e32 v2, 0x7f, v3
; %bb.9394:                             ;   in Loop: Header=BB4_7930 Depth=2
	s_or_b32 exec_lo, exec_lo, s10
	v_dual_mov_b32 v10, 0 :: v_dual_lshrrev_b32 v3, 16, v13
	s_mov_b32 s10, exec_lo
	s_delay_alu instid0(VALU_DEP_1) | instskip(NEXT) | instid1(VALU_DEP_1)
	v_and_b32_e32 v11, 0xff, v3
	v_cmpx_ne_u16_e32 0, v11
	s_cbranch_execz .LBB4_9402
; %bb.9395:                             ;   in Loop: Header=BB4_7930 Depth=2
	v_bfrev_b32_e32 v10, 1
	s_mov_b32 s27, exec_lo
	v_cmpx_ne_u16_e32 0x80, v11
	s_cbranch_execz .LBB4_9401
; %bb.9396:                             ;   in Loop: Header=BB4_7930 Depth=2
	v_bfe_u32 v11, v13, 16, 7
	v_mov_b32_e32 v10, 0x7f800001
	s_mov_b32 s28, exec_lo
	s_delay_alu instid0(VALU_DEP_2)
	v_cmpx_ne_u32_e32 0x7f, v11
	s_cbranch_execz .LBB4_9400
; %bb.9397:                             ;   in Loop: Header=BB4_7930 Depth=2
	v_and_b32_e32 v14, 7, v3
	v_lshrrev_b32_e32 v10, 3, v11
	s_mov_b32 s29, exec_lo
	v_cmpx_gt_u32_e32 8, v11
; %bb.9398:                             ;   in Loop: Header=BB4_7930 Depth=2
	s_delay_alu instid0(VALU_DEP_3) | instskip(NEXT) | instid1(VALU_DEP_1)
	v_clz_i32_u32_e32 v10, v14
	v_min_u32_e32 v10, 32, v10
	s_delay_alu instid0(VALU_DEP_1) | instskip(NEXT) | instid1(VALU_DEP_1)
	v_subrev_nc_u32_e32 v11, 28, v10
	v_lshlrev_b64_e32 v[20:21], v11, v[14:15]
	s_delay_alu instid0(VALU_DEP_1)
	v_dual_sub_nc_u32 v10, 29, v10 :: v_dual_bitop2_b32 v14, 7, v20 bitop3:0x40
; %bb.9399:                             ;   in Loop: Header=BB4_7930 Depth=2
	s_or_b32 exec_lo, exec_lo, s29
	s_delay_alu instid0(VALU_DEP_1) | instskip(NEXT) | instid1(VALU_DEP_2)
	v_dual_lshlrev_b32 v3, 24, v3 :: v_dual_lshlrev_b32 v11, 20, v14
	v_lshl_add_u32 v10, v10, 23, 0x3c000000
	s_delay_alu instid0(VALU_DEP_2) | instskip(NEXT) | instid1(VALU_DEP_1)
	v_and_b32_e32 v3, 0x80000000, v3
	v_or3_b32 v10, v11, v3, v10
.LBB4_9400:                             ;   in Loop: Header=BB4_7930 Depth=2
	s_or_b32 exec_lo, exec_lo, s28
.LBB4_9401:                             ;   in Loop: Header=BB4_7930 Depth=2
	s_delay_alu instid0(SALU_CYCLE_1)
	s_or_b32 exec_lo, exec_lo, s27
.LBB4_9402:                             ;   in Loop: Header=BB4_7930 Depth=2
	s_delay_alu instid0(SALU_CYCLE_1) | instskip(NEXT) | instid1(VALU_DEP_1)
	s_or_b32 exec_lo, exec_lo, s10
	v_mul_f32_e32 v10, s26, v10
                                        ; implicit-def: $vgpr3
	s_mov_b32 s10, exec_lo
	s_delay_alu instid0(VALU_DEP_1) | instskip(SKIP_1) | instid1(VALU_DEP_2)
	v_and_b32_e32 v14, 0x7f800000, v10
	v_lshrrev_b32_e32 v11, 24, v10
	v_cmpx_ne_u64_e32 0x7f800000, v[14:15]
	s_xor_b32 s27, exec_lo, s10
	s_cbranch_execz .LBB4_9416
; %bb.9403:                             ;   in Loop: Header=BB4_7930 Depth=2
	v_and_b32_e32 v14, 0x7fffffff, v10
	v_and_b32_e32 v113, 0x80, v11
                                        ; implicit-def: $vgpr3
	s_mov_b32 s10, exec_lo
	s_delay_alu instid0(VALU_DEP_2)
	v_cmpx_gt_u64_e32 0x43e00001, v[14:15]
	s_xor_b32 s28, exec_lo, s10
	s_cbranch_execz .LBB4_9413
; %bb.9404:                             ;   in Loop: Header=BB4_7930 Depth=2
	v_mov_b32_e32 v3, 0
	s_mov_b32 s29, exec_lo
	v_cmpx_ne_u32_e32 0, v10
	s_cbranch_execz .LBB4_9412
; %bb.9405:                             ;   in Loop: Header=BB4_7930 Depth=2
	v_bfe_u32 v3, v10, 23, 8
	v_and_b32_e32 v11, 0x7fffff, v10
	s_delay_alu instid0(VALU_DEP_2) | instskip(SKIP_2) | instid1(VALU_DEP_4)
	v_cmp_gt_u32_e64 s10, 0x7a, v3
	v_sub_nc_u32_e32 v10, 0x79, v3
	v_cmp_eq_u32_e32 vcc_lo, 0, v3
	v_or_b32_e32 v14, 0x800000, v11
	s_delay_alu instid0(VALU_DEP_1) | instskip(NEXT) | instid1(VALU_DEP_1)
	v_dual_cndmask_b32 v10, 0, v10, s10 :: v_dual_cndmask_b32 v14, v14, v11, vcc_lo
	v_cndmask_b32_e64 v98, v10, 0x78, vcc_lo
	s_delay_alu instid0(VALU_DEP_1) | instskip(NEXT) | instid1(VALU_DEP_1)
	v_dual_add_nc_u32 v10, 20, v98 :: v_dual_add_nc_u32 v20, 19, v98
	v_lshlrev_b64_e64 v[10:11], v10, -1
	s_delay_alu instid0(VALU_DEP_2) | instskip(NEXT) | instid1(VALU_DEP_2)
	v_lshlrev_b64_e64 v[20:21], v20, 1
	v_bfi_b32 v11, v11, 0, 0
	s_delay_alu instid0(VALU_DEP_3) | instskip(NEXT) | instid1(VALU_DEP_1)
	v_bfi_b32 v10, v10, 0, v14
	v_cmp_eq_u64_e64 s10, v[10:11], v[20:21]
	v_lshrrev_b64 v[10:11], v98, v[14:15]
	s_delay_alu instid0(VALU_DEP_1)
	v_mov_b64_e32 v[84:85], v[10:11]
	s_and_saveexec_b32 s40, s10
; %bb.9406:                             ;   in Loop: Header=BB4_7930 Depth=2
	v_bfe_u32 v14, v10, 20, 1
	s_delay_alu instid0(VALU_DEP_1) | instskip(NEXT) | instid1(VALU_DEP_1)
	v_add_nc_u64_e32 v[20:21], v[10:11], v[14:15]
	v_add_nc_u64_e32 v[84:85], -1, v[20:21]
; %bb.9407:                             ;   in Loop: Header=BB4_7930 Depth=2
	s_or_b32 exec_lo, exec_lo, s40
	v_add_nc_u32_e32 v3, 0xffffff81, v3
	v_lshrrev_b32_e32 v11, 23, v10
	s_mov_b32 s10, exec_lo
	s_delay_alu instid0(VALU_DEP_2) | instskip(NEXT) | instid1(VALU_DEP_1)
	v_cndmask_b32_e64 v3, v3, 0xffffff82, vcc_lo
	v_add3_u32 v85, v98, v3, v11
	v_and_b32_e32 v3, 0xfffff, v84
	s_delay_alu instid0(VALU_DEP_1) | instskip(NEXT) | instid1(VALU_DEP_1)
	v_dual_add_nc_u32 v84, 6, v85 :: v_dual_add_nc_u32 v14, v3, v10
                                        ; implicit-def: $vgpr10_vgpr11
                                        ; implicit-def: $vgpr3
	v_cmpx_ne_u32_e32 0, v84
	s_xor_b32 s10, exec_lo, s10
; %bb.9408:                             ;   in Loop: Header=BB4_7930 Depth=2
	s_delay_alu instid0(VALU_DEP_2) | instskip(SKIP_2) | instid1(VALU_DEP_2)
	v_cmp_lt_u64_e32 vcc_lo, 0xffffff, v[14:15]
	v_add_nc_u32_e32 v3, 7, v85
	v_cndmask_b32_e64 v10, 0, 1, vcc_lo
	v_cndmask_b32_e32 v3, v84, v3, vcc_lo
	s_delay_alu instid0(VALU_DEP_2)
	v_lshrrev_b64 v[10:11], v10, v[14:15]
; %bb.9409:                             ;   in Loop: Header=BB4_7930 Depth=2
	s_and_not1_saveexec_b32 s10, s10
; %bb.9410:                             ;   in Loop: Header=BB4_7930 Depth=2
	v_mov_b64_e32 v[10:11], v[14:15]
	v_bfe_u32 v3, v14, 23, 1
; %bb.9411:                             ;   in Loop: Header=BB4_7930 Depth=2
	s_or_b32 exec_lo, exec_lo, s10
	s_delay_alu instid0(VALU_DEP_2) | instskip(NEXT) | instid1(VALU_DEP_2)
	v_lshrrev_b64 v[10:11], 20, v[10:11]
	v_cmp_gt_i32_e32 vcc_lo, 16, v3
	v_min_i32_e32 v14, 15, v3
	v_cmp_eq_u32_e64 s10, 0, v3
	s_delay_alu instid0(VALU_DEP_4) | instskip(NEXT) | instid1(VALU_DEP_3)
	v_cndmask_b32_e32 v10, 7, v10, vcc_lo
	v_dual_cndmask_b32 v11, 0, v11 :: v_dual_lshlrev_b32 v14, 3, v14
	s_delay_alu instid0(VALU_DEP_1) | instskip(NEXT) | instid1(VALU_DEP_2)
	v_and_b32_e32 v14, 0xf8, v14
	v_cmp_eq_u64_e32 vcc_lo, 0, v[10:11]
	s_delay_alu instid0(VALU_DEP_2)
	v_and_or_b32 v3, v10, 7, v14
	s_and_b32 s10, s10, vcc_lo
	s_delay_alu instid0(VALU_DEP_1) | instid1(SALU_CYCLE_1)
	v_cndmask_b32_e64 v3, v3, 0, s10
	s_delay_alu instid0(VALU_DEP_1)
	v_or_b32_e32 v3, v3, v113
.LBB4_9412:                             ;   in Loop: Header=BB4_7930 Depth=2
	s_or_b32 exec_lo, exec_lo, s29
                                        ; implicit-def: $vgpr113
.LBB4_9413:                             ;   in Loop: Header=BB4_7930 Depth=2
	s_and_not1_saveexec_b32 s10, s28
; %bb.9414:                             ;   in Loop: Header=BB4_7930 Depth=2
	v_or_b32_e32 v3, 0x7e, v113
; %bb.9415:                             ;   in Loop: Header=BB4_7930 Depth=2
	s_or_b32 exec_lo, exec_lo, s10
                                        ; implicit-def: $vgpr11
.LBB4_9416:                             ;   in Loop: Header=BB4_7930 Depth=2
	s_and_not1_saveexec_b32 s10, s27
; %bb.9417:                             ;   in Loop: Header=BB4_7930 Depth=2
	v_or_b32_e32 v3, 0x7f, v11
; %bb.9418:                             ;   in Loop: Header=BB4_7930 Depth=2
	s_or_b32 exec_lo, exec_lo, s10
	v_mov_b32_e32 v11, 0
	s_mov_b32 s10, exec_lo
	v_cmpx_lt_u64_e64 s[12:13], v[12:13]
	s_cbranch_execz .LBB4_9426
; %bb.9419:                             ;   in Loop: Header=BB4_7930 Depth=2
	v_lshrrev_b32_e32 v10, 24, v13
	v_bfrev_b32_e32 v11, 1
	s_mov_b32 s27, exec_lo
	s_delay_alu instid0(VALU_DEP_2)
	v_cmpx_ne_u32_e32 0x80, v10
	s_cbranch_execz .LBB4_9425
; %bb.9420:                             ;   in Loop: Header=BB4_7930 Depth=2
	v_bfe_u32 v12, v13, 24, 7
	v_mov_b32_e32 v11, 0x7f800001
	s_mov_b32 s28, exec_lo
	s_delay_alu instid0(VALU_DEP_2)
	v_cmpx_ne_u32_e32 0x7f, v12
	s_cbranch_execz .LBB4_9424
; %bb.9421:                             ;   in Loop: Header=BB4_7930 Depth=2
	v_dual_lshrrev_b32 v11, 3, v12 :: v_dual_bitop2_b32 v14, 7, v10 bitop3:0x40
	s_mov_b32 s29, exec_lo
	v_cmpx_gt_u32_e32 8, v12
; %bb.9422:                             ;   in Loop: Header=BB4_7930 Depth=2
	s_delay_alu instid0(VALU_DEP_2) | instskip(NEXT) | instid1(VALU_DEP_1)
	v_clz_i32_u32_e32 v11, v14
	v_min_u32_e32 v11, 32, v11
	s_delay_alu instid0(VALU_DEP_1) | instskip(NEXT) | instid1(VALU_DEP_1)
	v_subrev_nc_u32_e32 v12, 28, v11
	v_lshlrev_b64_e32 v[12:13], v12, v[14:15]
	s_delay_alu instid0(VALU_DEP_1)
	v_dual_sub_nc_u32 v11, 29, v11 :: v_dual_bitop2_b32 v14, 7, v12 bitop3:0x40
; %bb.9423:                             ;   in Loop: Header=BB4_7930 Depth=2
	s_or_b32 exec_lo, exec_lo, s29
	v_lshlrev_b32_e32 v10, 24, v10
	s_delay_alu instid0(VALU_DEP_2) | instskip(NEXT) | instid1(VALU_DEP_3)
	v_lshlrev_b32_e32 v12, 20, v14
	v_lshl_add_u32 v11, v11, 23, 0x3c000000
	s_delay_alu instid0(VALU_DEP_3) | instskip(NEXT) | instid1(VALU_DEP_1)
	v_and_b32_e32 v10, 0x80000000, v10
	v_or3_b32 v11, v12, v10, v11
.LBB4_9424:                             ;   in Loop: Header=BB4_7930 Depth=2
	s_or_b32 exec_lo, exec_lo, s28
.LBB4_9425:                             ;   in Loop: Header=BB4_7930 Depth=2
	s_delay_alu instid0(SALU_CYCLE_1)
	s_or_b32 exec_lo, exec_lo, s27
.LBB4_9426:                             ;   in Loop: Header=BB4_7930 Depth=2
	s_delay_alu instid0(SALU_CYCLE_1) | instskip(NEXT) | instid1(VALU_DEP_1)
	s_or_b32 exec_lo, exec_lo, s10
	v_mul_f32_e32 v11, s26, v11
                                        ; implicit-def: $vgpr10
	s_mov_b32 s10, exec_lo
	s_delay_alu instid0(VALU_DEP_1) | instskip(SKIP_1) | instid1(VALU_DEP_2)
	v_and_b32_e32 v14, 0x7f800000, v11
	v_lshrrev_b32_e32 v12, 24, v11
	v_cmpx_ne_u64_e32 0x7f800000, v[14:15]
	s_xor_b32 s26, exec_lo, s10
	s_cbranch_execz .LBB4_9440
; %bb.9427:                             ;   in Loop: Header=BB4_7930 Depth=2
	v_and_b32_e32 v14, 0x7fffffff, v11
	v_and_b32_e32 v84, 0x80, v12
                                        ; implicit-def: $vgpr10
	s_mov_b32 s10, exec_lo
	s_delay_alu instid0(VALU_DEP_2)
	v_cmpx_gt_u64_e32 0x43e00001, v[14:15]
	s_xor_b32 s27, exec_lo, s10
	s_cbranch_execz .LBB4_9437
; %bb.9428:                             ;   in Loop: Header=BB4_7930 Depth=2
	v_mov_b32_e32 v10, 0
	s_mov_b32 s28, exec_lo
	v_cmpx_ne_u32_e32 0, v11
	s_cbranch_execz .LBB4_9436
; %bb.9429:                             ;   in Loop: Header=BB4_7930 Depth=2
	v_and_b32_e32 v10, 0x7fffff, v11
	v_bfe_u32 v85, v11, 23, 8
	s_delay_alu instid0(VALU_DEP_2) | instskip(NEXT) | instid1(VALU_DEP_2)
	v_or_b32_e32 v12, 0x800000, v10
	v_cmp_eq_u32_e32 vcc_lo, 0, v85
	v_cmp_gt_u32_e64 s10, 0x7a, v85
	s_delay_alu instid0(VALU_DEP_3) | instskip(NEXT) | instid1(VALU_DEP_1)
	v_dual_cndmask_b32 v14, v12, v10 :: v_dual_sub_nc_u32 v11, 0x79, v85
	v_cndmask_b32_e64 v11, 0, v11, s10
	s_delay_alu instid0(VALU_DEP_1) | instskip(NEXT) | instid1(VALU_DEP_1)
	v_cndmask_b32_e64 v98, v11, 0x78, vcc_lo
	v_dual_add_nc_u32 v10, 20, v98 :: v_dual_add_nc_u32 v12, 19, v98
	s_delay_alu instid0(VALU_DEP_1) | instskip(NEXT) | instid1(VALU_DEP_2)
	v_lshlrev_b64_e64 v[10:11], v10, -1
	v_lshlrev_b64_e64 v[12:13], v12, 1
	s_delay_alu instid0(VALU_DEP_2) | instskip(NEXT) | instid1(VALU_DEP_3)
	v_bfi_b32 v11, v11, 0, 0
	v_bfi_b32 v10, v10, 0, v14
	s_delay_alu instid0(VALU_DEP_1) | instskip(SKIP_1) | instid1(VALU_DEP_1)
	v_cmp_eq_u64_e64 s10, v[10:11], v[12:13]
	v_lshrrev_b64 v[10:11], v98, v[14:15]
	v_mov_b64_e32 v[12:13], v[10:11]
	s_and_saveexec_b32 s29, s10
; %bb.9430:                             ;   in Loop: Header=BB4_7930 Depth=2
	v_bfe_u32 v14, v10, 20, 1
	s_delay_alu instid0(VALU_DEP_1) | instskip(NEXT) | instid1(VALU_DEP_1)
	v_add_nc_u64_e32 v[12:13], v[10:11], v[14:15]
	v_add_nc_u64_e32 v[12:13], -1, v[12:13]
; %bb.9431:                             ;   in Loop: Header=BB4_7930 Depth=2
	s_or_b32 exec_lo, exec_lo, s29
	v_add_nc_u32_e32 v11, 0xffffff81, v85
	v_lshrrev_b32_e32 v13, 23, v10
	s_mov_b32 s10, exec_lo
	s_delay_alu instid0(VALU_DEP_2) | instskip(NEXT) | instid1(VALU_DEP_1)
	v_cndmask_b32_e64 v11, v11, 0xffffff82, vcc_lo
	v_add3_u32 v85, v98, v11, v13
	v_and_b32_e32 v11, 0xfffff, v12
                                        ; implicit-def: $vgpr12
	s_delay_alu instid0(VALU_DEP_1) | instskip(NEXT) | instid1(VALU_DEP_1)
	v_dual_add_nc_u32 v13, 6, v85 :: v_dual_add_nc_u32 v14, v11, v10
                                        ; implicit-def: $vgpr10_vgpr11
	v_cmpx_ne_u32_e32 0, v13
	s_xor_b32 s10, exec_lo, s10
; %bb.9432:                             ;   in Loop: Header=BB4_7930 Depth=2
	s_delay_alu instid0(VALU_DEP_2) | instskip(SKIP_1) | instid1(VALU_DEP_1)
	v_cmp_lt_u64_e32 vcc_lo, 0xffffff, v[14:15]
	v_add_nc_u32_e32 v10, 7, v85
	v_cndmask_b32_e32 v12, v13, v10, vcc_lo
	v_cndmask_b32_e64 v10, 0, 1, vcc_lo
	s_delay_alu instid0(VALU_DEP_1)
	v_lshrrev_b64 v[10:11], v10, v[14:15]
; %bb.9433:                             ;   in Loop: Header=BB4_7930 Depth=2
	s_and_not1_saveexec_b32 s10, s10
; %bb.9434:                             ;   in Loop: Header=BB4_7930 Depth=2
	v_mov_b64_e32 v[10:11], v[14:15]
	v_bfe_u32 v12, v14, 23, 1
; %bb.9435:                             ;   in Loop: Header=BB4_7930 Depth=2
	s_or_b32 exec_lo, exec_lo, s10
	s_delay_alu instid0(VALU_DEP_2) | instskip(NEXT) | instid1(VALU_DEP_2)
	v_lshrrev_b64 v[10:11], 20, v[10:11]
	v_cmp_gt_i32_e32 vcc_lo, 16, v12
	v_min_i32_e32 v13, 15, v12
	v_cmp_eq_u32_e64 s10, 0, v12
	s_delay_alu instid0(VALU_DEP_2) | instskip(SKIP_1) | instid1(VALU_DEP_2)
	v_dual_cndmask_b32 v11, 0, v11, vcc_lo :: v_dual_lshlrev_b32 v13, 3, v13
	v_cndmask_b32_e32 v10, 7, v10, vcc_lo
	v_and_b32_e32 v13, 0xf8, v13
	s_delay_alu instid0(VALU_DEP_2) | instskip(NEXT) | instid1(VALU_DEP_2)
	v_cmp_eq_u64_e32 vcc_lo, 0, v[10:11]
	v_and_or_b32 v10, v10, 7, v13
	s_and_b32 s10, s10, vcc_lo
	s_delay_alu instid0(VALU_DEP_1) | instid1(SALU_CYCLE_1)
	v_cndmask_b32_e64 v10, v10, 0, s10
	s_delay_alu instid0(VALU_DEP_1)
	v_or_b32_e32 v10, v10, v84
.LBB4_9436:                             ;   in Loop: Header=BB4_7930 Depth=2
	s_or_b32 exec_lo, exec_lo, s28
                                        ; implicit-def: $vgpr84
.LBB4_9437:                             ;   in Loop: Header=BB4_7930 Depth=2
	s_and_not1_saveexec_b32 s10, s27
; %bb.9438:                             ;   in Loop: Header=BB4_7930 Depth=2
	v_or_b32_e32 v10, 0x7e, v84
; %bb.9439:                             ;   in Loop: Header=BB4_7930 Depth=2
	s_or_b32 exec_lo, exec_lo, s10
                                        ; implicit-def: $vgpr12
.LBB4_9440:                             ;   in Loop: Header=BB4_7930 Depth=2
	s_and_not1_saveexec_b32 s10, s26
	s_cbranch_execz .LBB4_7929
; %bb.9441:                             ;   in Loop: Header=BB4_7930 Depth=2
	v_or_b32_e32 v10, 0x7f, v12
	s_branch .LBB4_7929
.LBB4_9442:                             ;   in Loop: Header=BB4_7855 Depth=1
	s_or_b32 exec_lo, exec_lo, s23
.LBB4_9443:                             ;   in Loop: Header=BB4_7855 Depth=1
	s_delay_alu instid0(SALU_CYCLE_1) | instskip(SKIP_4) | instid1(VALU_DEP_2)
	s_or_b32 exec_lo, exec_lo, s11
	v_and_b32_e32 v2, 0x3ffff800, v65
	v_mov_b32_e32 v84, 0
	s_mov_b32 s10, 0
	s_mov_b32 s22, exec_lo
                                        ; implicit-def: $vgpr85
                                        ; implicit-def: $vgpr86
	v_cmpx_ne_u32_e64 v65, v2
	s_cbranch_execz .LBB4_9833
; %bb.9444:                             ;   in Loop: Header=BB4_7855 Depth=1
	v_lshlrev_b32_e32 v3, 5, v67
	v_and_b32_e32 v86, 0x1ff, v65
	v_bfe_u32 v12, v65, 9, 2
	s_mov_b32 s23, exec_lo
	s_delay_alu instid0(VALU_DEP_3) | instskip(NEXT) | instid1(VALU_DEP_3)
	v_sub_nc_u32_e32 v3, v30, v3
	v_cmp_lt_u32_e64 s10, 15, v86
	s_delay_alu instid0(VALU_DEP_2) | instskip(NEXT) | instid1(VALU_DEP_2)
	v_ashrrev_i32_e32 v10, 31, v3
	v_add_co_ci_u32_e64 v12, null, 0, v12, s10
	s_delay_alu instid0(VALU_DEP_2) | instskip(NEXT) | instid1(VALU_DEP_1)
	v_lshrrev_b32_e32 v10, 27, v10
	v_add_nc_u32_e32 v10, v3, v10
	s_delay_alu instid0(VALU_DEP_1) | instskip(NEXT) | instid1(VALU_DEP_1)
	v_and_b32_e32 v11, 0xffffffe0, v10
	v_dual_ashrrev_i32 v10, 5, v10 :: v_dual_sub_nc_u32 v67, v3, v11
	v_and_b32_e32 v11, 0x7ff, v65
	s_delay_alu instid0(VALU_DEP_2) | instskip(NEXT) | instid1(VALU_DEP_1)
	v_dual_sub_nc_u32 v87, v12, v10 :: v_dual_lshlrev_b32 v3, 4, v67
	v_lshl_add_u32 v3, v10, 9, v3
	s_delay_alu instid0(VALU_DEP_1) | instskip(NEXT) | instid1(VALU_DEP_1)
	v_sub_nc_u32_e32 v96, v11, v3
	v_cmpx_lt_i32_e32 15, v96
	s_cbranch_execz .LBB4_9832
; %bb.9445:                             ;   in Loop: Header=BB4_7855 Depth=1
	s_trap 2
	ds_load_b64 v[10:11], v0
	v_add_nc_u32_e32 v80, v3, v2
	s_delay_alu instid0(VALU_DEP_1)
	v_ashrrev_i32_e32 v81, 31, v80
	s_wait_dscnt 0x0
	v_readfirstlane_b32 s26, v10
	v_readfirstlane_b32 s27, v11
	s_and_b32 s11, s26, 7
	s_and_b32 s28, s26, 0x7f
	s_clz_i32_u32 s11, s11
	s_bfe_u32 s24, s26, 0x40003
	s_min_u32 s11, s11, 32
	s_delay_alu instid0(SALU_CYCLE_1)
	s_sub_co_i32 s25, s11, 28
	s_sub_co_i32 s11, 29, s11
	s_cmp_lt_u32 s28, 8
	s_cselect_b32 s11, s11, s24
	s_cselect_b32 s24, s25, 0
	s_lshl_b32 s29, s26, 24
	s_lshl_b64 s[24:25], s[26:27], s24
	s_and_b32 s25, s29, 0x80000000
	s_lshl_b32 s24, s24, 20
	s_lshl_b32 s11, s11, 23
	s_and_b32 s24, s24, 0x700000
	s_add_co_i32 s11, s11, 0x3c000000
	s_or_b32 s24, s24, s25
	s_delay_alu instid0(SALU_CYCLE_1)
	s_or_b32 s11, s11, s24
	s_cmp_lg_u32 s28, 0x7f
	s_mov_b32 s24, 0
	s_cselect_b32 s25, s11, 0x7f800001
	s_and_b32 s26, s26, 0xff
	s_branch .LBB4_9447
.LBB4_9446:                             ;   in Loop: Header=BB4_9447 Depth=2
	s_or_b32 exec_lo, exec_lo, s11
	v_lshl_or_b32 v11, v114, 8, v103
	v_dual_lshlrev_b32 v12, 16, v84 :: v_dual_lshlrev_b32 v13, 24, v85
	v_dual_lshlrev_b32 v85, 24, v10 :: v_dual_sub_nc_u32 v96, v96, v48
	v_lshl_or_b32 v14, v100, 8, v97
	v_lshl_or_b32 v82, v116, 8, v115
	s_delay_alu instid0(VALU_DEP_4)
	v_or3_b32 v11, v11, v12, v13
	v_dual_lshlrev_b32 v12, 16, v101 :: v_dual_lshlrev_b32 v13, 24, v102
	v_dual_lshlrev_b32 v83, 16, v117 :: v_dual_lshlrev_b32 v84, 24, v118
	v_dual_lshlrev_b32 v3, 16, v3 :: v_dual_sub_nc_u32 v87, v87, v16
	v_lshl_or_b32 v2, v2, 8, v119
	v_add_nc_u64_e32 v[20:21], v[70:71], v[80:81]
	v_cmp_gt_i32_e32 vcc_lo, 16, v96
	v_add_nc_u64_e32 v[80:81], v[80:81], v[48:49]
	v_or3_b32 v10, v14, v12, v13
	v_or3_b32 v12, v82, v83, v84
	;; [unrolled: 1-line block ×3, first 2 shown]
	s_or_b32 s24, vcc_lo, s24
	global_store_b128 v[20:21], v[10:13], off th:TH_STORE_NT
	s_wait_xcnt 0x0
	s_and_not1_b32 exec_lo, exec_lo, s24
	s_cbranch_execz .LBB4_9831
.LBB4_9447:                             ;   Parent Loop BB4_7855 Depth=1
                                        ; =>  This Inner Loop Header: Depth=2
	s_cmp_lt_i32 s26, 0x80
	s_cbranch_scc1 .LBB4_9451
; %bb.9448:                             ;   in Loop: Header=BB4_9447 Depth=2
	s_and_b32 s11, 0xffff, s26
	s_delay_alu instid0(SALU_CYCLE_1)
	s_cmp_eq_u32 s11, 0x80
	s_mov_b32 s11, -1
	s_cbranch_scc0 .LBB4_9450
; %bb.9449:                             ;   in Loop: Header=BB4_9447 Depth=2
	s_mov_b32 s11, 0
.LBB4_9450:                             ;   in Loop: Header=BB4_9447 Depth=2
	s_brev_b32 s27, 1
	s_branch .LBB4_9453
.LBB4_9451:                             ;   in Loop: Header=BB4_9447 Depth=2
	s_mov_b32 s11, 0
	s_brev_b32 s27, 1
	s_cbranch_execz .LBB4_9453
; %bb.9452:                             ;   in Loop: Header=BB4_9447 Depth=2
	s_and_b32 s11, 0xffff, s26
	s_mov_b32 s27, 0
	s_cmp_lg_u32 s11, 0
	s_cselect_b32 s11, -1, 0
.LBB4_9453:                             ;   in Loop: Header=BB4_9447 Depth=2
	s_delay_alu instid0(SALU_CYCLE_1)
	s_and_not1_b32 vcc_lo, exec_lo, s11
	s_cbranch_vccnz .LBB4_9455
; %bb.9454:                             ;   in Loop: Header=BB4_9447 Depth=2
	s_mov_b32 s27, s25
.LBB4_9455:                             ;   in Loop: Header=BB4_9447 Depth=2
	v_add_nc_u64_e32 v[2:3], v[68:69], v[80:81]
	s_mov_b32 s11, exec_lo
	global_load_b128 v[10:13], v[2:3], off th:TH_LOAD_NT
	s_wait_xcnt 0x0
	v_mov_b32_e32 v2, 0
	s_wait_loadcnt 0x0
	v_and_b32_e32 v3, 0xff, v10
	s_delay_alu instid0(VALU_DEP_1)
	v_cmpx_ne_u16_e32 0, v3
	s_cbranch_execz .LBB4_9461
; %bb.9456:                             ;   in Loop: Header=BB4_9447 Depth=2
	v_bfrev_b32_e32 v2, 1
	s_mov_b32 s28, exec_lo
	v_cmpx_ne_u16_e32 0x80, v3
	s_cbranch_execz .LBB4_9460
; %bb.9457:                             ;   in Loop: Header=BB4_9447 Depth=2
	v_and_b32_e32 v3, 0x7f, v10
	v_mov_b32_e32 v2, 0x7f800001
	s_mov_b32 s29, exec_lo
	s_delay_alu instid0(VALU_DEP_2)
	v_cmpx_ne_u32_e32 0x7f, v3
	s_cbranch_execz .LBB4_9459
; %bb.9458:                             ;   in Loop: Header=BB4_9447 Depth=2
	v_dual_lshrrev_b32 v14, 3, v3 :: v_dual_bitop2_b32 v2, 7, v10 bitop3:0x40
	v_cmp_gt_u32_e32 vcc_lo, 8, v3
	s_delay_alu instid0(VALU_DEP_2) | instskip(NEXT) | instid1(VALU_DEP_1)
	v_clz_i32_u32_e32 v2, v2
	v_min_u32_e32 v2, 32, v2
	s_delay_alu instid0(VALU_DEP_1) | instskip(SKIP_1) | instid1(VALU_DEP_1)
	v_subrev_nc_u32_e32 v20, 28, v2
	v_sub_nc_u32_e32 v2, 29, v2
	v_dual_cndmask_b32 v14, v14, v2, vcc_lo :: v_dual_cndmask_b32 v2, 0, v20, vcc_lo
	s_delay_alu instid0(VALU_DEP_1) | instskip(NEXT) | instid1(VALU_DEP_2)
	v_lshl_add_u32 v14, v14, 23, 0x3c000000
	v_lshlrev_b64_e32 v[2:3], v2, v[10:11]
	v_lshlrev_b32_e32 v3, 24, v10
	s_delay_alu instid0(VALU_DEP_1) | instskip(NEXT) | instid1(VALU_DEP_3)
	v_and_b32_e32 v3, 0x80000000, v3
	v_lshlrev_b32_e32 v2, 20, v2
	s_delay_alu instid0(VALU_DEP_1) | instskip(NEXT) | instid1(VALU_DEP_1)
	v_and_b32_e32 v2, 0x700000, v2
	v_or3_b32 v2, v2, v3, v14
.LBB4_9459:                             ;   in Loop: Header=BB4_9447 Depth=2
	s_or_b32 exec_lo, exec_lo, s29
.LBB4_9460:                             ;   in Loop: Header=BB4_9447 Depth=2
	s_delay_alu instid0(SALU_CYCLE_1)
	s_or_b32 exec_lo, exec_lo, s28
.LBB4_9461:                             ;   in Loop: Header=BB4_9447 Depth=2
	s_delay_alu instid0(SALU_CYCLE_1) | instskip(NEXT) | instid1(VALU_DEP_1)
	s_or_b32 exec_lo, exec_lo, s11
	v_mul_f32_e32 v3, s27, v2
                                        ; implicit-def: $vgpr97
	s_mov_b32 s11, exec_lo
	s_delay_alu instid0(VALU_DEP_1) | instskip(SKIP_1) | instid1(VALU_DEP_2)
	v_and_b32_e32 v14, 0x7f800000, v3
	v_lshrrev_b32_e32 v2, 24, v3
	v_cmpx_ne_u64_e32 0x7f800000, v[14:15]
	s_xor_b32 s28, exec_lo, s11
	s_cbranch_execz .LBB4_9475
; %bb.9462:                             ;   in Loop: Header=BB4_9447 Depth=2
	v_and_b32_e32 v14, 0x7fffffff, v3
	v_and_b32_e32 v2, 0x80, v2
                                        ; implicit-def: $vgpr97
	s_mov_b32 s11, exec_lo
	s_delay_alu instid0(VALU_DEP_2)
	v_cmpx_gt_u64_e32 0x43e00001, v[14:15]
	s_xor_b32 s29, exec_lo, s11
	s_cbranch_execz .LBB4_9472
; %bb.9463:                             ;   in Loop: Header=BB4_9447 Depth=2
	v_mov_b32_e32 v97, 0
	s_mov_b32 s40, exec_lo
	v_cmpx_ne_u32_e32 0, v3
	s_cbranch_execz .LBB4_9471
; %bb.9464:                             ;   in Loop: Header=BB4_9447 Depth=2
	v_bfe_u32 v97, v3, 23, 8
	v_and_b32_e32 v3, 0x7fffff, v3
	s_delay_alu instid0(VALU_DEP_2) | instskip(SKIP_1) | instid1(VALU_DEP_3)
	v_sub_nc_u32_e32 v14, 0x79, v97
	v_cmp_gt_u32_e32 vcc_lo, 0x7a, v97
	v_or_b32_e32 v82, 0x800000, v3
	s_delay_alu instid0(VALU_DEP_3) | instskip(SKIP_1) | instid1(VALU_DEP_2)
	v_cndmask_b32_e32 v14, 0, v14, vcc_lo
	v_cmp_eq_u32_e32 vcc_lo, 0, v97
	v_cndmask_b32_e64 v98, v14, 0x78, vcc_lo
	s_delay_alu instid0(VALU_DEP_1) | instskip(NEXT) | instid1(VALU_DEP_1)
	v_dual_add_nc_u32 v14, 20, v98 :: v_dual_add_nc_u32 v83, 19, v98
	v_lshlrev_b64_e64 v[20:21], v14, -1
	v_cndmask_b32_e32 v14, v82, v3, vcc_lo
	s_delay_alu instid0(VALU_DEP_3) | instskip(NEXT) | instid1(VALU_DEP_2)
	v_lshlrev_b64_e64 v[84:85], v83, 1
	v_lshrrev_b64 v[82:83], v98, v[14:15]
	s_delay_alu instid0(VALU_DEP_4) | instskip(SKIP_1) | instid1(VALU_DEP_1)
	v_bfi_b32 v21, v21, 0, 0
	v_bfi_b32 v20, v20, 0, v14
	v_cmp_eq_u64_e64 s11, v[20:21], v[84:85]
	s_delay_alu instid0(VALU_DEP_4)
	v_mov_b64_e32 v[84:85], v[82:83]
	s_and_saveexec_b32 s41, s11
; %bb.9465:                             ;   in Loop: Header=BB4_9447 Depth=2
	v_bfe_u32 v14, v82, 20, 1
	s_delay_alu instid0(VALU_DEP_1) | instskip(NEXT) | instid1(VALU_DEP_1)
	v_add_nc_u64_e32 v[20:21], v[82:83], v[14:15]
	v_add_nc_u64_e32 v[84:85], -1, v[20:21]
; %bb.9466:                             ;   in Loop: Header=BB4_9447 Depth=2
	s_or_b32 exec_lo, exec_lo, s41
	v_add_nc_u32_e32 v3, 0xffffff81, v97
	v_lshrrev_b32_e32 v14, 23, v82
	s_mov_b32 s11, exec_lo
	s_delay_alu instid0(VALU_DEP_2) | instskip(NEXT) | instid1(VALU_DEP_1)
	v_cndmask_b32_e64 v3, v3, 0xffffff82, vcc_lo
	v_add3_u32 v85, v98, v3, v14
	v_and_b32_e32 v3, 0xfffff, v84
	s_delay_alu instid0(VALU_DEP_1) | instskip(NEXT) | instid1(VALU_DEP_1)
	v_dual_add_nc_u32 v84, 6, v85 :: v_dual_add_nc_u32 v14, v3, v82
                                        ; implicit-def: $vgpr82_vgpr83
                                        ; implicit-def: $vgpr3
	v_cmpx_ne_u32_e32 0, v84
	s_xor_b32 s11, exec_lo, s11
; %bb.9467:                             ;   in Loop: Header=BB4_9447 Depth=2
	s_delay_alu instid0(VALU_DEP_2) | instskip(SKIP_2) | instid1(VALU_DEP_2)
	v_cmp_lt_u64_e32 vcc_lo, 0xffffff, v[14:15]
	v_add_nc_u32_e32 v3, 7, v85
	v_cndmask_b32_e64 v20, 0, 1, vcc_lo
	v_cndmask_b32_e32 v3, v84, v3, vcc_lo
	s_delay_alu instid0(VALU_DEP_2)
	v_lshrrev_b64 v[82:83], v20, v[14:15]
; %bb.9468:                             ;   in Loop: Header=BB4_9447 Depth=2
	s_and_not1_saveexec_b32 s11, s11
; %bb.9469:                             ;   in Loop: Header=BB4_9447 Depth=2
	v_mov_b64_e32 v[82:83], v[14:15]
	v_bfe_u32 v3, v14, 23, 1
; %bb.9470:                             ;   in Loop: Header=BB4_9447 Depth=2
	s_or_b32 exec_lo, exec_lo, s11
	s_delay_alu instid0(VALU_DEP_2) | instskip(NEXT) | instid1(VALU_DEP_2)
	v_lshrrev_b64 v[20:21], 20, v[82:83]
	v_cmp_gt_i32_e32 vcc_lo, 16, v3
	v_min_i32_e32 v14, 15, v3
	v_cmp_eq_u32_e64 s11, 0, v3
	s_delay_alu instid0(VALU_DEP_2) | instskip(SKIP_1) | instid1(VALU_DEP_2)
	v_dual_cndmask_b32 v21, 0, v21 :: v_dual_lshlrev_b32 v14, 3, v14
	v_cndmask_b32_e32 v20, 7, v20, vcc_lo
	v_and_b32_e32 v14, 0xf8, v14
	s_delay_alu instid0(VALU_DEP_2) | instskip(NEXT) | instid1(VALU_DEP_2)
	v_cmp_eq_u64_e32 vcc_lo, 0, v[20:21]
	v_and_or_b32 v3, v20, 7, v14
	s_and_b32 s11, s11, vcc_lo
	s_delay_alu instid0(VALU_DEP_1) | instid1(SALU_CYCLE_1)
	v_cndmask_b32_e64 v3, v3, 0, s11
	s_delay_alu instid0(VALU_DEP_1)
	v_or_b32_e32 v97, v3, v2
.LBB4_9471:                             ;   in Loop: Header=BB4_9447 Depth=2
	s_or_b32 exec_lo, exec_lo, s40
                                        ; implicit-def: $vgpr2
.LBB4_9472:                             ;   in Loop: Header=BB4_9447 Depth=2
	s_and_not1_saveexec_b32 s11, s29
; %bb.9473:                             ;   in Loop: Header=BB4_9447 Depth=2
	v_or_b32_e32 v97, 0x7e, v2
; %bb.9474:                             ;   in Loop: Header=BB4_9447 Depth=2
	s_or_b32 exec_lo, exec_lo, s11
                                        ; implicit-def: $vgpr2
.LBB4_9475:                             ;   in Loop: Header=BB4_9447 Depth=2
	s_and_not1_saveexec_b32 s11, s28
; %bb.9476:                             ;   in Loop: Header=BB4_9447 Depth=2
	v_or_b32_e32 v97, 0x7f, v2
; %bb.9477:                             ;   in Loop: Header=BB4_9447 Depth=2
	s_or_b32 exec_lo, exec_lo, s11
	v_lshrrev_b16 v3, 8, v10
	v_mov_b32_e32 v2, 0
	s_mov_b32 s11, exec_lo
	s_delay_alu instid0(VALU_DEP_2)
	v_cmpx_ne_u16_e32 0, v3
	s_cbranch_execz .LBB4_9485
; %bb.9478:                             ;   in Loop: Header=BB4_9447 Depth=2
	v_bfrev_b32_e32 v2, 1
	s_mov_b32 s28, exec_lo
	v_cmpx_ne_u16_e32 0x80, v3
	s_cbranch_execz .LBB4_9484
; %bb.9479:                             ;   in Loop: Header=BB4_9447 Depth=2
	v_and_b32_e32 v14, 0xffff, v3
	v_mov_b32_e32 v2, 0x7f800001
	s_mov_b32 s29, exec_lo
	s_delay_alu instid0(VALU_DEP_2) | instskip(NEXT) | instid1(VALU_DEP_1)
	v_and_b32_e32 v3, 0x7f, v14
	v_cmpx_ne_u32_e32 0x7f, v3
	s_cbranch_execz .LBB4_9483
; %bb.9480:                             ;   in Loop: Header=BB4_9447 Depth=2
	v_dual_lshrrev_b32 v2, 3, v3 :: v_dual_bitop2_b32 v14, 7, v14 bitop3:0x40
	s_mov_b32 s40, exec_lo
	v_cmpx_gt_u32_e32 8, v3
; %bb.9481:                             ;   in Loop: Header=BB4_9447 Depth=2
	s_delay_alu instid0(VALU_DEP_2) | instskip(NEXT) | instid1(VALU_DEP_1)
	v_clz_i32_u32_e32 v2, v14
	v_min_u32_e32 v2, 32, v2
	s_delay_alu instid0(VALU_DEP_1) | instskip(NEXT) | instid1(VALU_DEP_1)
	v_subrev_nc_u32_e32 v3, 28, v2
	v_lshlrev_b64_e32 v[20:21], v3, v[14:15]
	s_delay_alu instid0(VALU_DEP_1)
	v_dual_sub_nc_u32 v2, 29, v2 :: v_dual_bitop2_b32 v14, 7, v20 bitop3:0x40
; %bb.9482:                             ;   in Loop: Header=BB4_9447 Depth=2
	s_or_b32 exec_lo, exec_lo, s40
	v_lshlrev_b32_e32 v3, 16, v10
	s_delay_alu instid0(VALU_DEP_2) | instskip(NEXT) | instid1(VALU_DEP_3)
	v_lshlrev_b32_e32 v14, 20, v14
	v_lshl_add_u32 v2, v2, 23, 0x3c000000
	s_delay_alu instid0(VALU_DEP_3) | instskip(NEXT) | instid1(VALU_DEP_1)
	v_and_b32_e32 v3, 0x80000000, v3
	v_or3_b32 v2, v14, v3, v2
.LBB4_9483:                             ;   in Loop: Header=BB4_9447 Depth=2
	s_or_b32 exec_lo, exec_lo, s29
.LBB4_9484:                             ;   in Loop: Header=BB4_9447 Depth=2
	s_delay_alu instid0(SALU_CYCLE_1)
	s_or_b32 exec_lo, exec_lo, s28
.LBB4_9485:                             ;   in Loop: Header=BB4_9447 Depth=2
	s_delay_alu instid0(SALU_CYCLE_1) | instskip(NEXT) | instid1(VALU_DEP_1)
	s_or_b32 exec_lo, exec_lo, s11
	v_mul_f32_e32 v3, s27, v2
                                        ; implicit-def: $vgpr100
	s_mov_b32 s11, exec_lo
	s_delay_alu instid0(VALU_DEP_1) | instskip(SKIP_1) | instid1(VALU_DEP_2)
	v_and_b32_e32 v14, 0x7f800000, v3
	v_lshrrev_b32_e32 v2, 24, v3
	v_cmpx_ne_u64_e32 0x7f800000, v[14:15]
	s_xor_b32 s28, exec_lo, s11
	s_cbranch_execz .LBB4_9499
; %bb.9486:                             ;   in Loop: Header=BB4_9447 Depth=2
	v_and_b32_e32 v14, 0x7fffffff, v3
	v_and_b32_e32 v2, 0x80, v2
                                        ; implicit-def: $vgpr100
	s_mov_b32 s11, exec_lo
	s_delay_alu instid0(VALU_DEP_2)
	v_cmpx_gt_u64_e32 0x43e00001, v[14:15]
	s_xor_b32 s29, exec_lo, s11
	s_cbranch_execz .LBB4_9496
; %bb.9487:                             ;   in Loop: Header=BB4_9447 Depth=2
	v_mov_b32_e32 v100, 0
	s_mov_b32 s40, exec_lo
	v_cmpx_ne_u32_e32 0, v3
	s_cbranch_execz .LBB4_9495
; %bb.9488:                             ;   in Loop: Header=BB4_9447 Depth=2
	v_bfe_u32 v98, v3, 23, 8
	v_and_b32_e32 v3, 0x7fffff, v3
	s_delay_alu instid0(VALU_DEP_2) | instskip(SKIP_1) | instid1(VALU_DEP_3)
	v_sub_nc_u32_e32 v14, 0x79, v98
	v_cmp_gt_u32_e32 vcc_lo, 0x7a, v98
	v_or_b32_e32 v82, 0x800000, v3
	s_delay_alu instid0(VALU_DEP_3) | instskip(SKIP_1) | instid1(VALU_DEP_2)
	v_cndmask_b32_e32 v14, 0, v14, vcc_lo
	v_cmp_eq_u32_e32 vcc_lo, 0, v98
	v_cndmask_b32_e64 v100, v14, 0x78, vcc_lo
	s_delay_alu instid0(VALU_DEP_1) | instskip(NEXT) | instid1(VALU_DEP_1)
	v_dual_add_nc_u32 v14, 20, v100 :: v_dual_add_nc_u32 v83, 19, v100
	v_lshlrev_b64_e64 v[20:21], v14, -1
	v_cndmask_b32_e32 v14, v82, v3, vcc_lo
	s_delay_alu instid0(VALU_DEP_3) | instskip(NEXT) | instid1(VALU_DEP_2)
	v_lshlrev_b64_e64 v[84:85], v83, 1
	v_lshrrev_b64 v[82:83], v100, v[14:15]
	s_delay_alu instid0(VALU_DEP_4) | instskip(SKIP_1) | instid1(VALU_DEP_1)
	v_bfi_b32 v21, v21, 0, 0
	v_bfi_b32 v20, v20, 0, v14
	v_cmp_eq_u64_e64 s11, v[20:21], v[84:85]
	s_delay_alu instid0(VALU_DEP_4)
	v_mov_b64_e32 v[84:85], v[82:83]
	s_and_saveexec_b32 s41, s11
; %bb.9489:                             ;   in Loop: Header=BB4_9447 Depth=2
	v_bfe_u32 v14, v82, 20, 1
	s_delay_alu instid0(VALU_DEP_1) | instskip(NEXT) | instid1(VALU_DEP_1)
	v_add_nc_u64_e32 v[20:21], v[82:83], v[14:15]
	v_add_nc_u64_e32 v[84:85], -1, v[20:21]
; %bb.9490:                             ;   in Loop: Header=BB4_9447 Depth=2
	s_or_b32 exec_lo, exec_lo, s41
	v_add_nc_u32_e32 v3, 0xffffff81, v98
	v_lshrrev_b32_e32 v14, 23, v82
	s_mov_b32 s11, exec_lo
	s_delay_alu instid0(VALU_DEP_2) | instskip(NEXT) | instid1(VALU_DEP_1)
	v_cndmask_b32_e64 v3, v3, 0xffffff82, vcc_lo
	v_add3_u32 v85, v100, v3, v14
	v_and_b32_e32 v3, 0xfffff, v84
	s_delay_alu instid0(VALU_DEP_1) | instskip(NEXT) | instid1(VALU_DEP_1)
	v_dual_add_nc_u32 v84, 6, v85 :: v_dual_add_nc_u32 v14, v3, v82
                                        ; implicit-def: $vgpr82_vgpr83
                                        ; implicit-def: $vgpr3
	v_cmpx_ne_u32_e32 0, v84
	s_xor_b32 s11, exec_lo, s11
; %bb.9491:                             ;   in Loop: Header=BB4_9447 Depth=2
	s_delay_alu instid0(VALU_DEP_2) | instskip(SKIP_2) | instid1(VALU_DEP_2)
	v_cmp_lt_u64_e32 vcc_lo, 0xffffff, v[14:15]
	v_add_nc_u32_e32 v3, 7, v85
	v_cndmask_b32_e64 v20, 0, 1, vcc_lo
	v_cndmask_b32_e32 v3, v84, v3, vcc_lo
	s_delay_alu instid0(VALU_DEP_2)
	v_lshrrev_b64 v[82:83], v20, v[14:15]
; %bb.9492:                             ;   in Loop: Header=BB4_9447 Depth=2
	s_and_not1_saveexec_b32 s11, s11
; %bb.9493:                             ;   in Loop: Header=BB4_9447 Depth=2
	v_mov_b64_e32 v[82:83], v[14:15]
	v_bfe_u32 v3, v14, 23, 1
; %bb.9494:                             ;   in Loop: Header=BB4_9447 Depth=2
	s_or_b32 exec_lo, exec_lo, s11
	s_delay_alu instid0(VALU_DEP_2) | instskip(NEXT) | instid1(VALU_DEP_2)
	v_lshrrev_b64 v[20:21], 20, v[82:83]
	v_cmp_gt_i32_e32 vcc_lo, 16, v3
	v_min_i32_e32 v14, 15, v3
	v_cmp_eq_u32_e64 s11, 0, v3
	s_delay_alu instid0(VALU_DEP_2) | instskip(SKIP_1) | instid1(VALU_DEP_2)
	v_dual_cndmask_b32 v21, 0, v21 :: v_dual_lshlrev_b32 v14, 3, v14
	v_cndmask_b32_e32 v20, 7, v20, vcc_lo
	v_and_b32_e32 v14, 0xf8, v14
	s_delay_alu instid0(VALU_DEP_2) | instskip(NEXT) | instid1(VALU_DEP_2)
	v_cmp_eq_u64_e32 vcc_lo, 0, v[20:21]
	v_and_or_b32 v3, v20, 7, v14
	s_and_b32 s11, s11, vcc_lo
	s_delay_alu instid0(VALU_DEP_1) | instid1(SALU_CYCLE_1)
	v_cndmask_b32_e64 v3, v3, 0, s11
	s_delay_alu instid0(VALU_DEP_1)
	v_or_b32_e32 v100, v3, v2
.LBB4_9495:                             ;   in Loop: Header=BB4_9447 Depth=2
	s_or_b32 exec_lo, exec_lo, s40
                                        ; implicit-def: $vgpr2
.LBB4_9496:                             ;   in Loop: Header=BB4_9447 Depth=2
	s_and_not1_saveexec_b32 s11, s29
; %bb.9497:                             ;   in Loop: Header=BB4_9447 Depth=2
	v_or_b32_e32 v100, 0x7e, v2
; %bb.9498:                             ;   in Loop: Header=BB4_9447 Depth=2
	s_or_b32 exec_lo, exec_lo, s11
                                        ; implicit-def: $vgpr2
.LBB4_9499:                             ;   in Loop: Header=BB4_9447 Depth=2
	s_and_not1_saveexec_b32 s11, s28
; %bb.9500:                             ;   in Loop: Header=BB4_9447 Depth=2
	v_or_b32_e32 v100, 0x7f, v2
; %bb.9501:                             ;   in Loop: Header=BB4_9447 Depth=2
	s_or_b32 exec_lo, exec_lo, s11
	v_dual_mov_b32 v3, 0 :: v_dual_lshrrev_b32 v2, 16, v10
	s_mov_b32 s11, exec_lo
	s_delay_alu instid0(VALU_DEP_1) | instskip(NEXT) | instid1(VALU_DEP_1)
	v_and_b32_e32 v14, 0xff, v2
	v_cmpx_ne_u16_e32 0, v14
	s_cbranch_execz .LBB4_9509
; %bb.9502:                             ;   in Loop: Header=BB4_9447 Depth=2
	v_bfrev_b32_e32 v3, 1
	s_mov_b32 s28, exec_lo
	v_cmpx_ne_u16_e32 0x80, v14
	s_cbranch_execz .LBB4_9508
; %bb.9503:                             ;   in Loop: Header=BB4_9447 Depth=2
	v_bfe_u32 v82, v10, 16, 7
	v_mov_b32_e32 v3, 0x7f800001
	s_mov_b32 s29, exec_lo
	s_delay_alu instid0(VALU_DEP_2)
	v_cmpx_ne_u32_e32 0x7f, v82
	s_cbranch_execz .LBB4_9507
; %bb.9504:                             ;   in Loop: Header=BB4_9447 Depth=2
	v_and_b32_e32 v14, 7, v2
	v_lshrrev_b32_e32 v3, 3, v82
	s_mov_b32 s40, exec_lo
	v_cmpx_gt_u32_e32 8, v82
; %bb.9505:                             ;   in Loop: Header=BB4_9447 Depth=2
	s_delay_alu instid0(VALU_DEP_3) | instskip(NEXT) | instid1(VALU_DEP_1)
	v_clz_i32_u32_e32 v3, v14
	v_min_u32_e32 v3, 32, v3
	s_delay_alu instid0(VALU_DEP_1) | instskip(NEXT) | instid1(VALU_DEP_1)
	v_subrev_nc_u32_e32 v20, 28, v3
	v_lshlrev_b64_e32 v[20:21], v20, v[14:15]
	s_delay_alu instid0(VALU_DEP_1)
	v_dual_sub_nc_u32 v3, 29, v3 :: v_dual_bitop2_b32 v14, 7, v20 bitop3:0x40
; %bb.9506:                             ;   in Loop: Header=BB4_9447 Depth=2
	s_or_b32 exec_lo, exec_lo, s40
	v_lshlrev_b32_e32 v2, 24, v2
	s_delay_alu instid0(VALU_DEP_2) | instskip(NEXT) | instid1(VALU_DEP_3)
	v_lshlrev_b32_e32 v14, 20, v14
	v_lshl_add_u32 v3, v3, 23, 0x3c000000
	s_delay_alu instid0(VALU_DEP_3) | instskip(NEXT) | instid1(VALU_DEP_1)
	v_and_b32_e32 v2, 0x80000000, v2
	v_or3_b32 v3, v14, v2, v3
.LBB4_9507:                             ;   in Loop: Header=BB4_9447 Depth=2
	s_or_b32 exec_lo, exec_lo, s29
.LBB4_9508:                             ;   in Loop: Header=BB4_9447 Depth=2
	s_delay_alu instid0(SALU_CYCLE_1)
	s_or_b32 exec_lo, exec_lo, s28
.LBB4_9509:                             ;   in Loop: Header=BB4_9447 Depth=2
	s_delay_alu instid0(SALU_CYCLE_1) | instskip(NEXT) | instid1(VALU_DEP_1)
	s_or_b32 exec_lo, exec_lo, s11
	v_mul_f32_e32 v3, s27, v3
                                        ; implicit-def: $vgpr101
	s_mov_b32 s11, exec_lo
	s_delay_alu instid0(VALU_DEP_1) | instskip(SKIP_1) | instid1(VALU_DEP_2)
	v_and_b32_e32 v14, 0x7f800000, v3
	v_lshrrev_b32_e32 v2, 24, v3
	v_cmpx_ne_u64_e32 0x7f800000, v[14:15]
	s_xor_b32 s28, exec_lo, s11
	s_cbranch_execz .LBB4_9523
; %bb.9510:                             ;   in Loop: Header=BB4_9447 Depth=2
	v_and_b32_e32 v14, 0x7fffffff, v3
	v_and_b32_e32 v2, 0x80, v2
                                        ; implicit-def: $vgpr101
	s_mov_b32 s11, exec_lo
	s_delay_alu instid0(VALU_DEP_2)
	v_cmpx_gt_u64_e32 0x43e00001, v[14:15]
	s_xor_b32 s29, exec_lo, s11
	s_cbranch_execz .LBB4_9520
; %bb.9511:                             ;   in Loop: Header=BB4_9447 Depth=2
	v_mov_b32_e32 v101, 0
	s_mov_b32 s40, exec_lo
	v_cmpx_ne_u32_e32 0, v3
	s_cbranch_execz .LBB4_9519
; %bb.9512:                             ;   in Loop: Header=BB4_9447 Depth=2
	v_bfe_u32 v98, v3, 23, 8
	v_and_b32_e32 v3, 0x7fffff, v3
	s_delay_alu instid0(VALU_DEP_2) | instskip(SKIP_1) | instid1(VALU_DEP_3)
	v_sub_nc_u32_e32 v14, 0x79, v98
	v_cmp_gt_u32_e32 vcc_lo, 0x7a, v98
	v_or_b32_e32 v82, 0x800000, v3
	s_delay_alu instid0(VALU_DEP_3) | instskip(SKIP_1) | instid1(VALU_DEP_2)
	v_cndmask_b32_e32 v14, 0, v14, vcc_lo
	v_cmp_eq_u32_e32 vcc_lo, 0, v98
	v_cndmask_b32_e64 v101, v14, 0x78, vcc_lo
	s_delay_alu instid0(VALU_DEP_1) | instskip(NEXT) | instid1(VALU_DEP_1)
	v_dual_add_nc_u32 v14, 20, v101 :: v_dual_add_nc_u32 v83, 19, v101
	v_lshlrev_b64_e64 v[20:21], v14, -1
	v_cndmask_b32_e32 v14, v82, v3, vcc_lo
	s_delay_alu instid0(VALU_DEP_3) | instskip(NEXT) | instid1(VALU_DEP_2)
	v_lshlrev_b64_e64 v[84:85], v83, 1
	v_lshrrev_b64 v[82:83], v101, v[14:15]
	s_delay_alu instid0(VALU_DEP_4) | instskip(SKIP_1) | instid1(VALU_DEP_1)
	v_bfi_b32 v21, v21, 0, 0
	v_bfi_b32 v20, v20, 0, v14
	v_cmp_eq_u64_e64 s11, v[20:21], v[84:85]
	s_delay_alu instid0(VALU_DEP_4)
	v_mov_b64_e32 v[84:85], v[82:83]
	s_and_saveexec_b32 s41, s11
; %bb.9513:                             ;   in Loop: Header=BB4_9447 Depth=2
	v_bfe_u32 v14, v82, 20, 1
	s_delay_alu instid0(VALU_DEP_1) | instskip(NEXT) | instid1(VALU_DEP_1)
	v_add_nc_u64_e32 v[20:21], v[82:83], v[14:15]
	v_add_nc_u64_e32 v[84:85], -1, v[20:21]
; %bb.9514:                             ;   in Loop: Header=BB4_9447 Depth=2
	s_or_b32 exec_lo, exec_lo, s41
	v_add_nc_u32_e32 v3, 0xffffff81, v98
	v_lshrrev_b32_e32 v14, 23, v82
	s_mov_b32 s11, exec_lo
	s_delay_alu instid0(VALU_DEP_2) | instskip(NEXT) | instid1(VALU_DEP_1)
	v_cndmask_b32_e64 v3, v3, 0xffffff82, vcc_lo
	v_add3_u32 v85, v101, v3, v14
	v_and_b32_e32 v3, 0xfffff, v84
	s_delay_alu instid0(VALU_DEP_1) | instskip(NEXT) | instid1(VALU_DEP_1)
	v_dual_add_nc_u32 v84, 6, v85 :: v_dual_add_nc_u32 v14, v3, v82
                                        ; implicit-def: $vgpr82_vgpr83
                                        ; implicit-def: $vgpr3
	v_cmpx_ne_u32_e32 0, v84
	s_xor_b32 s11, exec_lo, s11
; %bb.9515:                             ;   in Loop: Header=BB4_9447 Depth=2
	s_delay_alu instid0(VALU_DEP_2) | instskip(SKIP_2) | instid1(VALU_DEP_2)
	v_cmp_lt_u64_e32 vcc_lo, 0xffffff, v[14:15]
	v_add_nc_u32_e32 v3, 7, v85
	v_cndmask_b32_e64 v20, 0, 1, vcc_lo
	v_cndmask_b32_e32 v3, v84, v3, vcc_lo
	s_delay_alu instid0(VALU_DEP_2)
	v_lshrrev_b64 v[82:83], v20, v[14:15]
; %bb.9516:                             ;   in Loop: Header=BB4_9447 Depth=2
	s_and_not1_saveexec_b32 s11, s11
; %bb.9517:                             ;   in Loop: Header=BB4_9447 Depth=2
	v_mov_b64_e32 v[82:83], v[14:15]
	v_bfe_u32 v3, v14, 23, 1
; %bb.9518:                             ;   in Loop: Header=BB4_9447 Depth=2
	s_or_b32 exec_lo, exec_lo, s11
	s_delay_alu instid0(VALU_DEP_2) | instskip(NEXT) | instid1(VALU_DEP_2)
	v_lshrrev_b64 v[20:21], 20, v[82:83]
	v_cmp_gt_i32_e32 vcc_lo, 16, v3
	v_min_i32_e32 v14, 15, v3
	v_cmp_eq_u32_e64 s11, 0, v3
	s_delay_alu instid0(VALU_DEP_2) | instskip(SKIP_1) | instid1(VALU_DEP_2)
	v_dual_cndmask_b32 v21, 0, v21 :: v_dual_lshlrev_b32 v14, 3, v14
	v_cndmask_b32_e32 v20, 7, v20, vcc_lo
	v_and_b32_e32 v14, 0xf8, v14
	s_delay_alu instid0(VALU_DEP_2) | instskip(NEXT) | instid1(VALU_DEP_2)
	v_cmp_eq_u64_e32 vcc_lo, 0, v[20:21]
	v_and_or_b32 v3, v20, 7, v14
	s_and_b32 s11, s11, vcc_lo
	s_delay_alu instid0(VALU_DEP_1) | instid1(SALU_CYCLE_1)
	v_cndmask_b32_e64 v3, v3, 0, s11
	s_delay_alu instid0(VALU_DEP_1)
	v_or_b32_e32 v101, v3, v2
.LBB4_9519:                             ;   in Loop: Header=BB4_9447 Depth=2
	s_or_b32 exec_lo, exec_lo, s40
                                        ; implicit-def: $vgpr2
.LBB4_9520:                             ;   in Loop: Header=BB4_9447 Depth=2
	s_and_not1_saveexec_b32 s11, s29
; %bb.9521:                             ;   in Loop: Header=BB4_9447 Depth=2
	v_or_b32_e32 v101, 0x7e, v2
; %bb.9522:                             ;   in Loop: Header=BB4_9447 Depth=2
	s_or_b32 exec_lo, exec_lo, s11
                                        ; implicit-def: $vgpr2
.LBB4_9523:                             ;   in Loop: Header=BB4_9447 Depth=2
	s_and_not1_saveexec_b32 s11, s28
; %bb.9524:                             ;   in Loop: Header=BB4_9447 Depth=2
	v_or_b32_e32 v101, 0x7f, v2
; %bb.9525:                             ;   in Loop: Header=BB4_9447 Depth=2
	s_or_b32 exec_lo, exec_lo, s11
	v_mov_b32_e32 v3, 0
	s_mov_b32 s11, exec_lo
	v_cmpx_lt_u32_e32 0xffffff, v10
	s_cbranch_execz .LBB4_9533
; %bb.9526:                             ;   in Loop: Header=BB4_9447 Depth=2
	v_lshrrev_b32_e32 v2, 24, v10
	v_bfrev_b32_e32 v3, 1
	s_mov_b32 s28, exec_lo
	s_delay_alu instid0(VALU_DEP_2)
	v_cmpx_ne_u32_e32 0x80, v2
	s_cbranch_execz .LBB4_9532
; %bb.9527:                             ;   in Loop: Header=BB4_9447 Depth=2
	v_bfe_u32 v82, v10, 24, 7
	v_mov_b32_e32 v3, 0x7f800001
	s_mov_b32 s29, exec_lo
	s_delay_alu instid0(VALU_DEP_2)
	v_cmpx_ne_u32_e32 0x7f, v82
	s_cbranch_execz .LBB4_9531
; %bb.9528:                             ;   in Loop: Header=BB4_9447 Depth=2
	v_and_b32_e32 v14, 7, v2
	v_lshrrev_b32_e32 v3, 3, v82
	s_mov_b32 s40, exec_lo
	v_cmpx_gt_u32_e32 8, v82
; %bb.9529:                             ;   in Loop: Header=BB4_9447 Depth=2
	s_delay_alu instid0(VALU_DEP_3) | instskip(NEXT) | instid1(VALU_DEP_1)
	v_clz_i32_u32_e32 v3, v14
	v_min_u32_e32 v3, 32, v3
	s_delay_alu instid0(VALU_DEP_1) | instskip(NEXT) | instid1(VALU_DEP_1)
	v_subrev_nc_u32_e32 v20, 28, v3
	v_lshlrev_b64_e32 v[20:21], v20, v[14:15]
	s_delay_alu instid0(VALU_DEP_1)
	v_dual_sub_nc_u32 v3, 29, v3 :: v_dual_bitop2_b32 v14, 7, v20 bitop3:0x40
; %bb.9530:                             ;   in Loop: Header=BB4_9447 Depth=2
	s_or_b32 exec_lo, exec_lo, s40
	v_lshlrev_b32_e32 v2, 24, v2
	s_delay_alu instid0(VALU_DEP_2) | instskip(NEXT) | instid1(VALU_DEP_3)
	v_lshlrev_b32_e32 v14, 20, v14
	v_lshl_add_u32 v3, v3, 23, 0x3c000000
	s_delay_alu instid0(VALU_DEP_3) | instskip(NEXT) | instid1(VALU_DEP_1)
	v_and_b32_e32 v2, 0x80000000, v2
	v_or3_b32 v3, v14, v2, v3
.LBB4_9531:                             ;   in Loop: Header=BB4_9447 Depth=2
	s_or_b32 exec_lo, exec_lo, s29
.LBB4_9532:                             ;   in Loop: Header=BB4_9447 Depth=2
	s_delay_alu instid0(SALU_CYCLE_1)
	s_or_b32 exec_lo, exec_lo, s28
.LBB4_9533:                             ;   in Loop: Header=BB4_9447 Depth=2
	s_delay_alu instid0(SALU_CYCLE_1) | instskip(NEXT) | instid1(VALU_DEP_1)
	s_or_b32 exec_lo, exec_lo, s11
	v_mul_f32_e32 v3, s27, v3
                                        ; implicit-def: $vgpr102
	s_mov_b32 s11, exec_lo
	s_delay_alu instid0(VALU_DEP_1) | instskip(SKIP_1) | instid1(VALU_DEP_2)
	v_and_b32_e32 v14, 0x7f800000, v3
	v_lshrrev_b32_e32 v2, 24, v3
	v_cmpx_ne_u64_e32 0x7f800000, v[14:15]
	s_xor_b32 s28, exec_lo, s11
	s_cbranch_execz .LBB4_9547
; %bb.9534:                             ;   in Loop: Header=BB4_9447 Depth=2
	v_and_b32_e32 v14, 0x7fffffff, v3
	v_and_b32_e32 v2, 0x80, v2
                                        ; implicit-def: $vgpr102
	s_mov_b32 s11, exec_lo
	s_delay_alu instid0(VALU_DEP_2)
	v_cmpx_gt_u64_e32 0x43e00001, v[14:15]
	s_xor_b32 s29, exec_lo, s11
	s_cbranch_execz .LBB4_9544
; %bb.9535:                             ;   in Loop: Header=BB4_9447 Depth=2
	v_mov_b32_e32 v102, 0
	s_mov_b32 s40, exec_lo
	v_cmpx_ne_u32_e32 0, v3
	s_cbranch_execz .LBB4_9543
; %bb.9536:                             ;   in Loop: Header=BB4_9447 Depth=2
	v_bfe_u32 v98, v3, 23, 8
	v_and_b32_e32 v3, 0x7fffff, v3
	s_delay_alu instid0(VALU_DEP_2) | instskip(SKIP_1) | instid1(VALU_DEP_3)
	v_sub_nc_u32_e32 v14, 0x79, v98
	v_cmp_gt_u32_e32 vcc_lo, 0x7a, v98
	v_or_b32_e32 v82, 0x800000, v3
	s_delay_alu instid0(VALU_DEP_3) | instskip(SKIP_1) | instid1(VALU_DEP_2)
	v_cndmask_b32_e32 v14, 0, v14, vcc_lo
	v_cmp_eq_u32_e32 vcc_lo, 0, v98
	v_cndmask_b32_e64 v102, v14, 0x78, vcc_lo
	s_delay_alu instid0(VALU_DEP_1) | instskip(NEXT) | instid1(VALU_DEP_1)
	v_dual_add_nc_u32 v14, 20, v102 :: v_dual_add_nc_u32 v83, 19, v102
	v_lshlrev_b64_e64 v[20:21], v14, -1
	v_cndmask_b32_e32 v14, v82, v3, vcc_lo
	s_delay_alu instid0(VALU_DEP_3) | instskip(NEXT) | instid1(VALU_DEP_2)
	v_lshlrev_b64_e64 v[84:85], v83, 1
	v_lshrrev_b64 v[82:83], v102, v[14:15]
	s_delay_alu instid0(VALU_DEP_4) | instskip(SKIP_1) | instid1(VALU_DEP_1)
	v_bfi_b32 v21, v21, 0, 0
	v_bfi_b32 v20, v20, 0, v14
	v_cmp_eq_u64_e64 s11, v[20:21], v[84:85]
	s_delay_alu instid0(VALU_DEP_4)
	v_mov_b64_e32 v[84:85], v[82:83]
	s_and_saveexec_b32 s41, s11
; %bb.9537:                             ;   in Loop: Header=BB4_9447 Depth=2
	v_bfe_u32 v14, v82, 20, 1
	s_delay_alu instid0(VALU_DEP_1) | instskip(NEXT) | instid1(VALU_DEP_1)
	v_add_nc_u64_e32 v[20:21], v[82:83], v[14:15]
	v_add_nc_u64_e32 v[84:85], -1, v[20:21]
; %bb.9538:                             ;   in Loop: Header=BB4_9447 Depth=2
	s_or_b32 exec_lo, exec_lo, s41
	v_add_nc_u32_e32 v3, 0xffffff81, v98
	v_lshrrev_b32_e32 v14, 23, v82
	s_mov_b32 s11, exec_lo
	s_delay_alu instid0(VALU_DEP_2) | instskip(NEXT) | instid1(VALU_DEP_1)
	v_cndmask_b32_e64 v3, v3, 0xffffff82, vcc_lo
	v_add3_u32 v85, v102, v3, v14
	v_and_b32_e32 v3, 0xfffff, v84
	s_delay_alu instid0(VALU_DEP_1) | instskip(NEXT) | instid1(VALU_DEP_1)
	v_dual_add_nc_u32 v84, 6, v85 :: v_dual_add_nc_u32 v14, v3, v82
                                        ; implicit-def: $vgpr82_vgpr83
                                        ; implicit-def: $vgpr3
	v_cmpx_ne_u32_e32 0, v84
	s_xor_b32 s11, exec_lo, s11
; %bb.9539:                             ;   in Loop: Header=BB4_9447 Depth=2
	s_delay_alu instid0(VALU_DEP_2) | instskip(SKIP_2) | instid1(VALU_DEP_2)
	v_cmp_lt_u64_e32 vcc_lo, 0xffffff, v[14:15]
	v_add_nc_u32_e32 v3, 7, v85
	v_cndmask_b32_e64 v20, 0, 1, vcc_lo
	v_cndmask_b32_e32 v3, v84, v3, vcc_lo
	s_delay_alu instid0(VALU_DEP_2)
	v_lshrrev_b64 v[82:83], v20, v[14:15]
; %bb.9540:                             ;   in Loop: Header=BB4_9447 Depth=2
	s_and_not1_saveexec_b32 s11, s11
; %bb.9541:                             ;   in Loop: Header=BB4_9447 Depth=2
	v_mov_b64_e32 v[82:83], v[14:15]
	v_bfe_u32 v3, v14, 23, 1
; %bb.9542:                             ;   in Loop: Header=BB4_9447 Depth=2
	s_or_b32 exec_lo, exec_lo, s11
	s_delay_alu instid0(VALU_DEP_2) | instskip(NEXT) | instid1(VALU_DEP_2)
	v_lshrrev_b64 v[20:21], 20, v[82:83]
	v_cmp_gt_i32_e32 vcc_lo, 16, v3
	v_min_i32_e32 v14, 15, v3
	v_cmp_eq_u32_e64 s11, 0, v3
	s_delay_alu instid0(VALU_DEP_2) | instskip(SKIP_1) | instid1(VALU_DEP_2)
	v_dual_cndmask_b32 v21, 0, v21 :: v_dual_lshlrev_b32 v14, 3, v14
	v_cndmask_b32_e32 v20, 7, v20, vcc_lo
	v_and_b32_e32 v14, 0xf8, v14
	s_delay_alu instid0(VALU_DEP_2) | instskip(NEXT) | instid1(VALU_DEP_2)
	v_cmp_eq_u64_e32 vcc_lo, 0, v[20:21]
	v_and_or_b32 v3, v20, 7, v14
	s_and_b32 s11, s11, vcc_lo
	s_delay_alu instid0(VALU_DEP_1) | instid1(SALU_CYCLE_1)
	v_cndmask_b32_e64 v3, v3, 0, s11
	s_delay_alu instid0(VALU_DEP_1)
	v_or_b32_e32 v102, v3, v2
.LBB4_9543:                             ;   in Loop: Header=BB4_9447 Depth=2
	s_or_b32 exec_lo, exec_lo, s40
                                        ; implicit-def: $vgpr2
.LBB4_9544:                             ;   in Loop: Header=BB4_9447 Depth=2
	s_and_not1_saveexec_b32 s11, s29
; %bb.9545:                             ;   in Loop: Header=BB4_9447 Depth=2
	v_or_b32_e32 v102, 0x7e, v2
; %bb.9546:                             ;   in Loop: Header=BB4_9447 Depth=2
	s_or_b32 exec_lo, exec_lo, s11
                                        ; implicit-def: $vgpr2
.LBB4_9547:                             ;   in Loop: Header=BB4_9447 Depth=2
	s_and_not1_saveexec_b32 s11, s28
; %bb.9548:                             ;   in Loop: Header=BB4_9447 Depth=2
	v_or_b32_e32 v102, 0x7f, v2
; %bb.9549:                             ;   in Loop: Header=BB4_9447 Depth=2
	s_or_b32 exec_lo, exec_lo, s11
	v_and_b32_e32 v3, 0xff, v11
	v_dual_mov_b32 v14, v11 :: v_dual_mov_b32 v2, 0
	s_mov_b32 s11, exec_lo
	s_delay_alu instid0(VALU_DEP_2)
	v_cmpx_ne_u16_e32 0, v3
	s_cbranch_execz .LBB4_9555
; %bb.9550:                             ;   in Loop: Header=BB4_9447 Depth=2
	v_bfrev_b32_e32 v2, 1
	s_mov_b32 s28, exec_lo
	v_cmpx_ne_u16_e32 0x80, v3
	s_cbranch_execz .LBB4_9554
; %bb.9551:                             ;   in Loop: Header=BB4_9447 Depth=2
	v_and_b32_e32 v3, 0x7f, v11
	v_mov_b32_e32 v2, 0x7f800001
	s_mov_b32 s29, exec_lo
	s_delay_alu instid0(VALU_DEP_2)
	v_cmpx_ne_u32_e32 0x7f, v3
	s_cbranch_execz .LBB4_9553
; %bb.9552:                             ;   in Loop: Header=BB4_9447 Depth=2
	v_and_b32_e32 v2, 7, v11
	v_cmp_gt_u32_e32 vcc_lo, 8, v3
	s_delay_alu instid0(VALU_DEP_2) | instskip(NEXT) | instid1(VALU_DEP_1)
	v_clz_i32_u32_e32 v2, v2
	v_min_u32_e32 v2, 32, v2
	v_lshrrev_b32_e32 v20, 3, v3
	s_delay_alu instid0(VALU_DEP_2) | instskip(SKIP_1) | instid1(VALU_DEP_1)
	v_subrev_nc_u32_e32 v21, 28, v2
	v_sub_nc_u32_e32 v2, 29, v2
	v_dual_cndmask_b32 v20, v20, v2, vcc_lo :: v_dual_cndmask_b32 v2, 0, v21, vcc_lo
	s_delay_alu instid0(VALU_DEP_1) | instskip(NEXT) | instid1(VALU_DEP_2)
	v_lshl_add_u32 v20, v20, 23, 0x3c000000
	v_lshlrev_b64_e32 v[2:3], v2, v[14:15]
	v_lshlrev_b32_e32 v3, 24, v14
	s_delay_alu instid0(VALU_DEP_1) | instskip(NEXT) | instid1(VALU_DEP_3)
	v_and_b32_e32 v3, 0x80000000, v3
	v_lshlrev_b32_e32 v2, 20, v2
	s_delay_alu instid0(VALU_DEP_1) | instskip(NEXT) | instid1(VALU_DEP_1)
	v_and_b32_e32 v2, 0x700000, v2
	v_or3_b32 v2, v2, v3, v20
.LBB4_9553:                             ;   in Loop: Header=BB4_9447 Depth=2
	s_or_b32 exec_lo, exec_lo, s29
.LBB4_9554:                             ;   in Loop: Header=BB4_9447 Depth=2
	s_delay_alu instid0(SALU_CYCLE_1)
	s_or_b32 exec_lo, exec_lo, s28
.LBB4_9555:                             ;   in Loop: Header=BB4_9447 Depth=2
	s_delay_alu instid0(SALU_CYCLE_1) | instskip(NEXT) | instid1(VALU_DEP_1)
	s_or_b32 exec_lo, exec_lo, s11
	v_dual_mul_f32 v3, s27, v2 :: v_dual_mov_b32 v21, v15
                                        ; implicit-def: $vgpr103
	s_mov_b32 s11, exec_lo
	s_delay_alu instid0(VALU_DEP_1) | instskip(SKIP_1) | instid1(VALU_DEP_2)
	v_and_b32_e32 v20, 0x7f800000, v3
	v_lshrrev_b32_e32 v2, 24, v3
	v_cmpx_ne_u64_e32 0x7f800000, v[20:21]
	s_xor_b32 s28, exec_lo, s11
	s_cbranch_execz .LBB4_9569
; %bb.9556:                             ;   in Loop: Header=BB4_9447 Depth=2
	v_and_b32_e32 v20, 0x7fffffff, v3
	v_mov_b32_e32 v21, v15
	v_and_b32_e32 v2, 0x80, v2
                                        ; implicit-def: $vgpr103
	s_mov_b32 s11, exec_lo
	s_delay_alu instid0(VALU_DEP_2)
	v_cmpx_gt_u64_e32 0x43e00001, v[20:21]
	s_xor_b32 s29, exec_lo, s11
	s_cbranch_execz .LBB4_9566
; %bb.9557:                             ;   in Loop: Header=BB4_9447 Depth=2
	v_mov_b32_e32 v103, 0
	s_mov_b32 s40, exec_lo
	v_cmpx_ne_u32_e32 0, v3
	s_cbranch_execz .LBB4_9565
; %bb.9558:                             ;   in Loop: Header=BB4_9447 Depth=2
	v_bfe_u32 v98, v3, 23, 8
	v_and_b32_e32 v3, 0x7fffff, v3
	s_delay_alu instid0(VALU_DEP_2) | instskip(SKIP_1) | instid1(VALU_DEP_3)
	v_dual_mov_b32 v83, v15 :: v_dual_sub_nc_u32 v20, 0x79, v98
	v_cmp_gt_u32_e32 vcc_lo, 0x7a, v98
	v_or_b32_e32 v82, 0x800000, v3
	s_delay_alu instid0(VALU_DEP_3) | instskip(SKIP_1) | instid1(VALU_DEP_2)
	v_cndmask_b32_e32 v20, 0, v20, vcc_lo
	v_cmp_eq_u32_e32 vcc_lo, 0, v98
	v_cndmask_b32_e64 v103, v20, 0x78, vcc_lo
	s_delay_alu instid0(VALU_DEP_4) | instskip(NEXT) | instid1(VALU_DEP_2)
	v_cndmask_b32_e32 v82, v82, v3, vcc_lo
	v_dual_add_nc_u32 v20, 20, v103 :: v_dual_add_nc_u32 v84, 19, v103
	s_delay_alu instid0(VALU_DEP_1) | instskip(NEXT) | instid1(VALU_DEP_2)
	v_lshlrev_b64_e64 v[20:21], v20, -1
	v_lshlrev_b64_e64 v[84:85], v84, 1
	s_delay_alu instid0(VALU_DEP_2) | instskip(SKIP_1) | instid1(VALU_DEP_4)
	v_bfi_b32 v20, v20, 0, v82
	v_lshrrev_b64 v[82:83], v103, v[82:83]
	v_bfi_b32 v21, v21, 0, 0
	s_delay_alu instid0(VALU_DEP_1) | instskip(NEXT) | instid1(VALU_DEP_3)
	v_cmp_eq_u64_e64 s11, v[20:21], v[84:85]
	v_mov_b64_e32 v[84:85], v[82:83]
	s_and_saveexec_b32 s41, s11
; %bb.9559:                             ;   in Loop: Header=BB4_9447 Depth=2
	v_bfe_u32 v20, v82, 20, 1
	v_mov_b32_e32 v21, v15
	s_delay_alu instid0(VALU_DEP_1) | instskip(NEXT) | instid1(VALU_DEP_1)
	v_add_nc_u64_e32 v[20:21], v[82:83], v[20:21]
	v_add_nc_u64_e32 v[84:85], -1, v[20:21]
; %bb.9560:                             ;   in Loop: Header=BB4_9447 Depth=2
	s_or_b32 exec_lo, exec_lo, s41
	v_add_nc_u32_e32 v3, 0xffffff81, v98
	v_dual_mov_b32 v83, v15 :: v_dual_lshrrev_b32 v20, 23, v82
	s_mov_b32 s11, exec_lo
	s_delay_alu instid0(VALU_DEP_2) | instskip(NEXT) | instid1(VALU_DEP_1)
	v_cndmask_b32_e64 v3, v3, 0xffffff82, vcc_lo
	v_add3_u32 v85, v103, v3, v20
	v_and_b32_e32 v3, 0xfffff, v84
	s_delay_alu instid0(VALU_DEP_1) | instskip(NEXT) | instid1(VALU_DEP_1)
	v_dual_add_nc_u32 v84, 6, v85 :: v_dual_add_nc_u32 v82, v3, v82
                                        ; implicit-def: $vgpr3
	v_cmpx_ne_u32_e32 0, v84
	s_xor_b32 s11, exec_lo, s11
; %bb.9561:                             ;   in Loop: Header=BB4_9447 Depth=2
	s_delay_alu instid0(VALU_DEP_2) | instskip(SKIP_2) | instid1(VALU_DEP_2)
	v_cmp_lt_u64_e32 vcc_lo, 0xffffff, v[82:83]
	v_add_nc_u32_e32 v3, 7, v85
	v_cndmask_b32_e64 v20, 0, 1, vcc_lo
	v_cndmask_b32_e32 v3, v84, v3, vcc_lo
	s_delay_alu instid0(VALU_DEP_2)
	v_lshrrev_b64 v[82:83], v20, v[82:83]
; %bb.9562:                             ;   in Loop: Header=BB4_9447 Depth=2
	s_and_not1_saveexec_b32 s11, s11
; %bb.9563:                             ;   in Loop: Header=BB4_9447 Depth=2
	s_delay_alu instid0(VALU_DEP_1)
	v_bfe_u32 v3, v82, 23, 1
; %bb.9564:                             ;   in Loop: Header=BB4_9447 Depth=2
	s_or_b32 exec_lo, exec_lo, s11
	s_delay_alu instid0(VALU_DEP_2) | instskip(NEXT) | instid1(VALU_DEP_2)
	v_lshrrev_b64 v[20:21], 20, v[82:83]
	v_cmp_gt_i32_e32 vcc_lo, 16, v3
	v_min_i32_e32 v82, 15, v3
	v_cmp_eq_u32_e64 s11, 0, v3
	s_delay_alu instid0(VALU_DEP_2) | instskip(SKIP_1) | instid1(VALU_DEP_2)
	v_dual_cndmask_b32 v21, 0, v21 :: v_dual_lshlrev_b32 v82, 3, v82
	v_cndmask_b32_e32 v20, 7, v20, vcc_lo
	v_and_b32_e32 v82, 0xf8, v82
	s_delay_alu instid0(VALU_DEP_2) | instskip(NEXT) | instid1(VALU_DEP_2)
	v_cmp_eq_u64_e32 vcc_lo, 0, v[20:21]
	v_and_or_b32 v3, v20, 7, v82
	s_and_b32 s11, s11, vcc_lo
	s_delay_alu instid0(VALU_DEP_1) | instid1(SALU_CYCLE_1)
	v_cndmask_b32_e64 v3, v3, 0, s11
	s_delay_alu instid0(VALU_DEP_1)
	v_or_b32_e32 v103, v3, v2
.LBB4_9565:                             ;   in Loop: Header=BB4_9447 Depth=2
	s_or_b32 exec_lo, exec_lo, s40
                                        ; implicit-def: $vgpr2
.LBB4_9566:                             ;   in Loop: Header=BB4_9447 Depth=2
	s_and_not1_saveexec_b32 s11, s29
; %bb.9567:                             ;   in Loop: Header=BB4_9447 Depth=2
	v_or_b32_e32 v103, 0x7e, v2
; %bb.9568:                             ;   in Loop: Header=BB4_9447 Depth=2
	s_or_b32 exec_lo, exec_lo, s11
                                        ; implicit-def: $vgpr2
.LBB4_9569:                             ;   in Loop: Header=BB4_9447 Depth=2
	s_and_not1_saveexec_b32 s11, s28
; %bb.9570:                             ;   in Loop: Header=BB4_9447 Depth=2
	v_or_b32_e32 v103, 0x7f, v2
; %bb.9571:                             ;   in Loop: Header=BB4_9447 Depth=2
	s_or_b32 exec_lo, exec_lo, s11
	v_lshrrev_b16 v3, 8, v14
	v_mov_b32_e32 v2, 0
	s_mov_b32 s11, exec_lo
	s_delay_alu instid0(VALU_DEP_2)
	v_cmpx_ne_u16_e32 0, v3
	s_cbranch_execz .LBB4_9579
; %bb.9572:                             ;   in Loop: Header=BB4_9447 Depth=2
	v_bfrev_b32_e32 v2, 1
	s_mov_b32 s28, exec_lo
	v_cmpx_ne_u16_e32 0x80, v3
	s_cbranch_execz .LBB4_9578
; %bb.9573:                             ;   in Loop: Header=BB4_9447 Depth=2
	v_and_b32_e32 v82, 0xffff, v3
	v_mov_b32_e32 v2, 0x7f800001
	s_mov_b32 s29, exec_lo
	s_delay_alu instid0(VALU_DEP_2) | instskip(NEXT) | instid1(VALU_DEP_1)
	v_and_b32_e32 v3, 0x7f, v82
	v_cmpx_ne_u32_e32 0x7f, v3
	s_cbranch_execz .LBB4_9577
; %bb.9574:                             ;   in Loop: Header=BB4_9447 Depth=2
	v_dual_mov_b32 v83, v15 :: v_dual_bitop2_b32 v82, 7, v82 bitop3:0x40
	v_lshrrev_b32_e32 v2, 3, v3
	s_mov_b32 s40, exec_lo
	v_cmpx_gt_u32_e32 8, v3
; %bb.9575:                             ;   in Loop: Header=BB4_9447 Depth=2
	s_delay_alu instid0(VALU_DEP_3) | instskip(NEXT) | instid1(VALU_DEP_1)
	v_clz_i32_u32_e32 v2, v82
	v_min_u32_e32 v2, 32, v2
	s_delay_alu instid0(VALU_DEP_1) | instskip(NEXT) | instid1(VALU_DEP_1)
	v_subrev_nc_u32_e32 v3, 28, v2
	v_lshlrev_b64_e32 v[20:21], v3, v[82:83]
	s_delay_alu instid0(VALU_DEP_1)
	v_dual_sub_nc_u32 v2, 29, v2 :: v_dual_bitop2_b32 v82, 7, v20 bitop3:0x40
; %bb.9576:                             ;   in Loop: Header=BB4_9447 Depth=2
	s_or_b32 exec_lo, exec_lo, s40
	v_lshlrev_b32_e32 v3, 16, v14
	s_delay_alu instid0(VALU_DEP_2) | instskip(NEXT) | instid1(VALU_DEP_3)
	v_lshlrev_b32_e32 v14, 20, v82
	v_lshl_add_u32 v2, v2, 23, 0x3c000000
	s_delay_alu instid0(VALU_DEP_3) | instskip(NEXT) | instid1(VALU_DEP_1)
	v_and_b32_e32 v3, 0x80000000, v3
	v_or3_b32 v2, v14, v3, v2
.LBB4_9577:                             ;   in Loop: Header=BB4_9447 Depth=2
	s_or_b32 exec_lo, exec_lo, s29
.LBB4_9578:                             ;   in Loop: Header=BB4_9447 Depth=2
	s_delay_alu instid0(SALU_CYCLE_1)
	s_or_b32 exec_lo, exec_lo, s28
.LBB4_9579:                             ;   in Loop: Header=BB4_9447 Depth=2
	s_delay_alu instid0(SALU_CYCLE_1) | instskip(NEXT) | instid1(VALU_DEP_1)
	s_or_b32 exec_lo, exec_lo, s11
	v_mul_f32_e32 v3, s27, v2
                                        ; implicit-def: $vgpr114
	s_mov_b32 s11, exec_lo
	s_delay_alu instid0(VALU_DEP_1) | instskip(SKIP_1) | instid1(VALU_DEP_2)
	v_and_b32_e32 v14, 0x7f800000, v3
	v_lshrrev_b32_e32 v2, 24, v3
	v_cmpx_ne_u64_e32 0x7f800000, v[14:15]
	s_xor_b32 s28, exec_lo, s11
	s_cbranch_execz .LBB4_9593
; %bb.9580:                             ;   in Loop: Header=BB4_9447 Depth=2
	v_and_b32_e32 v14, 0x7fffffff, v3
	v_and_b32_e32 v2, 0x80, v2
                                        ; implicit-def: $vgpr114
	s_mov_b32 s11, exec_lo
	s_delay_alu instid0(VALU_DEP_2)
	v_cmpx_gt_u64_e32 0x43e00001, v[14:15]
	s_xor_b32 s29, exec_lo, s11
	s_cbranch_execz .LBB4_9590
; %bb.9581:                             ;   in Loop: Header=BB4_9447 Depth=2
	v_mov_b32_e32 v114, 0
	s_mov_b32 s40, exec_lo
	v_cmpx_ne_u32_e32 0, v3
	s_cbranch_execz .LBB4_9589
; %bb.9582:                             ;   in Loop: Header=BB4_9447 Depth=2
	v_bfe_u32 v98, v3, 23, 8
	v_and_b32_e32 v3, 0x7fffff, v3
	s_delay_alu instid0(VALU_DEP_2) | instskip(SKIP_1) | instid1(VALU_DEP_3)
	v_sub_nc_u32_e32 v14, 0x79, v98
	v_cmp_gt_u32_e32 vcc_lo, 0x7a, v98
	v_or_b32_e32 v82, 0x800000, v3
	s_delay_alu instid0(VALU_DEP_3) | instskip(SKIP_1) | instid1(VALU_DEP_2)
	v_cndmask_b32_e32 v14, 0, v14, vcc_lo
	v_cmp_eq_u32_e32 vcc_lo, 0, v98
	v_cndmask_b32_e64 v113, v14, 0x78, vcc_lo
	s_delay_alu instid0(VALU_DEP_1) | instskip(NEXT) | instid1(VALU_DEP_1)
	v_dual_add_nc_u32 v14, 20, v113 :: v_dual_add_nc_u32 v83, 19, v113
	v_lshlrev_b64_e64 v[20:21], v14, -1
	v_cndmask_b32_e32 v14, v82, v3, vcc_lo
	s_delay_alu instid0(VALU_DEP_3) | instskip(NEXT) | instid1(VALU_DEP_2)
	v_lshlrev_b64_e64 v[84:85], v83, 1
	v_lshrrev_b64 v[82:83], v113, v[14:15]
	s_delay_alu instid0(VALU_DEP_4) | instskip(SKIP_1) | instid1(VALU_DEP_1)
	v_bfi_b32 v21, v21, 0, 0
	v_bfi_b32 v20, v20, 0, v14
	v_cmp_eq_u64_e64 s11, v[20:21], v[84:85]
	s_delay_alu instid0(VALU_DEP_4)
	v_mov_b64_e32 v[84:85], v[82:83]
	s_and_saveexec_b32 s41, s11
; %bb.9583:                             ;   in Loop: Header=BB4_9447 Depth=2
	v_bfe_u32 v14, v82, 20, 1
	s_delay_alu instid0(VALU_DEP_1) | instskip(NEXT) | instid1(VALU_DEP_1)
	v_add_nc_u64_e32 v[20:21], v[82:83], v[14:15]
	v_add_nc_u64_e32 v[84:85], -1, v[20:21]
; %bb.9584:                             ;   in Loop: Header=BB4_9447 Depth=2
	s_or_b32 exec_lo, exec_lo, s41
	v_add_nc_u32_e32 v3, 0xffffff81, v98
	v_lshrrev_b32_e32 v14, 23, v82
	s_mov_b32 s11, exec_lo
	s_delay_alu instid0(VALU_DEP_2) | instskip(NEXT) | instid1(VALU_DEP_1)
	v_cndmask_b32_e64 v3, v3, 0xffffff82, vcc_lo
	v_add3_u32 v85, v113, v3, v14
	v_and_b32_e32 v3, 0xfffff, v84
	s_delay_alu instid0(VALU_DEP_1) | instskip(NEXT) | instid1(VALU_DEP_1)
	v_dual_add_nc_u32 v84, 6, v85 :: v_dual_add_nc_u32 v14, v3, v82
                                        ; implicit-def: $vgpr82_vgpr83
                                        ; implicit-def: $vgpr3
	v_cmpx_ne_u32_e32 0, v84
	s_xor_b32 s11, exec_lo, s11
; %bb.9585:                             ;   in Loop: Header=BB4_9447 Depth=2
	s_delay_alu instid0(VALU_DEP_2) | instskip(SKIP_2) | instid1(VALU_DEP_2)
	v_cmp_lt_u64_e32 vcc_lo, 0xffffff, v[14:15]
	v_add_nc_u32_e32 v3, 7, v85
	v_cndmask_b32_e64 v20, 0, 1, vcc_lo
	v_cndmask_b32_e32 v3, v84, v3, vcc_lo
	s_delay_alu instid0(VALU_DEP_2)
	v_lshrrev_b64 v[82:83], v20, v[14:15]
; %bb.9586:                             ;   in Loop: Header=BB4_9447 Depth=2
	s_and_not1_saveexec_b32 s11, s11
; %bb.9587:                             ;   in Loop: Header=BB4_9447 Depth=2
	v_mov_b64_e32 v[82:83], v[14:15]
	v_bfe_u32 v3, v14, 23, 1
; %bb.9588:                             ;   in Loop: Header=BB4_9447 Depth=2
	s_or_b32 exec_lo, exec_lo, s11
	s_delay_alu instid0(VALU_DEP_2) | instskip(NEXT) | instid1(VALU_DEP_2)
	v_lshrrev_b64 v[20:21], 20, v[82:83]
	v_cmp_gt_i32_e32 vcc_lo, 16, v3
	v_min_i32_e32 v14, 15, v3
	v_cmp_eq_u32_e64 s11, 0, v3
	s_delay_alu instid0(VALU_DEP_2) | instskip(SKIP_1) | instid1(VALU_DEP_2)
	v_dual_cndmask_b32 v21, 0, v21 :: v_dual_lshlrev_b32 v14, 3, v14
	v_cndmask_b32_e32 v20, 7, v20, vcc_lo
	v_and_b32_e32 v14, 0xf8, v14
	s_delay_alu instid0(VALU_DEP_2) | instskip(NEXT) | instid1(VALU_DEP_2)
	v_cmp_eq_u64_e32 vcc_lo, 0, v[20:21]
	v_and_or_b32 v3, v20, 7, v14
	s_and_b32 s11, s11, vcc_lo
	s_delay_alu instid0(VALU_DEP_1) | instid1(SALU_CYCLE_1)
	v_cndmask_b32_e64 v3, v3, 0, s11
	s_delay_alu instid0(VALU_DEP_1)
	v_or_b32_e32 v114, v3, v2
.LBB4_9589:                             ;   in Loop: Header=BB4_9447 Depth=2
	s_or_b32 exec_lo, exec_lo, s40
                                        ; implicit-def: $vgpr2
.LBB4_9590:                             ;   in Loop: Header=BB4_9447 Depth=2
	s_and_not1_saveexec_b32 s11, s29
; %bb.9591:                             ;   in Loop: Header=BB4_9447 Depth=2
	v_or_b32_e32 v114, 0x7e, v2
; %bb.9592:                             ;   in Loop: Header=BB4_9447 Depth=2
	s_or_b32 exec_lo, exec_lo, s11
                                        ; implicit-def: $vgpr2
.LBB4_9593:                             ;   in Loop: Header=BB4_9447 Depth=2
	s_and_not1_saveexec_b32 s11, s28
; %bb.9594:                             ;   in Loop: Header=BB4_9447 Depth=2
	v_or_b32_e32 v114, 0x7f, v2
; %bb.9595:                             ;   in Loop: Header=BB4_9447 Depth=2
	s_or_b32 exec_lo, exec_lo, s11
	v_dual_mov_b32 v3, 0 :: v_dual_lshrrev_b32 v2, 16, v11
	s_mov_b32 s11, exec_lo
	s_delay_alu instid0(VALU_DEP_1) | instskip(NEXT) | instid1(VALU_DEP_1)
	v_and_b32_e32 v14, 0xff, v2
	v_cmpx_ne_u16_e32 0, v14
	s_cbranch_execz .LBB4_9603
; %bb.9596:                             ;   in Loop: Header=BB4_9447 Depth=2
	v_bfrev_b32_e32 v3, 1
	s_mov_b32 s28, exec_lo
	v_cmpx_ne_u16_e32 0x80, v14
	s_cbranch_execz .LBB4_9602
; %bb.9597:                             ;   in Loop: Header=BB4_9447 Depth=2
	v_bfe_u32 v82, v11, 16, 7
	v_mov_b32_e32 v3, 0x7f800001
	s_mov_b32 s29, exec_lo
	s_delay_alu instid0(VALU_DEP_2)
	v_cmpx_ne_u32_e32 0x7f, v82
	s_cbranch_execz .LBB4_9601
; %bb.9598:                             ;   in Loop: Header=BB4_9447 Depth=2
	v_and_b32_e32 v14, 7, v2
	v_lshrrev_b32_e32 v3, 3, v82
	s_mov_b32 s40, exec_lo
	v_cmpx_gt_u32_e32 8, v82
; %bb.9599:                             ;   in Loop: Header=BB4_9447 Depth=2
	s_delay_alu instid0(VALU_DEP_3) | instskip(NEXT) | instid1(VALU_DEP_1)
	v_clz_i32_u32_e32 v3, v14
	v_min_u32_e32 v3, 32, v3
	s_delay_alu instid0(VALU_DEP_1) | instskip(NEXT) | instid1(VALU_DEP_1)
	v_subrev_nc_u32_e32 v20, 28, v3
	v_lshlrev_b64_e32 v[20:21], v20, v[14:15]
	s_delay_alu instid0(VALU_DEP_1)
	v_dual_sub_nc_u32 v3, 29, v3 :: v_dual_bitop2_b32 v14, 7, v20 bitop3:0x40
; %bb.9600:                             ;   in Loop: Header=BB4_9447 Depth=2
	s_or_b32 exec_lo, exec_lo, s40
	v_lshlrev_b32_e32 v2, 24, v2
	s_delay_alu instid0(VALU_DEP_2) | instskip(NEXT) | instid1(VALU_DEP_3)
	v_lshlrev_b32_e32 v14, 20, v14
	v_lshl_add_u32 v3, v3, 23, 0x3c000000
	s_delay_alu instid0(VALU_DEP_3) | instskip(NEXT) | instid1(VALU_DEP_1)
	v_and_b32_e32 v2, 0x80000000, v2
	v_or3_b32 v3, v14, v2, v3
.LBB4_9601:                             ;   in Loop: Header=BB4_9447 Depth=2
	s_or_b32 exec_lo, exec_lo, s29
.LBB4_9602:                             ;   in Loop: Header=BB4_9447 Depth=2
	s_delay_alu instid0(SALU_CYCLE_1)
	s_or_b32 exec_lo, exec_lo, s28
.LBB4_9603:                             ;   in Loop: Header=BB4_9447 Depth=2
	s_delay_alu instid0(SALU_CYCLE_1) | instskip(NEXT) | instid1(VALU_DEP_1)
	s_or_b32 exec_lo, exec_lo, s11
	v_mul_f32_e32 v3, s27, v3
                                        ; implicit-def: $vgpr84
	s_mov_b32 s11, exec_lo
	s_delay_alu instid0(VALU_DEP_1) | instskip(SKIP_1) | instid1(VALU_DEP_2)
	v_and_b32_e32 v14, 0x7f800000, v3
	v_lshrrev_b32_e32 v2, 24, v3
	v_cmpx_ne_u64_e32 0x7f800000, v[14:15]
	s_xor_b32 s28, exec_lo, s11
	s_cbranch_execz .LBB4_9617
; %bb.9604:                             ;   in Loop: Header=BB4_9447 Depth=2
	v_and_b32_e32 v14, 0x7fffffff, v3
	v_and_b32_e32 v2, 0x80, v2
                                        ; implicit-def: $vgpr84
	s_mov_b32 s11, exec_lo
	s_delay_alu instid0(VALU_DEP_2)
	v_cmpx_gt_u64_e32 0x43e00001, v[14:15]
	s_xor_b32 s29, exec_lo, s11
	s_cbranch_execz .LBB4_9614
; %bb.9605:                             ;   in Loop: Header=BB4_9447 Depth=2
	v_mov_b32_e32 v84, 0
	s_mov_b32 s40, exec_lo
	v_cmpx_ne_u32_e32 0, v3
	s_cbranch_execz .LBB4_9613
; %bb.9606:                             ;   in Loop: Header=BB4_9447 Depth=2
	v_bfe_u32 v98, v3, 23, 8
	v_and_b32_e32 v3, 0x7fffff, v3
	s_delay_alu instid0(VALU_DEP_2) | instskip(SKIP_1) | instid1(VALU_DEP_3)
	v_sub_nc_u32_e32 v14, 0x79, v98
	v_cmp_gt_u32_e32 vcc_lo, 0x7a, v98
	v_or_b32_e32 v82, 0x800000, v3
	s_delay_alu instid0(VALU_DEP_3) | instskip(SKIP_1) | instid1(VALU_DEP_2)
	v_cndmask_b32_e32 v14, 0, v14, vcc_lo
	v_cmp_eq_u32_e32 vcc_lo, 0, v98
	v_cndmask_b32_e64 v113, v14, 0x78, vcc_lo
	s_delay_alu instid0(VALU_DEP_1) | instskip(NEXT) | instid1(VALU_DEP_1)
	v_dual_add_nc_u32 v14, 20, v113 :: v_dual_add_nc_u32 v83, 19, v113
	v_lshlrev_b64_e64 v[20:21], v14, -1
	v_cndmask_b32_e32 v14, v82, v3, vcc_lo
	s_delay_alu instid0(VALU_DEP_3) | instskip(NEXT) | instid1(VALU_DEP_2)
	v_lshlrev_b64_e64 v[84:85], v83, 1
	v_lshrrev_b64 v[82:83], v113, v[14:15]
	s_delay_alu instid0(VALU_DEP_4) | instskip(SKIP_1) | instid1(VALU_DEP_1)
	v_bfi_b32 v21, v21, 0, 0
	v_bfi_b32 v20, v20, 0, v14
	v_cmp_eq_u64_e64 s11, v[20:21], v[84:85]
	s_delay_alu instid0(VALU_DEP_4)
	v_mov_b64_e32 v[84:85], v[82:83]
	s_and_saveexec_b32 s41, s11
; %bb.9607:                             ;   in Loop: Header=BB4_9447 Depth=2
	v_bfe_u32 v14, v82, 20, 1
	s_delay_alu instid0(VALU_DEP_1) | instskip(NEXT) | instid1(VALU_DEP_1)
	v_add_nc_u64_e32 v[20:21], v[82:83], v[14:15]
	v_add_nc_u64_e32 v[84:85], -1, v[20:21]
; %bb.9608:                             ;   in Loop: Header=BB4_9447 Depth=2
	s_or_b32 exec_lo, exec_lo, s41
	v_add_nc_u32_e32 v3, 0xffffff81, v98
	v_lshrrev_b32_e32 v14, 23, v82
	s_mov_b32 s11, exec_lo
	s_delay_alu instid0(VALU_DEP_2) | instskip(NEXT) | instid1(VALU_DEP_1)
	v_cndmask_b32_e64 v3, v3, 0xffffff82, vcc_lo
	v_add3_u32 v85, v113, v3, v14
	v_and_b32_e32 v3, 0xfffff, v84
	s_delay_alu instid0(VALU_DEP_1) | instskip(NEXT) | instid1(VALU_DEP_1)
	v_dual_add_nc_u32 v84, 6, v85 :: v_dual_add_nc_u32 v14, v3, v82
                                        ; implicit-def: $vgpr82_vgpr83
                                        ; implicit-def: $vgpr3
	v_cmpx_ne_u32_e32 0, v84
	s_xor_b32 s11, exec_lo, s11
; %bb.9609:                             ;   in Loop: Header=BB4_9447 Depth=2
	s_delay_alu instid0(VALU_DEP_2) | instskip(SKIP_2) | instid1(VALU_DEP_2)
	v_cmp_lt_u64_e32 vcc_lo, 0xffffff, v[14:15]
	v_add_nc_u32_e32 v3, 7, v85
	v_cndmask_b32_e64 v20, 0, 1, vcc_lo
	v_cndmask_b32_e32 v3, v84, v3, vcc_lo
	s_delay_alu instid0(VALU_DEP_2)
	v_lshrrev_b64 v[82:83], v20, v[14:15]
; %bb.9610:                             ;   in Loop: Header=BB4_9447 Depth=2
	s_and_not1_saveexec_b32 s11, s11
; %bb.9611:                             ;   in Loop: Header=BB4_9447 Depth=2
	v_mov_b64_e32 v[82:83], v[14:15]
	v_bfe_u32 v3, v14, 23, 1
; %bb.9612:                             ;   in Loop: Header=BB4_9447 Depth=2
	s_or_b32 exec_lo, exec_lo, s11
	s_delay_alu instid0(VALU_DEP_2) | instskip(NEXT) | instid1(VALU_DEP_2)
	v_lshrrev_b64 v[20:21], 20, v[82:83]
	v_cmp_gt_i32_e32 vcc_lo, 16, v3
	v_min_i32_e32 v14, 15, v3
	v_cmp_eq_u32_e64 s11, 0, v3
	s_delay_alu instid0(VALU_DEP_2) | instskip(SKIP_1) | instid1(VALU_DEP_2)
	v_dual_cndmask_b32 v21, 0, v21 :: v_dual_lshlrev_b32 v14, 3, v14
	v_cndmask_b32_e32 v20, 7, v20, vcc_lo
	v_and_b32_e32 v14, 0xf8, v14
	s_delay_alu instid0(VALU_DEP_2) | instskip(NEXT) | instid1(VALU_DEP_2)
	v_cmp_eq_u64_e32 vcc_lo, 0, v[20:21]
	v_and_or_b32 v3, v20, 7, v14
	s_and_b32 s11, s11, vcc_lo
	s_delay_alu instid0(VALU_DEP_1) | instid1(SALU_CYCLE_1)
	v_cndmask_b32_e64 v3, v3, 0, s11
	s_delay_alu instid0(VALU_DEP_1)
	v_or_b32_e32 v84, v3, v2
.LBB4_9613:                             ;   in Loop: Header=BB4_9447 Depth=2
	s_or_b32 exec_lo, exec_lo, s40
                                        ; implicit-def: $vgpr2
.LBB4_9614:                             ;   in Loop: Header=BB4_9447 Depth=2
	s_and_not1_saveexec_b32 s11, s29
; %bb.9615:                             ;   in Loop: Header=BB4_9447 Depth=2
	v_or_b32_e32 v84, 0x7e, v2
; %bb.9616:                             ;   in Loop: Header=BB4_9447 Depth=2
	s_or_b32 exec_lo, exec_lo, s11
                                        ; implicit-def: $vgpr2
.LBB4_9617:                             ;   in Loop: Header=BB4_9447 Depth=2
	s_and_not1_saveexec_b32 s11, s28
; %bb.9618:                             ;   in Loop: Header=BB4_9447 Depth=2
	v_or_b32_e32 v84, 0x7f, v2
; %bb.9619:                             ;   in Loop: Header=BB4_9447 Depth=2
	s_or_b32 exec_lo, exec_lo, s11
	v_mov_b32_e32 v3, 0
	s_mov_b32 s11, exec_lo
	v_cmpx_lt_u64_e64 s[12:13], v[10:11]
	s_cbranch_execz .LBB4_9627
; %bb.9620:                             ;   in Loop: Header=BB4_9447 Depth=2
	v_lshrrev_b32_e32 v2, 24, v11
	v_bfrev_b32_e32 v3, 1
	s_mov_b32 s28, exec_lo
	s_delay_alu instid0(VALU_DEP_2)
	v_cmpx_ne_u32_e32 0x80, v2
	s_cbranch_execz .LBB4_9626
; %bb.9621:                             ;   in Loop: Header=BB4_9447 Depth=2
	v_bfe_u32 v10, v11, 24, 7
	v_mov_b32_e32 v3, 0x7f800001
	s_mov_b32 s29, exec_lo
	s_delay_alu instid0(VALU_DEP_2)
	v_cmpx_ne_u32_e32 0x7f, v10
	s_cbranch_execz .LBB4_9625
; %bb.9622:                             ;   in Loop: Header=BB4_9447 Depth=2
	v_and_b32_e32 v14, 7, v2
	v_lshrrev_b32_e32 v3, 3, v10
	s_mov_b32 s40, exec_lo
	v_cmpx_gt_u32_e32 8, v10
; %bb.9623:                             ;   in Loop: Header=BB4_9447 Depth=2
	s_delay_alu instid0(VALU_DEP_3) | instskip(NEXT) | instid1(VALU_DEP_1)
	v_clz_i32_u32_e32 v3, v14
	v_min_u32_e32 v3, 32, v3
	s_delay_alu instid0(VALU_DEP_1) | instskip(NEXT) | instid1(VALU_DEP_1)
	v_subrev_nc_u32_e32 v10, 28, v3
	v_lshlrev_b64_e32 v[10:11], v10, v[14:15]
	s_delay_alu instid0(VALU_DEP_1)
	v_dual_sub_nc_u32 v3, 29, v3 :: v_dual_bitop2_b32 v14, 7, v10 bitop3:0x40
; %bb.9624:                             ;   in Loop: Header=BB4_9447 Depth=2
	s_or_b32 exec_lo, exec_lo, s40
	v_lshlrev_b32_e32 v2, 24, v2
	s_delay_alu instid0(VALU_DEP_2) | instskip(NEXT) | instid1(VALU_DEP_3)
	v_lshlrev_b32_e32 v10, 20, v14
	v_lshl_add_u32 v3, v3, 23, 0x3c000000
	s_delay_alu instid0(VALU_DEP_3) | instskip(NEXT) | instid1(VALU_DEP_1)
	v_and_b32_e32 v2, 0x80000000, v2
	v_or3_b32 v3, v10, v2, v3
.LBB4_9625:                             ;   in Loop: Header=BB4_9447 Depth=2
	s_or_b32 exec_lo, exec_lo, s29
.LBB4_9626:                             ;   in Loop: Header=BB4_9447 Depth=2
	s_delay_alu instid0(SALU_CYCLE_1)
	s_or_b32 exec_lo, exec_lo, s28
.LBB4_9627:                             ;   in Loop: Header=BB4_9447 Depth=2
	s_delay_alu instid0(SALU_CYCLE_1) | instskip(NEXT) | instid1(VALU_DEP_1)
	s_or_b32 exec_lo, exec_lo, s11
	v_mul_f32_e32 v3, s27, v3
                                        ; implicit-def: $vgpr85
	s_mov_b32 s11, exec_lo
	s_delay_alu instid0(VALU_DEP_1) | instskip(SKIP_1) | instid1(VALU_DEP_2)
	v_and_b32_e32 v14, 0x7f800000, v3
	v_lshrrev_b32_e32 v2, 24, v3
	v_cmpx_ne_u64_e32 0x7f800000, v[14:15]
	s_xor_b32 s28, exec_lo, s11
	s_cbranch_execz .LBB4_9641
; %bb.9628:                             ;   in Loop: Header=BB4_9447 Depth=2
	v_and_b32_e32 v14, 0x7fffffff, v3
	v_and_b32_e32 v2, 0x80, v2
                                        ; implicit-def: $vgpr85
	s_mov_b32 s11, exec_lo
	s_delay_alu instid0(VALU_DEP_2)
	v_cmpx_gt_u64_e32 0x43e00001, v[14:15]
	s_xor_b32 s29, exec_lo, s11
	s_cbranch_execz .LBB4_9638
; %bb.9629:                             ;   in Loop: Header=BB4_9447 Depth=2
	v_mov_b32_e32 v85, 0
	s_mov_b32 s40, exec_lo
	v_cmpx_ne_u32_e32 0, v3
	s_cbranch_execz .LBB4_9637
; %bb.9630:                             ;   in Loop: Header=BB4_9447 Depth=2
	v_bfe_u32 v85, v3, 23, 8
	v_and_b32_e32 v3, 0x7fffff, v3
	s_delay_alu instid0(VALU_DEP_2) | instskip(SKIP_1) | instid1(VALU_DEP_3)
	v_sub_nc_u32_e32 v10, 0x79, v85
	v_cmp_gt_u32_e32 vcc_lo, 0x7a, v85
	v_or_b32_e32 v14, 0x800000, v3
	s_delay_alu instid0(VALU_DEP_3) | instskip(SKIP_1) | instid1(VALU_DEP_3)
	v_cndmask_b32_e32 v10, 0, v10, vcc_lo
	v_cmp_eq_u32_e32 vcc_lo, 0, v85
	v_cndmask_b32_e32 v14, v14, v3, vcc_lo
	s_delay_alu instid0(VALU_DEP_3) | instskip(NEXT) | instid1(VALU_DEP_1)
	v_cndmask_b32_e64 v98, v10, 0x78, vcc_lo
	v_dual_add_nc_u32 v10, 20, v98 :: v_dual_add_nc_u32 v20, 19, v98
	s_delay_alu instid0(VALU_DEP_1) | instskip(NEXT) | instid1(VALU_DEP_2)
	v_lshlrev_b64_e64 v[10:11], v10, -1
	v_lshlrev_b64_e64 v[20:21], v20, 1
	s_delay_alu instid0(VALU_DEP_2) | instskip(NEXT) | instid1(VALU_DEP_3)
	v_bfi_b32 v83, v11, 0, 0
	v_bfi_b32 v82, v10, 0, v14
	v_lshrrev_b64 v[10:11], v98, v[14:15]
	s_delay_alu instid0(VALU_DEP_2) | instskip(NEXT) | instid1(VALU_DEP_2)
	v_cmp_eq_u64_e64 s11, v[82:83], v[20:21]
	v_mov_b64_e32 v[82:83], v[10:11]
	s_and_saveexec_b32 s41, s11
; %bb.9631:                             ;   in Loop: Header=BB4_9447 Depth=2
	v_bfe_u32 v14, v10, 20, 1
	s_delay_alu instid0(VALU_DEP_1) | instskip(NEXT) | instid1(VALU_DEP_1)
	v_add_nc_u64_e32 v[20:21], v[10:11], v[14:15]
	v_add_nc_u64_e32 v[82:83], -1, v[20:21]
; %bb.9632:                             ;   in Loop: Header=BB4_9447 Depth=2
	s_or_b32 exec_lo, exec_lo, s41
	v_add_nc_u32_e32 v3, 0xffffff81, v85
	v_lshrrev_b32_e32 v11, 23, v10
	s_mov_b32 s11, exec_lo
	s_delay_alu instid0(VALU_DEP_2) | instskip(NEXT) | instid1(VALU_DEP_1)
	v_cndmask_b32_e64 v3, v3, 0xffffff82, vcc_lo
	v_add3_u32 v83, v98, v3, v11
	v_and_b32_e32 v3, 0xfffff, v82
	s_delay_alu instid0(VALU_DEP_1) | instskip(NEXT) | instid1(VALU_DEP_1)
	v_dual_add_nc_u32 v82, 6, v83 :: v_dual_add_nc_u32 v14, v3, v10
                                        ; implicit-def: $vgpr10_vgpr11
                                        ; implicit-def: $vgpr3
	v_cmpx_ne_u32_e32 0, v82
	s_xor_b32 s11, exec_lo, s11
; %bb.9633:                             ;   in Loop: Header=BB4_9447 Depth=2
	s_delay_alu instid0(VALU_DEP_2) | instskip(SKIP_2) | instid1(VALU_DEP_2)
	v_cmp_lt_u64_e32 vcc_lo, 0xffffff, v[14:15]
	v_add_nc_u32_e32 v3, 7, v83
	v_cndmask_b32_e64 v10, 0, 1, vcc_lo
	v_cndmask_b32_e32 v3, v82, v3, vcc_lo
	s_delay_alu instid0(VALU_DEP_2)
	v_lshrrev_b64 v[10:11], v10, v[14:15]
; %bb.9634:                             ;   in Loop: Header=BB4_9447 Depth=2
	s_and_not1_saveexec_b32 s11, s11
; %bb.9635:                             ;   in Loop: Header=BB4_9447 Depth=2
	v_mov_b64_e32 v[10:11], v[14:15]
	v_bfe_u32 v3, v14, 23, 1
; %bb.9636:                             ;   in Loop: Header=BB4_9447 Depth=2
	s_or_b32 exec_lo, exec_lo, s11
	s_delay_alu instid0(VALU_DEP_2) | instskip(NEXT) | instid1(VALU_DEP_2)
	v_lshrrev_b64 v[10:11], 20, v[10:11]
	v_cmp_gt_i32_e32 vcc_lo, 16, v3
	v_min_i32_e32 v14, 15, v3
	v_cmp_eq_u32_e64 s11, 0, v3
	s_delay_alu instid0(VALU_DEP_4) | instskip(NEXT) | instid1(VALU_DEP_3)
	v_cndmask_b32_e32 v10, 7, v10, vcc_lo
	v_dual_cndmask_b32 v11, 0, v11 :: v_dual_lshlrev_b32 v14, 3, v14
	s_delay_alu instid0(VALU_DEP_1) | instskip(NEXT) | instid1(VALU_DEP_2)
	v_and_b32_e32 v14, 0xf8, v14
	v_cmp_eq_u64_e32 vcc_lo, 0, v[10:11]
	s_delay_alu instid0(VALU_DEP_2)
	v_and_or_b32 v3, v10, 7, v14
	s_and_b32 s11, s11, vcc_lo
	s_delay_alu instid0(VALU_DEP_1) | instid1(SALU_CYCLE_1)
	v_cndmask_b32_e64 v3, v3, 0, s11
	s_delay_alu instid0(VALU_DEP_1)
	v_or_b32_e32 v85, v3, v2
.LBB4_9637:                             ;   in Loop: Header=BB4_9447 Depth=2
	s_or_b32 exec_lo, exec_lo, s40
                                        ; implicit-def: $vgpr2
.LBB4_9638:                             ;   in Loop: Header=BB4_9447 Depth=2
	s_and_not1_saveexec_b32 s11, s29
; %bb.9639:                             ;   in Loop: Header=BB4_9447 Depth=2
	v_or_b32_e32 v85, 0x7e, v2
; %bb.9640:                             ;   in Loop: Header=BB4_9447 Depth=2
	s_or_b32 exec_lo, exec_lo, s11
                                        ; implicit-def: $vgpr2
.LBB4_9641:                             ;   in Loop: Header=BB4_9447 Depth=2
	s_and_not1_saveexec_b32 s11, s28
; %bb.9642:                             ;   in Loop: Header=BB4_9447 Depth=2
	v_or_b32_e32 v85, 0x7f, v2
; %bb.9643:                             ;   in Loop: Header=BB4_9447 Depth=2
	s_or_b32 exec_lo, exec_lo, s11
	v_and_b32_e32 v3, 0xff, v12
	v_mov_b32_e32 v2, 0
	s_mov_b32 s11, exec_lo
	s_delay_alu instid0(VALU_DEP_2)
	v_cmpx_ne_u16_e32 0, v3
	s_cbranch_execz .LBB4_9649
; %bb.9644:                             ;   in Loop: Header=BB4_9447 Depth=2
	v_bfrev_b32_e32 v2, 1
	s_mov_b32 s28, exec_lo
	v_cmpx_ne_u16_e32 0x80, v3
	s_cbranch_execz .LBB4_9648
; %bb.9645:                             ;   in Loop: Header=BB4_9447 Depth=2
	v_and_b32_e32 v3, 0x7f, v12
	v_mov_b32_e32 v2, 0x7f800001
	s_mov_b32 s29, exec_lo
	s_delay_alu instid0(VALU_DEP_2)
	v_cmpx_ne_u32_e32 0x7f, v3
	s_cbranch_execz .LBB4_9647
; %bb.9646:                             ;   in Loop: Header=BB4_9447 Depth=2
	v_dual_lshrrev_b32 v10, 3, v3 :: v_dual_bitop2_b32 v2, 7, v12 bitop3:0x40
	v_cmp_gt_u32_e32 vcc_lo, 8, v3
	s_delay_alu instid0(VALU_DEP_2) | instskip(NEXT) | instid1(VALU_DEP_1)
	v_clz_i32_u32_e32 v2, v2
	v_min_u32_e32 v2, 32, v2
	s_delay_alu instid0(VALU_DEP_1) | instskip(SKIP_1) | instid1(VALU_DEP_1)
	v_subrev_nc_u32_e32 v11, 28, v2
	v_sub_nc_u32_e32 v2, 29, v2
	v_dual_cndmask_b32 v10, v10, v2, vcc_lo :: v_dual_cndmask_b32 v2, 0, v11, vcc_lo
	s_delay_alu instid0(VALU_DEP_1) | instskip(NEXT) | instid1(VALU_DEP_2)
	v_lshl_add_u32 v10, v10, 23, 0x3c000000
	v_lshlrev_b64_e32 v[2:3], v2, v[12:13]
	v_lshlrev_b32_e32 v3, 24, v12
	s_delay_alu instid0(VALU_DEP_1) | instskip(NEXT) | instid1(VALU_DEP_3)
	v_and_b32_e32 v3, 0x80000000, v3
	v_lshlrev_b32_e32 v2, 20, v2
	s_delay_alu instid0(VALU_DEP_1) | instskip(NEXT) | instid1(VALU_DEP_1)
	v_and_b32_e32 v2, 0x700000, v2
	v_or3_b32 v2, v2, v3, v10
.LBB4_9647:                             ;   in Loop: Header=BB4_9447 Depth=2
	s_or_b32 exec_lo, exec_lo, s29
.LBB4_9648:                             ;   in Loop: Header=BB4_9447 Depth=2
	s_delay_alu instid0(SALU_CYCLE_1)
	s_or_b32 exec_lo, exec_lo, s28
.LBB4_9649:                             ;   in Loop: Header=BB4_9447 Depth=2
	s_delay_alu instid0(SALU_CYCLE_1) | instskip(NEXT) | instid1(VALU_DEP_1)
	s_or_b32 exec_lo, exec_lo, s11
	v_mul_f32_e32 v3, s27, v2
                                        ; implicit-def: $vgpr115
	s_mov_b32 s11, exec_lo
	s_delay_alu instid0(VALU_DEP_1) | instskip(SKIP_1) | instid1(VALU_DEP_2)
	v_and_b32_e32 v14, 0x7f800000, v3
	v_lshrrev_b32_e32 v2, 24, v3
	v_cmpx_ne_u64_e32 0x7f800000, v[14:15]
	s_xor_b32 s28, exec_lo, s11
	s_cbranch_execz .LBB4_9663
; %bb.9650:                             ;   in Loop: Header=BB4_9447 Depth=2
	v_and_b32_e32 v14, 0x7fffffff, v3
	v_and_b32_e32 v2, 0x80, v2
                                        ; implicit-def: $vgpr115
	s_mov_b32 s11, exec_lo
	s_delay_alu instid0(VALU_DEP_2)
	v_cmpx_gt_u64_e32 0x43e00001, v[14:15]
	s_xor_b32 s29, exec_lo, s11
	s_cbranch_execz .LBB4_9660
; %bb.9651:                             ;   in Loop: Header=BB4_9447 Depth=2
	v_mov_b32_e32 v115, 0
	s_mov_b32 s40, exec_lo
	v_cmpx_ne_u32_e32 0, v3
	s_cbranch_execz .LBB4_9659
; %bb.9652:                             ;   in Loop: Header=BB4_9447 Depth=2
	v_bfe_u32 v98, v3, 23, 8
	v_and_b32_e32 v3, 0x7fffff, v3
	s_delay_alu instid0(VALU_DEP_2) | instskip(SKIP_1) | instid1(VALU_DEP_3)
	v_sub_nc_u32_e32 v10, 0x79, v98
	v_cmp_gt_u32_e32 vcc_lo, 0x7a, v98
	v_or_b32_e32 v14, 0x800000, v3
	s_delay_alu instid0(VALU_DEP_3) | instskip(SKIP_1) | instid1(VALU_DEP_2)
	v_cndmask_b32_e32 v10, 0, v10, vcc_lo
	v_cmp_eq_u32_e32 vcc_lo, 0, v98
	v_cndmask_b32_e64 v113, v10, 0x78, vcc_lo
	s_delay_alu instid0(VALU_DEP_1) | instskip(SKIP_1) | instid1(VALU_DEP_2)
	v_dual_cndmask_b32 v14, v14, v3, vcc_lo :: v_dual_add_nc_u32 v10, 20, v113
	v_add_nc_u32_e32 v20, 19, v113
	v_lshlrev_b64_e64 v[10:11], v10, -1
	s_delay_alu instid0(VALU_DEP_2) | instskip(NEXT) | instid1(VALU_DEP_2)
	v_lshlrev_b64_e64 v[20:21], v20, 1
	v_bfi_b32 v83, v11, 0, 0
	s_delay_alu instid0(VALU_DEP_3) | instskip(SKIP_1) | instid1(VALU_DEP_2)
	v_bfi_b32 v82, v10, 0, v14
	v_lshrrev_b64 v[10:11], v113, v[14:15]
	v_cmp_eq_u64_e64 s11, v[82:83], v[20:21]
	s_delay_alu instid0(VALU_DEP_2)
	v_mov_b64_e32 v[82:83], v[10:11]
	s_and_saveexec_b32 s41, s11
; %bb.9653:                             ;   in Loop: Header=BB4_9447 Depth=2
	v_bfe_u32 v14, v10, 20, 1
	s_delay_alu instid0(VALU_DEP_1) | instskip(NEXT) | instid1(VALU_DEP_1)
	v_add_nc_u64_e32 v[20:21], v[10:11], v[14:15]
	v_add_nc_u64_e32 v[82:83], -1, v[20:21]
; %bb.9654:                             ;   in Loop: Header=BB4_9447 Depth=2
	s_or_b32 exec_lo, exec_lo, s41
	v_add_nc_u32_e32 v3, 0xffffff81, v98
	v_lshrrev_b32_e32 v11, 23, v10
	s_mov_b32 s11, exec_lo
	s_delay_alu instid0(VALU_DEP_2) | instskip(NEXT) | instid1(VALU_DEP_1)
	v_cndmask_b32_e64 v3, v3, 0xffffff82, vcc_lo
	v_add3_u32 v83, v113, v3, v11
	v_and_b32_e32 v3, 0xfffff, v82
	s_delay_alu instid0(VALU_DEP_1) | instskip(NEXT) | instid1(VALU_DEP_1)
	v_dual_add_nc_u32 v82, 6, v83 :: v_dual_add_nc_u32 v14, v3, v10
                                        ; implicit-def: $vgpr10_vgpr11
                                        ; implicit-def: $vgpr3
	v_cmpx_ne_u32_e32 0, v82
	s_xor_b32 s11, exec_lo, s11
; %bb.9655:                             ;   in Loop: Header=BB4_9447 Depth=2
	s_delay_alu instid0(VALU_DEP_2) | instskip(SKIP_2) | instid1(VALU_DEP_2)
	v_cmp_lt_u64_e32 vcc_lo, 0xffffff, v[14:15]
	v_add_nc_u32_e32 v3, 7, v83
	v_cndmask_b32_e64 v10, 0, 1, vcc_lo
	v_cndmask_b32_e32 v3, v82, v3, vcc_lo
	s_delay_alu instid0(VALU_DEP_2)
	v_lshrrev_b64 v[10:11], v10, v[14:15]
; %bb.9656:                             ;   in Loop: Header=BB4_9447 Depth=2
	s_and_not1_saveexec_b32 s11, s11
; %bb.9657:                             ;   in Loop: Header=BB4_9447 Depth=2
	v_mov_b64_e32 v[10:11], v[14:15]
	v_bfe_u32 v3, v14, 23, 1
; %bb.9658:                             ;   in Loop: Header=BB4_9447 Depth=2
	s_or_b32 exec_lo, exec_lo, s11
	s_delay_alu instid0(VALU_DEP_2) | instskip(NEXT) | instid1(VALU_DEP_2)
	v_lshrrev_b64 v[10:11], 20, v[10:11]
	v_cmp_gt_i32_e32 vcc_lo, 16, v3
	v_min_i32_e32 v14, 15, v3
	v_cmp_eq_u32_e64 s11, 0, v3
	s_delay_alu instid0(VALU_DEP_4) | instskip(NEXT) | instid1(VALU_DEP_3)
	v_cndmask_b32_e32 v10, 7, v10, vcc_lo
	v_dual_cndmask_b32 v11, 0, v11 :: v_dual_lshlrev_b32 v14, 3, v14
	s_delay_alu instid0(VALU_DEP_1) | instskip(NEXT) | instid1(VALU_DEP_2)
	v_and_b32_e32 v14, 0xf8, v14
	v_cmp_eq_u64_e32 vcc_lo, 0, v[10:11]
	s_delay_alu instid0(VALU_DEP_2)
	v_and_or_b32 v3, v10, 7, v14
	s_and_b32 s11, s11, vcc_lo
	s_delay_alu instid0(VALU_DEP_1) | instid1(SALU_CYCLE_1)
	v_cndmask_b32_e64 v3, v3, 0, s11
	s_delay_alu instid0(VALU_DEP_1)
	v_or_b32_e32 v115, v3, v2
.LBB4_9659:                             ;   in Loop: Header=BB4_9447 Depth=2
	s_or_b32 exec_lo, exec_lo, s40
                                        ; implicit-def: $vgpr2
.LBB4_9660:                             ;   in Loop: Header=BB4_9447 Depth=2
	s_and_not1_saveexec_b32 s11, s29
; %bb.9661:                             ;   in Loop: Header=BB4_9447 Depth=2
	v_or_b32_e32 v115, 0x7e, v2
; %bb.9662:                             ;   in Loop: Header=BB4_9447 Depth=2
	s_or_b32 exec_lo, exec_lo, s11
                                        ; implicit-def: $vgpr2
.LBB4_9663:                             ;   in Loop: Header=BB4_9447 Depth=2
	s_and_not1_saveexec_b32 s11, s28
; %bb.9664:                             ;   in Loop: Header=BB4_9447 Depth=2
	v_or_b32_e32 v115, 0x7f, v2
; %bb.9665:                             ;   in Loop: Header=BB4_9447 Depth=2
	s_or_b32 exec_lo, exec_lo, s11
	v_lshrrev_b16 v3, 8, v12
	v_mov_b32_e32 v2, 0
	s_mov_b32 s11, exec_lo
	s_delay_alu instid0(VALU_DEP_2)
	v_cmpx_ne_u16_e32 0, v3
	s_cbranch_execz .LBB4_9673
; %bb.9666:                             ;   in Loop: Header=BB4_9447 Depth=2
	v_bfrev_b32_e32 v2, 1
	s_mov_b32 s28, exec_lo
	v_cmpx_ne_u16_e32 0x80, v3
	s_cbranch_execz .LBB4_9672
; %bb.9667:                             ;   in Loop: Header=BB4_9447 Depth=2
	v_and_b32_e32 v10, 0xffff, v3
	v_mov_b32_e32 v2, 0x7f800001
	s_mov_b32 s29, exec_lo
	s_delay_alu instid0(VALU_DEP_2) | instskip(NEXT) | instid1(VALU_DEP_1)
	v_and_b32_e32 v3, 0x7f, v10
	v_cmpx_ne_u32_e32 0x7f, v3
	s_cbranch_execz .LBB4_9671
; %bb.9668:                             ;   in Loop: Header=BB4_9447 Depth=2
	v_dual_lshrrev_b32 v2, 3, v3 :: v_dual_bitop2_b32 v14, 7, v10 bitop3:0x40
	s_mov_b32 s40, exec_lo
	v_cmpx_gt_u32_e32 8, v3
; %bb.9669:                             ;   in Loop: Header=BB4_9447 Depth=2
	s_delay_alu instid0(VALU_DEP_2) | instskip(NEXT) | instid1(VALU_DEP_1)
	v_clz_i32_u32_e32 v2, v14
	v_min_u32_e32 v2, 32, v2
	s_delay_alu instid0(VALU_DEP_1) | instskip(SKIP_1) | instid1(VALU_DEP_2)
	v_subrev_nc_u32_e32 v3, 28, v2
	v_sub_nc_u32_e32 v2, 29, v2
	v_lshlrev_b64_e32 v[10:11], v3, v[14:15]
	s_delay_alu instid0(VALU_DEP_1)
	v_and_b32_e32 v14, 7, v10
; %bb.9670:                             ;   in Loop: Header=BB4_9447 Depth=2
	s_or_b32 exec_lo, exec_lo, s40
	s_delay_alu instid0(VALU_DEP_1) | instskip(SKIP_1) | instid1(VALU_DEP_2)
	v_dual_lshlrev_b32 v3, 16, v12 :: v_dual_lshlrev_b32 v10, 20, v14
	v_lshl_add_u32 v2, v2, 23, 0x3c000000
	v_and_b32_e32 v3, 0x80000000, v3
	s_delay_alu instid0(VALU_DEP_1)
	v_or3_b32 v2, v10, v3, v2
.LBB4_9671:                             ;   in Loop: Header=BB4_9447 Depth=2
	s_or_b32 exec_lo, exec_lo, s29
.LBB4_9672:                             ;   in Loop: Header=BB4_9447 Depth=2
	s_delay_alu instid0(SALU_CYCLE_1)
	s_or_b32 exec_lo, exec_lo, s28
.LBB4_9673:                             ;   in Loop: Header=BB4_9447 Depth=2
	s_delay_alu instid0(SALU_CYCLE_1) | instskip(NEXT) | instid1(VALU_DEP_1)
	s_or_b32 exec_lo, exec_lo, s11
	v_mul_f32_e32 v3, s27, v2
                                        ; implicit-def: $vgpr116
	s_mov_b32 s11, exec_lo
	s_delay_alu instid0(VALU_DEP_1) | instskip(SKIP_1) | instid1(VALU_DEP_2)
	v_and_b32_e32 v14, 0x7f800000, v3
	v_lshrrev_b32_e32 v2, 24, v3
	v_cmpx_ne_u64_e32 0x7f800000, v[14:15]
	s_xor_b32 s28, exec_lo, s11
	s_cbranch_execz .LBB4_9687
; %bb.9674:                             ;   in Loop: Header=BB4_9447 Depth=2
	v_and_b32_e32 v14, 0x7fffffff, v3
	v_and_b32_e32 v2, 0x80, v2
                                        ; implicit-def: $vgpr116
	s_mov_b32 s11, exec_lo
	s_delay_alu instid0(VALU_DEP_2)
	v_cmpx_gt_u64_e32 0x43e00001, v[14:15]
	s_xor_b32 s29, exec_lo, s11
	s_cbranch_execz .LBB4_9684
; %bb.9675:                             ;   in Loop: Header=BB4_9447 Depth=2
	v_mov_b32_e32 v116, 0
	s_mov_b32 s40, exec_lo
	v_cmpx_ne_u32_e32 0, v3
	s_cbranch_execz .LBB4_9683
; %bb.9676:                             ;   in Loop: Header=BB4_9447 Depth=2
	v_bfe_u32 v98, v3, 23, 8
	v_and_b32_e32 v3, 0x7fffff, v3
	s_delay_alu instid0(VALU_DEP_2) | instskip(SKIP_1) | instid1(VALU_DEP_3)
	v_sub_nc_u32_e32 v10, 0x79, v98
	v_cmp_gt_u32_e32 vcc_lo, 0x7a, v98
	v_or_b32_e32 v14, 0x800000, v3
	s_delay_alu instid0(VALU_DEP_3) | instskip(SKIP_1) | instid1(VALU_DEP_2)
	v_cndmask_b32_e32 v10, 0, v10, vcc_lo
	v_cmp_eq_u32_e32 vcc_lo, 0, v98
	v_cndmask_b32_e64 v113, v10, 0x78, vcc_lo
	s_delay_alu instid0(VALU_DEP_1) | instskip(SKIP_1) | instid1(VALU_DEP_2)
	v_dual_cndmask_b32 v14, v14, v3, vcc_lo :: v_dual_add_nc_u32 v10, 20, v113
	v_add_nc_u32_e32 v20, 19, v113
	v_lshlrev_b64_e64 v[10:11], v10, -1
	s_delay_alu instid0(VALU_DEP_2) | instskip(NEXT) | instid1(VALU_DEP_2)
	v_lshlrev_b64_e64 v[20:21], v20, 1
	v_bfi_b32 v83, v11, 0, 0
	s_delay_alu instid0(VALU_DEP_3) | instskip(SKIP_1) | instid1(VALU_DEP_2)
	v_bfi_b32 v82, v10, 0, v14
	v_lshrrev_b64 v[10:11], v113, v[14:15]
	v_cmp_eq_u64_e64 s11, v[82:83], v[20:21]
	s_delay_alu instid0(VALU_DEP_2)
	v_mov_b64_e32 v[82:83], v[10:11]
	s_and_saveexec_b32 s41, s11
; %bb.9677:                             ;   in Loop: Header=BB4_9447 Depth=2
	v_bfe_u32 v14, v10, 20, 1
	s_delay_alu instid0(VALU_DEP_1) | instskip(NEXT) | instid1(VALU_DEP_1)
	v_add_nc_u64_e32 v[20:21], v[10:11], v[14:15]
	v_add_nc_u64_e32 v[82:83], -1, v[20:21]
; %bb.9678:                             ;   in Loop: Header=BB4_9447 Depth=2
	s_or_b32 exec_lo, exec_lo, s41
	v_add_nc_u32_e32 v3, 0xffffff81, v98
	v_lshrrev_b32_e32 v11, 23, v10
	s_mov_b32 s11, exec_lo
	s_delay_alu instid0(VALU_DEP_2) | instskip(NEXT) | instid1(VALU_DEP_1)
	v_cndmask_b32_e64 v3, v3, 0xffffff82, vcc_lo
	v_add3_u32 v83, v113, v3, v11
	v_and_b32_e32 v3, 0xfffff, v82
	s_delay_alu instid0(VALU_DEP_1) | instskip(NEXT) | instid1(VALU_DEP_1)
	v_dual_add_nc_u32 v82, 6, v83 :: v_dual_add_nc_u32 v14, v3, v10
                                        ; implicit-def: $vgpr10_vgpr11
                                        ; implicit-def: $vgpr3
	v_cmpx_ne_u32_e32 0, v82
	s_xor_b32 s11, exec_lo, s11
; %bb.9679:                             ;   in Loop: Header=BB4_9447 Depth=2
	s_delay_alu instid0(VALU_DEP_2) | instskip(SKIP_2) | instid1(VALU_DEP_2)
	v_cmp_lt_u64_e32 vcc_lo, 0xffffff, v[14:15]
	v_add_nc_u32_e32 v3, 7, v83
	v_cndmask_b32_e64 v10, 0, 1, vcc_lo
	v_cndmask_b32_e32 v3, v82, v3, vcc_lo
	s_delay_alu instid0(VALU_DEP_2)
	v_lshrrev_b64 v[10:11], v10, v[14:15]
; %bb.9680:                             ;   in Loop: Header=BB4_9447 Depth=2
	s_and_not1_saveexec_b32 s11, s11
; %bb.9681:                             ;   in Loop: Header=BB4_9447 Depth=2
	v_mov_b64_e32 v[10:11], v[14:15]
	v_bfe_u32 v3, v14, 23, 1
; %bb.9682:                             ;   in Loop: Header=BB4_9447 Depth=2
	s_or_b32 exec_lo, exec_lo, s11
	s_delay_alu instid0(VALU_DEP_2) | instskip(NEXT) | instid1(VALU_DEP_2)
	v_lshrrev_b64 v[10:11], 20, v[10:11]
	v_cmp_gt_i32_e32 vcc_lo, 16, v3
	v_min_i32_e32 v14, 15, v3
	v_cmp_eq_u32_e64 s11, 0, v3
	s_delay_alu instid0(VALU_DEP_4) | instskip(NEXT) | instid1(VALU_DEP_3)
	v_cndmask_b32_e32 v10, 7, v10, vcc_lo
	v_dual_cndmask_b32 v11, 0, v11 :: v_dual_lshlrev_b32 v14, 3, v14
	s_delay_alu instid0(VALU_DEP_1) | instskip(NEXT) | instid1(VALU_DEP_2)
	v_and_b32_e32 v14, 0xf8, v14
	v_cmp_eq_u64_e32 vcc_lo, 0, v[10:11]
	s_delay_alu instid0(VALU_DEP_2)
	v_and_or_b32 v3, v10, 7, v14
	s_and_b32 s11, s11, vcc_lo
	s_delay_alu instid0(VALU_DEP_1) | instid1(SALU_CYCLE_1)
	v_cndmask_b32_e64 v3, v3, 0, s11
	s_delay_alu instid0(VALU_DEP_1)
	v_or_b32_e32 v116, v3, v2
.LBB4_9683:                             ;   in Loop: Header=BB4_9447 Depth=2
	s_or_b32 exec_lo, exec_lo, s40
                                        ; implicit-def: $vgpr2
.LBB4_9684:                             ;   in Loop: Header=BB4_9447 Depth=2
	s_and_not1_saveexec_b32 s11, s29
; %bb.9685:                             ;   in Loop: Header=BB4_9447 Depth=2
	v_or_b32_e32 v116, 0x7e, v2
; %bb.9686:                             ;   in Loop: Header=BB4_9447 Depth=2
	s_or_b32 exec_lo, exec_lo, s11
                                        ; implicit-def: $vgpr2
.LBB4_9687:                             ;   in Loop: Header=BB4_9447 Depth=2
	s_and_not1_saveexec_b32 s11, s28
; %bb.9688:                             ;   in Loop: Header=BB4_9447 Depth=2
	v_or_b32_e32 v116, 0x7f, v2
; %bb.9689:                             ;   in Loop: Header=BB4_9447 Depth=2
	s_or_b32 exec_lo, exec_lo, s11
	v_dual_mov_b32 v3, 0 :: v_dual_lshrrev_b32 v2, 16, v12
	s_mov_b32 s11, exec_lo
	s_delay_alu instid0(VALU_DEP_1) | instskip(NEXT) | instid1(VALU_DEP_1)
	v_and_b32_e32 v10, 0xff, v2
	v_cmpx_ne_u16_e32 0, v10
	s_cbranch_execz .LBB4_9697
; %bb.9690:                             ;   in Loop: Header=BB4_9447 Depth=2
	v_bfrev_b32_e32 v3, 1
	s_mov_b32 s28, exec_lo
	v_cmpx_ne_u16_e32 0x80, v10
	s_cbranch_execz .LBB4_9696
; %bb.9691:                             ;   in Loop: Header=BB4_9447 Depth=2
	v_bfe_u32 v10, v12, 16, 7
	v_mov_b32_e32 v3, 0x7f800001
	s_mov_b32 s29, exec_lo
	s_delay_alu instid0(VALU_DEP_2)
	v_cmpx_ne_u32_e32 0x7f, v10
	s_cbranch_execz .LBB4_9695
; %bb.9692:                             ;   in Loop: Header=BB4_9447 Depth=2
	v_and_b32_e32 v14, 7, v2
	v_lshrrev_b32_e32 v3, 3, v10
	s_mov_b32 s40, exec_lo
	v_cmpx_gt_u32_e32 8, v10
; %bb.9693:                             ;   in Loop: Header=BB4_9447 Depth=2
	s_delay_alu instid0(VALU_DEP_3) | instskip(NEXT) | instid1(VALU_DEP_1)
	v_clz_i32_u32_e32 v3, v14
	v_min_u32_e32 v3, 32, v3
	s_delay_alu instid0(VALU_DEP_1) | instskip(NEXT) | instid1(VALU_DEP_1)
	v_subrev_nc_u32_e32 v10, 28, v3
	v_lshlrev_b64_e32 v[10:11], v10, v[14:15]
	s_delay_alu instid0(VALU_DEP_1)
	v_dual_sub_nc_u32 v3, 29, v3 :: v_dual_bitop2_b32 v14, 7, v10 bitop3:0x40
; %bb.9694:                             ;   in Loop: Header=BB4_9447 Depth=2
	s_or_b32 exec_lo, exec_lo, s40
	v_lshlrev_b32_e32 v2, 24, v2
	s_delay_alu instid0(VALU_DEP_2) | instskip(NEXT) | instid1(VALU_DEP_3)
	v_lshlrev_b32_e32 v10, 20, v14
	v_lshl_add_u32 v3, v3, 23, 0x3c000000
	s_delay_alu instid0(VALU_DEP_3) | instskip(NEXT) | instid1(VALU_DEP_1)
	v_and_b32_e32 v2, 0x80000000, v2
	v_or3_b32 v3, v10, v2, v3
.LBB4_9695:                             ;   in Loop: Header=BB4_9447 Depth=2
	s_or_b32 exec_lo, exec_lo, s29
.LBB4_9696:                             ;   in Loop: Header=BB4_9447 Depth=2
	s_delay_alu instid0(SALU_CYCLE_1)
	s_or_b32 exec_lo, exec_lo, s28
.LBB4_9697:                             ;   in Loop: Header=BB4_9447 Depth=2
	s_delay_alu instid0(SALU_CYCLE_1) | instskip(NEXT) | instid1(VALU_DEP_1)
	s_or_b32 exec_lo, exec_lo, s11
	v_mul_f32_e32 v3, s27, v3
                                        ; implicit-def: $vgpr117
	s_mov_b32 s11, exec_lo
	s_delay_alu instid0(VALU_DEP_1) | instskip(SKIP_1) | instid1(VALU_DEP_2)
	v_and_b32_e32 v14, 0x7f800000, v3
	v_lshrrev_b32_e32 v2, 24, v3
	v_cmpx_ne_u64_e32 0x7f800000, v[14:15]
	s_xor_b32 s28, exec_lo, s11
	s_cbranch_execz .LBB4_9711
; %bb.9698:                             ;   in Loop: Header=BB4_9447 Depth=2
	v_and_b32_e32 v14, 0x7fffffff, v3
	v_and_b32_e32 v2, 0x80, v2
                                        ; implicit-def: $vgpr117
	s_mov_b32 s11, exec_lo
	s_delay_alu instid0(VALU_DEP_2)
	v_cmpx_gt_u64_e32 0x43e00001, v[14:15]
	s_xor_b32 s29, exec_lo, s11
	s_cbranch_execz .LBB4_9708
; %bb.9699:                             ;   in Loop: Header=BB4_9447 Depth=2
	v_mov_b32_e32 v117, 0
	s_mov_b32 s40, exec_lo
	v_cmpx_ne_u32_e32 0, v3
	s_cbranch_execz .LBB4_9707
; %bb.9700:                             ;   in Loop: Header=BB4_9447 Depth=2
	v_bfe_u32 v98, v3, 23, 8
	v_and_b32_e32 v3, 0x7fffff, v3
	s_delay_alu instid0(VALU_DEP_2) | instskip(SKIP_1) | instid1(VALU_DEP_3)
	v_sub_nc_u32_e32 v10, 0x79, v98
	v_cmp_gt_u32_e32 vcc_lo, 0x7a, v98
	v_or_b32_e32 v14, 0x800000, v3
	s_delay_alu instid0(VALU_DEP_3) | instskip(SKIP_1) | instid1(VALU_DEP_2)
	v_cndmask_b32_e32 v10, 0, v10, vcc_lo
	v_cmp_eq_u32_e32 vcc_lo, 0, v98
	v_cndmask_b32_e64 v113, v10, 0x78, vcc_lo
	s_delay_alu instid0(VALU_DEP_1) | instskip(SKIP_1) | instid1(VALU_DEP_2)
	v_dual_cndmask_b32 v14, v14, v3, vcc_lo :: v_dual_add_nc_u32 v10, 20, v113
	v_add_nc_u32_e32 v20, 19, v113
	v_lshlrev_b64_e64 v[10:11], v10, -1
	s_delay_alu instid0(VALU_DEP_2) | instskip(NEXT) | instid1(VALU_DEP_2)
	v_lshlrev_b64_e64 v[20:21], v20, 1
	v_bfi_b32 v83, v11, 0, 0
	s_delay_alu instid0(VALU_DEP_3) | instskip(SKIP_1) | instid1(VALU_DEP_2)
	v_bfi_b32 v82, v10, 0, v14
	v_lshrrev_b64 v[10:11], v113, v[14:15]
	v_cmp_eq_u64_e64 s11, v[82:83], v[20:21]
	s_delay_alu instid0(VALU_DEP_2)
	v_mov_b64_e32 v[82:83], v[10:11]
	s_and_saveexec_b32 s41, s11
; %bb.9701:                             ;   in Loop: Header=BB4_9447 Depth=2
	v_bfe_u32 v14, v10, 20, 1
	s_delay_alu instid0(VALU_DEP_1) | instskip(NEXT) | instid1(VALU_DEP_1)
	v_add_nc_u64_e32 v[20:21], v[10:11], v[14:15]
	v_add_nc_u64_e32 v[82:83], -1, v[20:21]
; %bb.9702:                             ;   in Loop: Header=BB4_9447 Depth=2
	s_or_b32 exec_lo, exec_lo, s41
	v_add_nc_u32_e32 v3, 0xffffff81, v98
	v_lshrrev_b32_e32 v11, 23, v10
	s_mov_b32 s11, exec_lo
	s_delay_alu instid0(VALU_DEP_2) | instskip(NEXT) | instid1(VALU_DEP_1)
	v_cndmask_b32_e64 v3, v3, 0xffffff82, vcc_lo
	v_add3_u32 v83, v113, v3, v11
	v_and_b32_e32 v3, 0xfffff, v82
	s_delay_alu instid0(VALU_DEP_1) | instskip(NEXT) | instid1(VALU_DEP_1)
	v_dual_add_nc_u32 v82, 6, v83 :: v_dual_add_nc_u32 v14, v3, v10
                                        ; implicit-def: $vgpr10_vgpr11
                                        ; implicit-def: $vgpr3
	v_cmpx_ne_u32_e32 0, v82
	s_xor_b32 s11, exec_lo, s11
; %bb.9703:                             ;   in Loop: Header=BB4_9447 Depth=2
	s_delay_alu instid0(VALU_DEP_2) | instskip(SKIP_2) | instid1(VALU_DEP_2)
	v_cmp_lt_u64_e32 vcc_lo, 0xffffff, v[14:15]
	v_add_nc_u32_e32 v3, 7, v83
	v_cndmask_b32_e64 v10, 0, 1, vcc_lo
	v_cndmask_b32_e32 v3, v82, v3, vcc_lo
	s_delay_alu instid0(VALU_DEP_2)
	v_lshrrev_b64 v[10:11], v10, v[14:15]
; %bb.9704:                             ;   in Loop: Header=BB4_9447 Depth=2
	s_and_not1_saveexec_b32 s11, s11
; %bb.9705:                             ;   in Loop: Header=BB4_9447 Depth=2
	v_mov_b64_e32 v[10:11], v[14:15]
	v_bfe_u32 v3, v14, 23, 1
; %bb.9706:                             ;   in Loop: Header=BB4_9447 Depth=2
	s_or_b32 exec_lo, exec_lo, s11
	s_delay_alu instid0(VALU_DEP_2) | instskip(NEXT) | instid1(VALU_DEP_2)
	v_lshrrev_b64 v[10:11], 20, v[10:11]
	v_cmp_gt_i32_e32 vcc_lo, 16, v3
	v_min_i32_e32 v14, 15, v3
	v_cmp_eq_u32_e64 s11, 0, v3
	s_delay_alu instid0(VALU_DEP_4) | instskip(NEXT) | instid1(VALU_DEP_3)
	v_cndmask_b32_e32 v10, 7, v10, vcc_lo
	v_dual_cndmask_b32 v11, 0, v11 :: v_dual_lshlrev_b32 v14, 3, v14
	s_delay_alu instid0(VALU_DEP_1) | instskip(NEXT) | instid1(VALU_DEP_2)
	v_and_b32_e32 v14, 0xf8, v14
	v_cmp_eq_u64_e32 vcc_lo, 0, v[10:11]
	s_delay_alu instid0(VALU_DEP_2)
	v_and_or_b32 v3, v10, 7, v14
	s_and_b32 s11, s11, vcc_lo
	s_delay_alu instid0(VALU_DEP_1) | instid1(SALU_CYCLE_1)
	v_cndmask_b32_e64 v3, v3, 0, s11
	s_delay_alu instid0(VALU_DEP_1)
	v_or_b32_e32 v117, v3, v2
.LBB4_9707:                             ;   in Loop: Header=BB4_9447 Depth=2
	s_or_b32 exec_lo, exec_lo, s40
                                        ; implicit-def: $vgpr2
.LBB4_9708:                             ;   in Loop: Header=BB4_9447 Depth=2
	s_and_not1_saveexec_b32 s11, s29
; %bb.9709:                             ;   in Loop: Header=BB4_9447 Depth=2
	v_or_b32_e32 v117, 0x7e, v2
; %bb.9710:                             ;   in Loop: Header=BB4_9447 Depth=2
	s_or_b32 exec_lo, exec_lo, s11
                                        ; implicit-def: $vgpr2
.LBB4_9711:                             ;   in Loop: Header=BB4_9447 Depth=2
	s_and_not1_saveexec_b32 s11, s28
; %bb.9712:                             ;   in Loop: Header=BB4_9447 Depth=2
	v_or_b32_e32 v117, 0x7f, v2
; %bb.9713:                             ;   in Loop: Header=BB4_9447 Depth=2
	s_or_b32 exec_lo, exec_lo, s11
	v_mov_b32_e32 v3, 0
	s_mov_b32 s11, exec_lo
	v_cmpx_lt_u32_e32 0xffffff, v12
	s_cbranch_execz .LBB4_9721
; %bb.9714:                             ;   in Loop: Header=BB4_9447 Depth=2
	v_lshrrev_b32_e32 v2, 24, v12
	v_bfrev_b32_e32 v3, 1
	s_mov_b32 s28, exec_lo
	s_delay_alu instid0(VALU_DEP_2)
	v_cmpx_ne_u32_e32 0x80, v2
	s_cbranch_execz .LBB4_9720
; %bb.9715:                             ;   in Loop: Header=BB4_9447 Depth=2
	v_bfe_u32 v10, v12, 24, 7
	v_mov_b32_e32 v3, 0x7f800001
	s_mov_b32 s29, exec_lo
	s_delay_alu instid0(VALU_DEP_2)
	v_cmpx_ne_u32_e32 0x7f, v10
	s_cbranch_execz .LBB4_9719
; %bb.9716:                             ;   in Loop: Header=BB4_9447 Depth=2
	v_and_b32_e32 v14, 7, v2
	v_lshrrev_b32_e32 v3, 3, v10
	s_mov_b32 s40, exec_lo
	v_cmpx_gt_u32_e32 8, v10
; %bb.9717:                             ;   in Loop: Header=BB4_9447 Depth=2
	s_delay_alu instid0(VALU_DEP_3) | instskip(NEXT) | instid1(VALU_DEP_1)
	v_clz_i32_u32_e32 v3, v14
	v_min_u32_e32 v3, 32, v3
	s_delay_alu instid0(VALU_DEP_1) | instskip(NEXT) | instid1(VALU_DEP_1)
	v_subrev_nc_u32_e32 v10, 28, v3
	v_lshlrev_b64_e32 v[10:11], v10, v[14:15]
	s_delay_alu instid0(VALU_DEP_1)
	v_dual_sub_nc_u32 v3, 29, v3 :: v_dual_bitop2_b32 v14, 7, v10 bitop3:0x40
; %bb.9718:                             ;   in Loop: Header=BB4_9447 Depth=2
	s_or_b32 exec_lo, exec_lo, s40
	v_lshlrev_b32_e32 v2, 24, v2
	s_delay_alu instid0(VALU_DEP_2) | instskip(NEXT) | instid1(VALU_DEP_3)
	v_lshlrev_b32_e32 v10, 20, v14
	v_lshl_add_u32 v3, v3, 23, 0x3c000000
	s_delay_alu instid0(VALU_DEP_3) | instskip(NEXT) | instid1(VALU_DEP_1)
	v_and_b32_e32 v2, 0x80000000, v2
	v_or3_b32 v3, v10, v2, v3
.LBB4_9719:                             ;   in Loop: Header=BB4_9447 Depth=2
	s_or_b32 exec_lo, exec_lo, s29
.LBB4_9720:                             ;   in Loop: Header=BB4_9447 Depth=2
	s_delay_alu instid0(SALU_CYCLE_1)
	s_or_b32 exec_lo, exec_lo, s28
.LBB4_9721:                             ;   in Loop: Header=BB4_9447 Depth=2
	s_delay_alu instid0(SALU_CYCLE_1) | instskip(NEXT) | instid1(VALU_DEP_1)
	s_or_b32 exec_lo, exec_lo, s11
	v_mul_f32_e32 v3, s27, v3
                                        ; implicit-def: $vgpr118
	s_mov_b32 s11, exec_lo
	s_delay_alu instid0(VALU_DEP_1) | instskip(SKIP_1) | instid1(VALU_DEP_2)
	v_and_b32_e32 v14, 0x7f800000, v3
	v_lshrrev_b32_e32 v2, 24, v3
	v_cmpx_ne_u64_e32 0x7f800000, v[14:15]
	s_xor_b32 s28, exec_lo, s11
	s_cbranch_execz .LBB4_9735
; %bb.9722:                             ;   in Loop: Header=BB4_9447 Depth=2
	v_and_b32_e32 v14, 0x7fffffff, v3
	v_and_b32_e32 v2, 0x80, v2
                                        ; implicit-def: $vgpr118
	s_mov_b32 s11, exec_lo
	s_delay_alu instid0(VALU_DEP_2)
	v_cmpx_gt_u64_e32 0x43e00001, v[14:15]
	s_xor_b32 s29, exec_lo, s11
	s_cbranch_execz .LBB4_9732
; %bb.9723:                             ;   in Loop: Header=BB4_9447 Depth=2
	v_mov_b32_e32 v118, 0
	s_mov_b32 s40, exec_lo
	v_cmpx_ne_u32_e32 0, v3
	s_cbranch_execz .LBB4_9731
; %bb.9724:                             ;   in Loop: Header=BB4_9447 Depth=2
	v_bfe_u32 v98, v3, 23, 8
	v_and_b32_e32 v3, 0x7fffff, v3
	s_delay_alu instid0(VALU_DEP_2) | instskip(SKIP_1) | instid1(VALU_DEP_3)
	v_sub_nc_u32_e32 v10, 0x79, v98
	v_cmp_gt_u32_e32 vcc_lo, 0x7a, v98
	v_or_b32_e32 v14, 0x800000, v3
	s_delay_alu instid0(VALU_DEP_3) | instskip(SKIP_1) | instid1(VALU_DEP_2)
	v_cndmask_b32_e32 v10, 0, v10, vcc_lo
	v_cmp_eq_u32_e32 vcc_lo, 0, v98
	v_cndmask_b32_e64 v113, v10, 0x78, vcc_lo
	s_delay_alu instid0(VALU_DEP_1) | instskip(SKIP_1) | instid1(VALU_DEP_2)
	v_dual_cndmask_b32 v14, v14, v3, vcc_lo :: v_dual_add_nc_u32 v10, 20, v113
	v_add_nc_u32_e32 v20, 19, v113
	v_lshlrev_b64_e64 v[10:11], v10, -1
	s_delay_alu instid0(VALU_DEP_2) | instskip(NEXT) | instid1(VALU_DEP_2)
	v_lshlrev_b64_e64 v[20:21], v20, 1
	v_bfi_b32 v83, v11, 0, 0
	s_delay_alu instid0(VALU_DEP_3) | instskip(SKIP_1) | instid1(VALU_DEP_2)
	v_bfi_b32 v82, v10, 0, v14
	v_lshrrev_b64 v[10:11], v113, v[14:15]
	v_cmp_eq_u64_e64 s11, v[82:83], v[20:21]
	s_delay_alu instid0(VALU_DEP_2)
	v_mov_b64_e32 v[82:83], v[10:11]
	s_and_saveexec_b32 s41, s11
; %bb.9725:                             ;   in Loop: Header=BB4_9447 Depth=2
	v_bfe_u32 v14, v10, 20, 1
	s_delay_alu instid0(VALU_DEP_1) | instskip(NEXT) | instid1(VALU_DEP_1)
	v_add_nc_u64_e32 v[20:21], v[10:11], v[14:15]
	v_add_nc_u64_e32 v[82:83], -1, v[20:21]
; %bb.9726:                             ;   in Loop: Header=BB4_9447 Depth=2
	s_or_b32 exec_lo, exec_lo, s41
	v_add_nc_u32_e32 v3, 0xffffff81, v98
	v_lshrrev_b32_e32 v11, 23, v10
	s_mov_b32 s11, exec_lo
	s_delay_alu instid0(VALU_DEP_2) | instskip(NEXT) | instid1(VALU_DEP_1)
	v_cndmask_b32_e64 v3, v3, 0xffffff82, vcc_lo
	v_add3_u32 v83, v113, v3, v11
	v_and_b32_e32 v3, 0xfffff, v82
	s_delay_alu instid0(VALU_DEP_1) | instskip(NEXT) | instid1(VALU_DEP_1)
	v_dual_add_nc_u32 v82, 6, v83 :: v_dual_add_nc_u32 v14, v3, v10
                                        ; implicit-def: $vgpr10_vgpr11
                                        ; implicit-def: $vgpr3
	v_cmpx_ne_u32_e32 0, v82
	s_xor_b32 s11, exec_lo, s11
; %bb.9727:                             ;   in Loop: Header=BB4_9447 Depth=2
	s_delay_alu instid0(VALU_DEP_2) | instskip(SKIP_2) | instid1(VALU_DEP_2)
	v_cmp_lt_u64_e32 vcc_lo, 0xffffff, v[14:15]
	v_add_nc_u32_e32 v3, 7, v83
	v_cndmask_b32_e64 v10, 0, 1, vcc_lo
	v_cndmask_b32_e32 v3, v82, v3, vcc_lo
	s_delay_alu instid0(VALU_DEP_2)
	v_lshrrev_b64 v[10:11], v10, v[14:15]
; %bb.9728:                             ;   in Loop: Header=BB4_9447 Depth=2
	s_and_not1_saveexec_b32 s11, s11
; %bb.9729:                             ;   in Loop: Header=BB4_9447 Depth=2
	v_mov_b64_e32 v[10:11], v[14:15]
	v_bfe_u32 v3, v14, 23, 1
; %bb.9730:                             ;   in Loop: Header=BB4_9447 Depth=2
	s_or_b32 exec_lo, exec_lo, s11
	s_delay_alu instid0(VALU_DEP_2) | instskip(NEXT) | instid1(VALU_DEP_2)
	v_lshrrev_b64 v[10:11], 20, v[10:11]
	v_cmp_gt_i32_e32 vcc_lo, 16, v3
	v_min_i32_e32 v14, 15, v3
	v_cmp_eq_u32_e64 s11, 0, v3
	s_delay_alu instid0(VALU_DEP_4) | instskip(NEXT) | instid1(VALU_DEP_3)
	v_cndmask_b32_e32 v10, 7, v10, vcc_lo
	v_dual_cndmask_b32 v11, 0, v11 :: v_dual_lshlrev_b32 v14, 3, v14
	s_delay_alu instid0(VALU_DEP_1) | instskip(NEXT) | instid1(VALU_DEP_2)
	v_and_b32_e32 v14, 0xf8, v14
	v_cmp_eq_u64_e32 vcc_lo, 0, v[10:11]
	s_delay_alu instid0(VALU_DEP_2)
	v_and_or_b32 v3, v10, 7, v14
	s_and_b32 s11, s11, vcc_lo
	s_delay_alu instid0(VALU_DEP_1) | instid1(SALU_CYCLE_1)
	v_cndmask_b32_e64 v3, v3, 0, s11
	s_delay_alu instid0(VALU_DEP_1)
	v_or_b32_e32 v118, v3, v2
.LBB4_9731:                             ;   in Loop: Header=BB4_9447 Depth=2
	s_or_b32 exec_lo, exec_lo, s40
                                        ; implicit-def: $vgpr2
.LBB4_9732:                             ;   in Loop: Header=BB4_9447 Depth=2
	s_and_not1_saveexec_b32 s11, s29
; %bb.9733:                             ;   in Loop: Header=BB4_9447 Depth=2
	v_or_b32_e32 v118, 0x7e, v2
; %bb.9734:                             ;   in Loop: Header=BB4_9447 Depth=2
	s_or_b32 exec_lo, exec_lo, s11
                                        ; implicit-def: $vgpr2
.LBB4_9735:                             ;   in Loop: Header=BB4_9447 Depth=2
	s_and_not1_saveexec_b32 s11, s28
; %bb.9736:                             ;   in Loop: Header=BB4_9447 Depth=2
	v_or_b32_e32 v118, 0x7f, v2
; %bb.9737:                             ;   in Loop: Header=BB4_9447 Depth=2
	s_or_b32 exec_lo, exec_lo, s11
	v_and_b32_e32 v3, 0xff, v13
	v_dual_mov_b32 v14, v13 :: v_dual_mov_b32 v2, 0
	s_mov_b32 s11, exec_lo
	s_delay_alu instid0(VALU_DEP_2)
	v_cmpx_ne_u16_e32 0, v3
	s_cbranch_execz .LBB4_9743
; %bb.9738:                             ;   in Loop: Header=BB4_9447 Depth=2
	v_bfrev_b32_e32 v2, 1
	s_mov_b32 s28, exec_lo
	v_cmpx_ne_u16_e32 0x80, v3
	s_cbranch_execz .LBB4_9742
; %bb.9739:                             ;   in Loop: Header=BB4_9447 Depth=2
	v_and_b32_e32 v3, 0x7f, v13
	v_mov_b32_e32 v2, 0x7f800001
	s_mov_b32 s29, exec_lo
	s_delay_alu instid0(VALU_DEP_2)
	v_cmpx_ne_u32_e32 0x7f, v3
	s_cbranch_execz .LBB4_9741
; %bb.9740:                             ;   in Loop: Header=BB4_9447 Depth=2
	v_dual_lshrrev_b32 v10, 3, v3 :: v_dual_bitop2_b32 v2, 7, v13 bitop3:0x40
	v_cmp_gt_u32_e32 vcc_lo, 8, v3
	s_delay_alu instid0(VALU_DEP_2) | instskip(NEXT) | instid1(VALU_DEP_1)
	v_clz_i32_u32_e32 v2, v2
	v_min_u32_e32 v2, 32, v2
	s_delay_alu instid0(VALU_DEP_1) | instskip(SKIP_1) | instid1(VALU_DEP_1)
	v_subrev_nc_u32_e32 v11, 28, v2
	v_sub_nc_u32_e32 v2, 29, v2
	v_dual_cndmask_b32 v10, v10, v2, vcc_lo :: v_dual_cndmask_b32 v2, 0, v11, vcc_lo
	s_delay_alu instid0(VALU_DEP_1) | instskip(NEXT) | instid1(VALU_DEP_2)
	v_lshl_add_u32 v10, v10, 23, 0x3c000000
	v_lshlrev_b64_e32 v[2:3], v2, v[14:15]
	v_lshlrev_b32_e32 v3, 24, v14
	s_delay_alu instid0(VALU_DEP_1) | instskip(NEXT) | instid1(VALU_DEP_3)
	v_and_b32_e32 v3, 0x80000000, v3
	v_lshlrev_b32_e32 v2, 20, v2
	s_delay_alu instid0(VALU_DEP_1) | instskip(NEXT) | instid1(VALU_DEP_1)
	v_and_b32_e32 v2, 0x700000, v2
	v_or3_b32 v2, v2, v3, v10
.LBB4_9741:                             ;   in Loop: Header=BB4_9447 Depth=2
	s_or_b32 exec_lo, exec_lo, s29
.LBB4_9742:                             ;   in Loop: Header=BB4_9447 Depth=2
	s_delay_alu instid0(SALU_CYCLE_1)
	s_or_b32 exec_lo, exec_lo, s28
.LBB4_9743:                             ;   in Loop: Header=BB4_9447 Depth=2
	s_delay_alu instid0(SALU_CYCLE_1) | instskip(NEXT) | instid1(VALU_DEP_1)
	s_or_b32 exec_lo, exec_lo, s11
	v_dual_mul_f32 v3, s27, v2 :: v_dual_mov_b32 v11, v15
                                        ; implicit-def: $vgpr119
	s_mov_b32 s11, exec_lo
	s_delay_alu instid0(VALU_DEP_1) | instskip(SKIP_1) | instid1(VALU_DEP_2)
	v_and_b32_e32 v10, 0x7f800000, v3
	v_lshrrev_b32_e32 v2, 24, v3
	v_cmpx_ne_u64_e32 0x7f800000, v[10:11]
	s_xor_b32 s28, exec_lo, s11
	s_cbranch_execz .LBB4_9757
; %bb.9744:                             ;   in Loop: Header=BB4_9447 Depth=2
	v_and_b32_e32 v10, 0x7fffffff, v3
	v_mov_b32_e32 v11, v15
	v_and_b32_e32 v2, 0x80, v2
                                        ; implicit-def: $vgpr119
	s_mov_b32 s11, exec_lo
	s_delay_alu instid0(VALU_DEP_2)
	v_cmpx_gt_u64_e32 0x43e00001, v[10:11]
	s_xor_b32 s29, exec_lo, s11
	s_cbranch_execz .LBB4_9754
; %bb.9745:                             ;   in Loop: Header=BB4_9447 Depth=2
	v_mov_b32_e32 v119, 0
	s_mov_b32 s40, exec_lo
	v_cmpx_ne_u32_e32 0, v3
	s_cbranch_execz .LBB4_9753
; %bb.9746:                             ;   in Loop: Header=BB4_9447 Depth=2
	v_bfe_u32 v98, v3, 23, 8
	v_and_b32_e32 v3, 0x7fffff, v3
	s_delay_alu instid0(VALU_DEP_2) | instskip(SKIP_1) | instid1(VALU_DEP_3)
	v_dual_mov_b32 v21, v15 :: v_dual_sub_nc_u32 v10, 0x79, v98
	v_cmp_gt_u32_e32 vcc_lo, 0x7a, v98
	v_or_b32_e32 v20, 0x800000, v3
	s_delay_alu instid0(VALU_DEP_3) | instskip(SKIP_1) | instid1(VALU_DEP_2)
	v_cndmask_b32_e32 v10, 0, v10, vcc_lo
	v_cmp_eq_u32_e32 vcc_lo, 0, v98
	v_cndmask_b32_e64 v113, v10, 0x78, vcc_lo
	s_delay_alu instid0(VALU_DEP_1) | instskip(SKIP_1) | instid1(VALU_DEP_2)
	v_dual_cndmask_b32 v20, v20, v3, vcc_lo :: v_dual_add_nc_u32 v10, 20, v113
	v_add_nc_u32_e32 v82, 19, v113
	v_lshlrev_b64_e64 v[10:11], v10, -1
	s_delay_alu instid0(VALU_DEP_2) | instskip(NEXT) | instid1(VALU_DEP_2)
	v_lshlrev_b64_e64 v[82:83], v82, 1
	v_bfi_b32 v41, v11, 0, 0
	s_delay_alu instid0(VALU_DEP_3) | instskip(SKIP_1) | instid1(VALU_DEP_2)
	v_bfi_b32 v40, v10, 0, v20
	v_lshrrev_b64 v[10:11], v113, v[20:21]
	v_cmp_eq_u64_e64 s11, v[40:41], v[82:83]
	s_delay_alu instid0(VALU_DEP_2)
	v_mov_b64_e32 v[82:83], v[10:11]
	s_and_saveexec_b32 s41, s11
; %bb.9747:                             ;   in Loop: Header=BB4_9447 Depth=2
	v_bfe_u32 v20, v10, 20, 1
	v_mov_b32_e32 v21, v15
	s_delay_alu instid0(VALU_DEP_1) | instskip(NEXT) | instid1(VALU_DEP_1)
	v_add_nc_u64_e32 v[20:21], v[10:11], v[20:21]
	v_add_nc_u64_e32 v[82:83], -1, v[20:21]
; %bb.9748:                             ;   in Loop: Header=BB4_9447 Depth=2
	s_or_b32 exec_lo, exec_lo, s41
	v_add_nc_u32_e32 v3, 0xffffff81, v98
	v_lshrrev_b32_e32 v11, 23, v10
	s_mov_b32 s11, exec_lo
	s_delay_alu instid0(VALU_DEP_2) | instskip(NEXT) | instid1(VALU_DEP_1)
	v_cndmask_b32_e64 v3, v3, 0xffffff82, vcc_lo
	v_add3_u32 v83, v113, v3, v11
	v_and_b32_e32 v3, 0xfffff, v82
	s_delay_alu instid0(VALU_DEP_2) | instskip(NEXT) | instid1(VALU_DEP_2)
	v_dual_mov_b32 v11, v15 :: v_dual_add_nc_u32 v82, 6, v83
	v_add_nc_u32_e32 v10, v3, v10
                                        ; implicit-def: $vgpr3
	s_delay_alu instid0(VALU_DEP_2)
	v_cmpx_ne_u32_e32 0, v82
	s_xor_b32 s11, exec_lo, s11
; %bb.9749:                             ;   in Loop: Header=BB4_9447 Depth=2
	s_delay_alu instid0(VALU_DEP_2) | instskip(SKIP_2) | instid1(VALU_DEP_2)
	v_cmp_lt_u64_e32 vcc_lo, 0xffffff, v[10:11]
	v_add_nc_u32_e32 v3, 7, v83
	v_cndmask_b32_e64 v20, 0, 1, vcc_lo
	v_cndmask_b32_e32 v3, v82, v3, vcc_lo
	s_delay_alu instid0(VALU_DEP_2)
	v_lshrrev_b64 v[10:11], v20, v[10:11]
; %bb.9750:                             ;   in Loop: Header=BB4_9447 Depth=2
	s_and_not1_saveexec_b32 s11, s11
; %bb.9751:                             ;   in Loop: Header=BB4_9447 Depth=2
	s_delay_alu instid0(VALU_DEP_1)
	v_bfe_u32 v3, v10, 23, 1
; %bb.9752:                             ;   in Loop: Header=BB4_9447 Depth=2
	s_or_b32 exec_lo, exec_lo, s11
	s_delay_alu instid0(VALU_DEP_2) | instskip(NEXT) | instid1(VALU_DEP_2)
	v_lshrrev_b64 v[10:11], 20, v[10:11]
	v_cmp_gt_i32_e32 vcc_lo, 16, v3
	v_min_i32_e32 v20, 15, v3
	v_cmp_eq_u32_e64 s11, 0, v3
	s_delay_alu instid0(VALU_DEP_2) | instskip(SKIP_1) | instid1(VALU_DEP_2)
	v_dual_cndmask_b32 v10, 7, v10, vcc_lo :: v_dual_lshlrev_b32 v20, 3, v20
	v_cndmask_b32_e32 v11, 0, v11, vcc_lo
	v_and_b32_e32 v20, 0xf8, v20
	s_delay_alu instid0(VALU_DEP_2) | instskip(NEXT) | instid1(VALU_DEP_2)
	v_cmp_eq_u64_e32 vcc_lo, 0, v[10:11]
	v_and_or_b32 v3, v10, 7, v20
	s_and_b32 s11, s11, vcc_lo
	s_delay_alu instid0(VALU_DEP_1) | instid1(SALU_CYCLE_1)
	v_cndmask_b32_e64 v3, v3, 0, s11
	s_delay_alu instid0(VALU_DEP_1)
	v_or_b32_e32 v119, v3, v2
.LBB4_9753:                             ;   in Loop: Header=BB4_9447 Depth=2
	s_or_b32 exec_lo, exec_lo, s40
                                        ; implicit-def: $vgpr2
.LBB4_9754:                             ;   in Loop: Header=BB4_9447 Depth=2
	s_and_not1_saveexec_b32 s11, s29
; %bb.9755:                             ;   in Loop: Header=BB4_9447 Depth=2
	v_or_b32_e32 v119, 0x7e, v2
; %bb.9756:                             ;   in Loop: Header=BB4_9447 Depth=2
	s_or_b32 exec_lo, exec_lo, s11
                                        ; implicit-def: $vgpr2
.LBB4_9757:                             ;   in Loop: Header=BB4_9447 Depth=2
	s_and_not1_saveexec_b32 s11, s28
; %bb.9758:                             ;   in Loop: Header=BB4_9447 Depth=2
	v_or_b32_e32 v119, 0x7f, v2
; %bb.9759:                             ;   in Loop: Header=BB4_9447 Depth=2
	s_or_b32 exec_lo, exec_lo, s11
	v_lshrrev_b16 v3, 8, v14
	v_mov_b32_e32 v2, 0
	s_mov_b32 s11, exec_lo
	s_delay_alu instid0(VALU_DEP_2)
	v_cmpx_ne_u16_e32 0, v3
	s_cbranch_execz .LBB4_9767
; %bb.9760:                             ;   in Loop: Header=BB4_9447 Depth=2
	v_bfrev_b32_e32 v2, 1
	s_mov_b32 s28, exec_lo
	v_cmpx_ne_u16_e32 0x80, v3
	s_cbranch_execz .LBB4_9766
; %bb.9761:                             ;   in Loop: Header=BB4_9447 Depth=2
	v_and_b32_e32 v10, 0xffff, v3
	v_mov_b32_e32 v2, 0x7f800001
	s_mov_b32 s29, exec_lo
	s_delay_alu instid0(VALU_DEP_2) | instskip(NEXT) | instid1(VALU_DEP_1)
	v_and_b32_e32 v3, 0x7f, v10
	v_cmpx_ne_u32_e32 0x7f, v3
	s_cbranch_execz .LBB4_9765
; %bb.9762:                             ;   in Loop: Header=BB4_9447 Depth=2
	v_dual_mov_b32 v11, v15 :: v_dual_bitop2_b32 v10, 7, v10 bitop3:0x40
	v_lshrrev_b32_e32 v2, 3, v3
	s_mov_b32 s40, exec_lo
	v_cmpx_gt_u32_e32 8, v3
; %bb.9763:                             ;   in Loop: Header=BB4_9447 Depth=2
	s_delay_alu instid0(VALU_DEP_3) | instskip(NEXT) | instid1(VALU_DEP_1)
	v_clz_i32_u32_e32 v2, v10
	v_min_u32_e32 v2, 32, v2
	s_delay_alu instid0(VALU_DEP_1) | instskip(SKIP_1) | instid1(VALU_DEP_2)
	v_subrev_nc_u32_e32 v3, 28, v2
	v_sub_nc_u32_e32 v2, 29, v2
	v_lshlrev_b64_e32 v[10:11], v3, v[10:11]
	s_delay_alu instid0(VALU_DEP_1)
	v_and_b32_e32 v10, 7, v10
; %bb.9764:                             ;   in Loop: Header=BB4_9447 Depth=2
	s_or_b32 exec_lo, exec_lo, s40
	v_lshlrev_b32_e32 v3, 16, v14
	s_delay_alu instid0(VALU_DEP_2) | instskip(SKIP_1) | instid1(VALU_DEP_3)
	v_lshlrev_b32_e32 v10, 20, v10
	v_lshl_add_u32 v2, v2, 23, 0x3c000000
	v_and_b32_e32 v3, 0x80000000, v3
	s_delay_alu instid0(VALU_DEP_1)
	v_or3_b32 v2, v10, v3, v2
.LBB4_9765:                             ;   in Loop: Header=BB4_9447 Depth=2
	s_or_b32 exec_lo, exec_lo, s29
.LBB4_9766:                             ;   in Loop: Header=BB4_9447 Depth=2
	s_delay_alu instid0(SALU_CYCLE_1)
	s_or_b32 exec_lo, exec_lo, s28
.LBB4_9767:                             ;   in Loop: Header=BB4_9447 Depth=2
	s_delay_alu instid0(SALU_CYCLE_1) | instskip(NEXT) | instid1(VALU_DEP_1)
	s_or_b32 exec_lo, exec_lo, s11
	v_mul_f32_e32 v10, s27, v2
                                        ; implicit-def: $vgpr2
	s_mov_b32 s11, exec_lo
	s_delay_alu instid0(VALU_DEP_1) | instskip(SKIP_1) | instid1(VALU_DEP_2)
	v_and_b32_e32 v14, 0x7f800000, v10
	v_lshrrev_b32_e32 v3, 24, v10
	v_cmpx_ne_u64_e32 0x7f800000, v[14:15]
	s_xor_b32 s28, exec_lo, s11
	s_cbranch_execz .LBB4_9781
; %bb.9768:                             ;   in Loop: Header=BB4_9447 Depth=2
	v_and_b32_e32 v14, 0x7fffffff, v10
	v_and_b32_e32 v3, 0x80, v3
                                        ; implicit-def: $vgpr2
	s_mov_b32 s11, exec_lo
	s_delay_alu instid0(VALU_DEP_2)
	v_cmpx_gt_u64_e32 0x43e00001, v[14:15]
	s_xor_b32 s29, exec_lo, s11
	s_cbranch_execz .LBB4_9778
; %bb.9769:                             ;   in Loop: Header=BB4_9447 Depth=2
	v_mov_b32_e32 v2, 0
	s_mov_b32 s40, exec_lo
	v_cmpx_ne_u32_e32 0, v10
	s_cbranch_execz .LBB4_9777
; %bb.9770:                             ;   in Loop: Header=BB4_9447 Depth=2
	v_bfe_u32 v2, v10, 23, 8
	v_and_b32_e32 v14, 0x7fffff, v10
	s_delay_alu instid0(VALU_DEP_2) | instskip(SKIP_1) | instid1(VALU_DEP_3)
	v_sub_nc_u32_e32 v11, 0x79, v2
	v_cmp_gt_u32_e32 vcc_lo, 0x7a, v2
	v_or_b32_e32 v20, 0x800000, v14
	s_delay_alu instid0(VALU_DEP_3) | instskip(SKIP_1) | instid1(VALU_DEP_2)
	v_cndmask_b32_e32 v11, 0, v11, vcc_lo
	v_cmp_eq_u32_e32 vcc_lo, 0, v2
	v_cndmask_b32_e64 v98, v11, 0x78, vcc_lo
	s_delay_alu instid0(VALU_DEP_4) | instskip(NEXT) | instid1(VALU_DEP_2)
	v_cndmask_b32_e32 v14, v20, v14, vcc_lo
	v_dual_add_nc_u32 v10, 20, v98 :: v_dual_add_nc_u32 v21, 19, v98
	s_delay_alu instid0(VALU_DEP_1) | instskip(NEXT) | instid1(VALU_DEP_2)
	v_lshlrev_b64_e64 v[10:11], v10, -1
	v_lshlrev_b64_e64 v[20:21], v21, 1
	s_delay_alu instid0(VALU_DEP_2) | instskip(NEXT) | instid1(VALU_DEP_3)
	v_bfi_b32 v83, v11, 0, 0
	v_bfi_b32 v82, v10, 0, v14
	v_lshrrev_b64 v[10:11], v98, v[14:15]
	s_delay_alu instid0(VALU_DEP_2) | instskip(NEXT) | instid1(VALU_DEP_2)
	v_cmp_eq_u64_e64 s11, v[82:83], v[20:21]
	v_mov_b64_e32 v[82:83], v[10:11]
	s_and_saveexec_b32 s41, s11
; %bb.9771:                             ;   in Loop: Header=BB4_9447 Depth=2
	v_bfe_u32 v14, v10, 20, 1
	s_delay_alu instid0(VALU_DEP_1) | instskip(NEXT) | instid1(VALU_DEP_1)
	v_add_nc_u64_e32 v[20:21], v[10:11], v[14:15]
	v_add_nc_u64_e32 v[82:83], -1, v[20:21]
; %bb.9772:                             ;   in Loop: Header=BB4_9447 Depth=2
	s_or_b32 exec_lo, exec_lo, s41
	v_add_nc_u32_e32 v2, 0xffffff81, v2
	v_lshrrev_b32_e32 v11, 23, v10
	s_mov_b32 s11, exec_lo
	s_delay_alu instid0(VALU_DEP_2) | instskip(NEXT) | instid1(VALU_DEP_1)
	v_cndmask_b32_e64 v2, v2, 0xffffff82, vcc_lo
	v_add3_u32 v83, v98, v2, v11
	v_and_b32_e32 v2, 0xfffff, v82
	s_delay_alu instid0(VALU_DEP_1) | instskip(NEXT) | instid1(VALU_DEP_1)
	v_dual_add_nc_u32 v82, 6, v83 :: v_dual_add_nc_u32 v14, v2, v10
                                        ; implicit-def: $vgpr10_vgpr11
                                        ; implicit-def: $vgpr2
	v_cmpx_ne_u32_e32 0, v82
	s_xor_b32 s11, exec_lo, s11
; %bb.9773:                             ;   in Loop: Header=BB4_9447 Depth=2
	s_delay_alu instid0(VALU_DEP_2) | instskip(SKIP_2) | instid1(VALU_DEP_2)
	v_cmp_lt_u64_e32 vcc_lo, 0xffffff, v[14:15]
	v_add_nc_u32_e32 v2, 7, v83
	v_cndmask_b32_e64 v10, 0, 1, vcc_lo
	v_cndmask_b32_e32 v2, v82, v2, vcc_lo
	s_delay_alu instid0(VALU_DEP_2)
	v_lshrrev_b64 v[10:11], v10, v[14:15]
; %bb.9774:                             ;   in Loop: Header=BB4_9447 Depth=2
	s_and_not1_saveexec_b32 s11, s11
; %bb.9775:                             ;   in Loop: Header=BB4_9447 Depth=2
	v_mov_b64_e32 v[10:11], v[14:15]
	v_bfe_u32 v2, v14, 23, 1
; %bb.9776:                             ;   in Loop: Header=BB4_9447 Depth=2
	s_or_b32 exec_lo, exec_lo, s11
	s_delay_alu instid0(VALU_DEP_2) | instskip(NEXT) | instid1(VALU_DEP_2)
	v_lshrrev_b64 v[10:11], 20, v[10:11]
	v_cmp_gt_i32_e32 vcc_lo, 16, v2
	v_min_i32_e32 v14, 15, v2
	v_cmp_eq_u32_e64 s11, 0, v2
	s_delay_alu instid0(VALU_DEP_2) | instskip(SKIP_1) | instid1(VALU_DEP_2)
	v_dual_cndmask_b32 v11, 0, v11 :: v_dual_lshlrev_b32 v14, 3, v14
	v_cndmask_b32_e32 v10, 7, v10, vcc_lo
	v_and_b32_e32 v14, 0xf8, v14
	s_delay_alu instid0(VALU_DEP_2) | instskip(NEXT) | instid1(VALU_DEP_2)
	v_cmp_eq_u64_e32 vcc_lo, 0, v[10:11]
	v_and_or_b32 v2, v10, 7, v14
	s_and_b32 s11, s11, vcc_lo
	s_delay_alu instid0(VALU_DEP_1) | instid1(SALU_CYCLE_1)
	v_cndmask_b32_e64 v2, v2, 0, s11
	s_delay_alu instid0(VALU_DEP_1)
	v_or_b32_e32 v2, v2, v3
.LBB4_9777:                             ;   in Loop: Header=BB4_9447 Depth=2
	s_or_b32 exec_lo, exec_lo, s40
                                        ; implicit-def: $vgpr3
.LBB4_9778:                             ;   in Loop: Header=BB4_9447 Depth=2
	s_and_not1_saveexec_b32 s11, s29
; %bb.9779:                             ;   in Loop: Header=BB4_9447 Depth=2
	v_or_b32_e32 v2, 0x7e, v3
; %bb.9780:                             ;   in Loop: Header=BB4_9447 Depth=2
	s_or_b32 exec_lo, exec_lo, s11
                                        ; implicit-def: $vgpr3
.LBB4_9781:                             ;   in Loop: Header=BB4_9447 Depth=2
	s_and_not1_saveexec_b32 s11, s28
; %bb.9782:                             ;   in Loop: Header=BB4_9447 Depth=2
	v_or_b32_e32 v2, 0x7f, v3
; %bb.9783:                             ;   in Loop: Header=BB4_9447 Depth=2
	s_or_b32 exec_lo, exec_lo, s11
	v_dual_mov_b32 v10, 0 :: v_dual_lshrrev_b32 v3, 16, v13
	s_mov_b32 s11, exec_lo
	s_delay_alu instid0(VALU_DEP_1) | instskip(NEXT) | instid1(VALU_DEP_1)
	v_and_b32_e32 v11, 0xff, v3
	v_cmpx_ne_u16_e32 0, v11
	s_cbranch_execz .LBB4_9791
; %bb.9784:                             ;   in Loop: Header=BB4_9447 Depth=2
	v_bfrev_b32_e32 v10, 1
	s_mov_b32 s28, exec_lo
	v_cmpx_ne_u16_e32 0x80, v11
	s_cbranch_execz .LBB4_9790
; %bb.9785:                             ;   in Loop: Header=BB4_9447 Depth=2
	v_bfe_u32 v11, v13, 16, 7
	v_mov_b32_e32 v10, 0x7f800001
	s_mov_b32 s29, exec_lo
	s_delay_alu instid0(VALU_DEP_2)
	v_cmpx_ne_u32_e32 0x7f, v11
	s_cbranch_execz .LBB4_9789
; %bb.9786:                             ;   in Loop: Header=BB4_9447 Depth=2
	v_and_b32_e32 v14, 7, v3
	v_lshrrev_b32_e32 v10, 3, v11
	s_mov_b32 s40, exec_lo
	v_cmpx_gt_u32_e32 8, v11
; %bb.9787:                             ;   in Loop: Header=BB4_9447 Depth=2
	s_delay_alu instid0(VALU_DEP_3) | instskip(NEXT) | instid1(VALU_DEP_1)
	v_clz_i32_u32_e32 v10, v14
	v_min_u32_e32 v10, 32, v10
	s_delay_alu instid0(VALU_DEP_1) | instskip(NEXT) | instid1(VALU_DEP_1)
	v_subrev_nc_u32_e32 v11, 28, v10
	v_lshlrev_b64_e32 v[20:21], v11, v[14:15]
	s_delay_alu instid0(VALU_DEP_1)
	v_dual_sub_nc_u32 v10, 29, v10 :: v_dual_bitop2_b32 v14, 7, v20 bitop3:0x40
; %bb.9788:                             ;   in Loop: Header=BB4_9447 Depth=2
	s_or_b32 exec_lo, exec_lo, s40
	s_delay_alu instid0(VALU_DEP_1) | instskip(NEXT) | instid1(VALU_DEP_2)
	v_dual_lshlrev_b32 v3, 24, v3 :: v_dual_lshlrev_b32 v11, 20, v14
	v_lshl_add_u32 v10, v10, 23, 0x3c000000
	s_delay_alu instid0(VALU_DEP_2) | instskip(NEXT) | instid1(VALU_DEP_1)
	v_and_b32_e32 v3, 0x80000000, v3
	v_or3_b32 v10, v11, v3, v10
.LBB4_9789:                             ;   in Loop: Header=BB4_9447 Depth=2
	s_or_b32 exec_lo, exec_lo, s29
.LBB4_9790:                             ;   in Loop: Header=BB4_9447 Depth=2
	s_delay_alu instid0(SALU_CYCLE_1)
	s_or_b32 exec_lo, exec_lo, s28
.LBB4_9791:                             ;   in Loop: Header=BB4_9447 Depth=2
	s_delay_alu instid0(SALU_CYCLE_1) | instskip(NEXT) | instid1(VALU_DEP_1)
	s_or_b32 exec_lo, exec_lo, s11
	v_mul_f32_e32 v10, s27, v10
                                        ; implicit-def: $vgpr3
	s_mov_b32 s11, exec_lo
	s_delay_alu instid0(VALU_DEP_1) | instskip(SKIP_1) | instid1(VALU_DEP_2)
	v_and_b32_e32 v14, 0x7f800000, v10
	v_lshrrev_b32_e32 v11, 24, v10
	v_cmpx_ne_u64_e32 0x7f800000, v[14:15]
	s_xor_b32 s28, exec_lo, s11
	s_cbranch_execz .LBB4_9805
; %bb.9792:                             ;   in Loop: Header=BB4_9447 Depth=2
	v_and_b32_e32 v14, 0x7fffffff, v10
	v_and_b32_e32 v113, 0x80, v11
                                        ; implicit-def: $vgpr3
	s_mov_b32 s11, exec_lo
	s_delay_alu instid0(VALU_DEP_2)
	v_cmpx_gt_u64_e32 0x43e00001, v[14:15]
	s_xor_b32 s29, exec_lo, s11
	s_cbranch_execz .LBB4_9802
; %bb.9793:                             ;   in Loop: Header=BB4_9447 Depth=2
	v_mov_b32_e32 v3, 0
	s_mov_b32 s40, exec_lo
	v_cmpx_ne_u32_e32 0, v10
	s_cbranch_execz .LBB4_9801
; %bb.9794:                             ;   in Loop: Header=BB4_9447 Depth=2
	v_bfe_u32 v3, v10, 23, 8
	v_and_b32_e32 v14, 0x7fffff, v10
	s_delay_alu instid0(VALU_DEP_2) | instskip(NEXT) | instid1(VALU_DEP_2)
	v_cmp_gt_u32_e32 vcc_lo, 0x7a, v3
	v_or_b32_e32 v20, 0x800000, v14
	v_sub_nc_u32_e32 v11, 0x79, v3
	s_delay_alu instid0(VALU_DEP_1) | instskip(SKIP_1) | instid1(VALU_DEP_2)
	v_cndmask_b32_e32 v11, 0, v11, vcc_lo
	v_cmp_eq_u32_e32 vcc_lo, 0, v3
	v_cndmask_b32_e64 v98, v11, 0x78, vcc_lo
	v_cndmask_b32_e32 v14, v20, v14, vcc_lo
	s_delay_alu instid0(VALU_DEP_2) | instskip(NEXT) | instid1(VALU_DEP_1)
	v_dual_add_nc_u32 v10, 20, v98 :: v_dual_add_nc_u32 v21, 19, v98
	v_lshlrev_b64_e64 v[10:11], v10, -1
	s_delay_alu instid0(VALU_DEP_2) | instskip(NEXT) | instid1(VALU_DEP_2)
	v_lshlrev_b64_e64 v[20:21], v21, 1
	v_bfi_b32 v83, v11, 0, 0
	s_delay_alu instid0(VALU_DEP_3) | instskip(SKIP_1) | instid1(VALU_DEP_2)
	v_bfi_b32 v82, v10, 0, v14
	v_lshrrev_b64 v[10:11], v98, v[14:15]
	v_cmp_eq_u64_e64 s11, v[82:83], v[20:21]
	s_delay_alu instid0(VALU_DEP_2)
	v_mov_b64_e32 v[82:83], v[10:11]
	s_and_saveexec_b32 s41, s11
; %bb.9795:                             ;   in Loop: Header=BB4_9447 Depth=2
	v_bfe_u32 v14, v10, 20, 1
	s_delay_alu instid0(VALU_DEP_1) | instskip(NEXT) | instid1(VALU_DEP_1)
	v_add_nc_u64_e32 v[20:21], v[10:11], v[14:15]
	v_add_nc_u64_e32 v[82:83], -1, v[20:21]
; %bb.9796:                             ;   in Loop: Header=BB4_9447 Depth=2
	s_or_b32 exec_lo, exec_lo, s41
	v_add_nc_u32_e32 v3, 0xffffff81, v3
	v_lshrrev_b32_e32 v11, 23, v10
	s_mov_b32 s11, exec_lo
	s_delay_alu instid0(VALU_DEP_2) | instskip(NEXT) | instid1(VALU_DEP_1)
	v_cndmask_b32_e64 v3, v3, 0xffffff82, vcc_lo
	v_add3_u32 v83, v98, v3, v11
	v_and_b32_e32 v3, 0xfffff, v82
	s_delay_alu instid0(VALU_DEP_1) | instskip(NEXT) | instid1(VALU_DEP_1)
	v_dual_add_nc_u32 v82, 6, v83 :: v_dual_add_nc_u32 v14, v3, v10
                                        ; implicit-def: $vgpr10_vgpr11
                                        ; implicit-def: $vgpr3
	v_cmpx_ne_u32_e32 0, v82
	s_xor_b32 s11, exec_lo, s11
; %bb.9797:                             ;   in Loop: Header=BB4_9447 Depth=2
	s_delay_alu instid0(VALU_DEP_2) | instskip(SKIP_2) | instid1(VALU_DEP_2)
	v_cmp_lt_u64_e32 vcc_lo, 0xffffff, v[14:15]
	v_add_nc_u32_e32 v3, 7, v83
	v_cndmask_b32_e64 v10, 0, 1, vcc_lo
	v_cndmask_b32_e32 v3, v82, v3, vcc_lo
	s_delay_alu instid0(VALU_DEP_2)
	v_lshrrev_b64 v[10:11], v10, v[14:15]
; %bb.9798:                             ;   in Loop: Header=BB4_9447 Depth=2
	s_and_not1_saveexec_b32 s11, s11
; %bb.9799:                             ;   in Loop: Header=BB4_9447 Depth=2
	v_mov_b64_e32 v[10:11], v[14:15]
	v_bfe_u32 v3, v14, 23, 1
; %bb.9800:                             ;   in Loop: Header=BB4_9447 Depth=2
	s_or_b32 exec_lo, exec_lo, s11
	s_delay_alu instid0(VALU_DEP_2) | instskip(NEXT) | instid1(VALU_DEP_2)
	v_lshrrev_b64 v[10:11], 20, v[10:11]
	v_cmp_gt_i32_e32 vcc_lo, 16, v3
	v_min_i32_e32 v14, 15, v3
	v_cmp_eq_u32_e64 s11, 0, v3
	s_delay_alu instid0(VALU_DEP_4) | instskip(NEXT) | instid1(VALU_DEP_3)
	v_cndmask_b32_e32 v10, 7, v10, vcc_lo
	v_dual_cndmask_b32 v11, 0, v11 :: v_dual_lshlrev_b32 v14, 3, v14
	s_delay_alu instid0(VALU_DEP_1) | instskip(NEXT) | instid1(VALU_DEP_2)
	v_and_b32_e32 v14, 0xf8, v14
	v_cmp_eq_u64_e32 vcc_lo, 0, v[10:11]
	s_delay_alu instid0(VALU_DEP_2)
	v_and_or_b32 v3, v10, 7, v14
	s_and_b32 s11, s11, vcc_lo
	s_delay_alu instid0(VALU_DEP_1) | instid1(SALU_CYCLE_1)
	v_cndmask_b32_e64 v3, v3, 0, s11
	s_delay_alu instid0(VALU_DEP_1)
	v_or_b32_e32 v3, v3, v113
.LBB4_9801:                             ;   in Loop: Header=BB4_9447 Depth=2
	s_or_b32 exec_lo, exec_lo, s40
                                        ; implicit-def: $vgpr113
.LBB4_9802:                             ;   in Loop: Header=BB4_9447 Depth=2
	s_and_not1_saveexec_b32 s11, s29
; %bb.9803:                             ;   in Loop: Header=BB4_9447 Depth=2
	v_or_b32_e32 v3, 0x7e, v113
; %bb.9804:                             ;   in Loop: Header=BB4_9447 Depth=2
	s_or_b32 exec_lo, exec_lo, s11
                                        ; implicit-def: $vgpr11
.LBB4_9805:                             ;   in Loop: Header=BB4_9447 Depth=2
	s_and_not1_saveexec_b32 s11, s28
; %bb.9806:                             ;   in Loop: Header=BB4_9447 Depth=2
	v_or_b32_e32 v3, 0x7f, v11
; %bb.9807:                             ;   in Loop: Header=BB4_9447 Depth=2
	s_or_b32 exec_lo, exec_lo, s11
	v_mov_b32_e32 v11, 0
	s_mov_b32 s11, exec_lo
	v_cmpx_lt_u64_e64 s[12:13], v[12:13]
	s_cbranch_execz .LBB4_9815
; %bb.9808:                             ;   in Loop: Header=BB4_9447 Depth=2
	v_lshrrev_b32_e32 v10, 24, v13
	v_bfrev_b32_e32 v11, 1
	s_mov_b32 s28, exec_lo
	s_delay_alu instid0(VALU_DEP_2)
	v_cmpx_ne_u32_e32 0x80, v10
	s_cbranch_execz .LBB4_9814
; %bb.9809:                             ;   in Loop: Header=BB4_9447 Depth=2
	v_bfe_u32 v12, v13, 24, 7
	v_mov_b32_e32 v11, 0x7f800001
	s_mov_b32 s29, exec_lo
	s_delay_alu instid0(VALU_DEP_2)
	v_cmpx_ne_u32_e32 0x7f, v12
	s_cbranch_execz .LBB4_9813
; %bb.9810:                             ;   in Loop: Header=BB4_9447 Depth=2
	v_dual_lshrrev_b32 v11, 3, v12 :: v_dual_bitop2_b32 v14, 7, v10 bitop3:0x40
	s_mov_b32 s40, exec_lo
	v_cmpx_gt_u32_e32 8, v12
; %bb.9811:                             ;   in Loop: Header=BB4_9447 Depth=2
	s_delay_alu instid0(VALU_DEP_2) | instskip(NEXT) | instid1(VALU_DEP_1)
	v_clz_i32_u32_e32 v11, v14
	v_min_u32_e32 v11, 32, v11
	s_delay_alu instid0(VALU_DEP_1) | instskip(NEXT) | instid1(VALU_DEP_1)
	v_subrev_nc_u32_e32 v12, 28, v11
	v_lshlrev_b64_e32 v[12:13], v12, v[14:15]
	s_delay_alu instid0(VALU_DEP_1)
	v_dual_sub_nc_u32 v11, 29, v11 :: v_dual_bitop2_b32 v14, 7, v12 bitop3:0x40
; %bb.9812:                             ;   in Loop: Header=BB4_9447 Depth=2
	s_or_b32 exec_lo, exec_lo, s40
	v_lshlrev_b32_e32 v10, 24, v10
	s_delay_alu instid0(VALU_DEP_2) | instskip(NEXT) | instid1(VALU_DEP_3)
	v_lshlrev_b32_e32 v12, 20, v14
	v_lshl_add_u32 v11, v11, 23, 0x3c000000
	s_delay_alu instid0(VALU_DEP_3) | instskip(NEXT) | instid1(VALU_DEP_1)
	v_and_b32_e32 v10, 0x80000000, v10
	v_or3_b32 v11, v12, v10, v11
.LBB4_9813:                             ;   in Loop: Header=BB4_9447 Depth=2
	s_or_b32 exec_lo, exec_lo, s29
.LBB4_9814:                             ;   in Loop: Header=BB4_9447 Depth=2
	s_delay_alu instid0(SALU_CYCLE_1)
	s_or_b32 exec_lo, exec_lo, s28
.LBB4_9815:                             ;   in Loop: Header=BB4_9447 Depth=2
	s_delay_alu instid0(SALU_CYCLE_1) | instskip(NEXT) | instid1(VALU_DEP_1)
	s_or_b32 exec_lo, exec_lo, s11
	v_mul_f32_e32 v11, s27, v11
                                        ; implicit-def: $vgpr10
	s_mov_b32 s11, exec_lo
	s_delay_alu instid0(VALU_DEP_1) | instskip(SKIP_1) | instid1(VALU_DEP_2)
	v_and_b32_e32 v14, 0x7f800000, v11
	v_lshrrev_b32_e32 v12, 24, v11
	v_cmpx_ne_u64_e32 0x7f800000, v[14:15]
	s_xor_b32 s27, exec_lo, s11
	s_cbranch_execz .LBB4_9829
; %bb.9816:                             ;   in Loop: Header=BB4_9447 Depth=2
	v_and_b32_e32 v14, 0x7fffffff, v11
	v_and_b32_e32 v82, 0x80, v12
                                        ; implicit-def: $vgpr10
	s_mov_b32 s11, exec_lo
	s_delay_alu instid0(VALU_DEP_2)
	v_cmpx_gt_u64_e32 0x43e00001, v[14:15]
	s_xor_b32 s28, exec_lo, s11
	s_cbranch_execz .LBB4_9826
; %bb.9817:                             ;   in Loop: Header=BB4_9447 Depth=2
	v_mov_b32_e32 v10, 0
	s_mov_b32 s29, exec_lo
	v_cmpx_ne_u32_e32 0, v11
	s_cbranch_execz .LBB4_9825
; %bb.9818:                             ;   in Loop: Header=BB4_9447 Depth=2
	v_bfe_u32 v83, v11, 23, 8
	v_and_b32_e32 v12, 0x7fffff, v11
	s_delay_alu instid0(VALU_DEP_2) | instskip(SKIP_1) | instid1(VALU_DEP_3)
	v_sub_nc_u32_e32 v10, 0x79, v83
	v_cmp_gt_u32_e32 vcc_lo, 0x7a, v83
	v_or_b32_e32 v13, 0x800000, v12
	s_delay_alu instid0(VALU_DEP_3) | instskip(SKIP_1) | instid1(VALU_DEP_3)
	v_cndmask_b32_e32 v10, 0, v10, vcc_lo
	v_cmp_eq_u32_e32 vcc_lo, 0, v83
	v_cndmask_b32_e32 v14, v13, v12, vcc_lo
	s_delay_alu instid0(VALU_DEP_3) | instskip(NEXT) | instid1(VALU_DEP_1)
	v_cndmask_b32_e64 v98, v10, 0x78, vcc_lo
	v_dual_add_nc_u32 v10, 20, v98 :: v_dual_add_nc_u32 v20, 19, v98
	s_delay_alu instid0(VALU_DEP_1) | instskip(NEXT) | instid1(VALU_DEP_2)
	v_lshlrev_b64_e64 v[10:11], v10, -1
	v_lshlrev_b64_e64 v[12:13], v20, 1
	s_delay_alu instid0(VALU_DEP_2) | instskip(NEXT) | instid1(VALU_DEP_3)
	v_bfi_b32 v21, v11, 0, 0
	v_bfi_b32 v20, v10, 0, v14
	v_lshrrev_b64 v[10:11], v98, v[14:15]
	s_delay_alu instid0(VALU_DEP_2) | instskip(NEXT) | instid1(VALU_DEP_2)
	v_cmp_eq_u64_e64 s11, v[20:21], v[12:13]
	v_mov_b64_e32 v[12:13], v[10:11]
	s_and_saveexec_b32 s40, s11
; %bb.9819:                             ;   in Loop: Header=BB4_9447 Depth=2
	v_bfe_u32 v14, v10, 20, 1
	s_delay_alu instid0(VALU_DEP_1) | instskip(NEXT) | instid1(VALU_DEP_1)
	v_add_nc_u64_e32 v[12:13], v[10:11], v[14:15]
	v_add_nc_u64_e32 v[12:13], -1, v[12:13]
; %bb.9820:                             ;   in Loop: Header=BB4_9447 Depth=2
	s_or_b32 exec_lo, exec_lo, s40
	v_add_nc_u32_e32 v11, 0xffffff81, v83
	v_lshrrev_b32_e32 v13, 23, v10
	s_mov_b32 s11, exec_lo
	s_delay_alu instid0(VALU_DEP_2) | instskip(NEXT) | instid1(VALU_DEP_1)
	v_cndmask_b32_e64 v11, v11, 0xffffff82, vcc_lo
	v_add3_u32 v13, v98, v11, v13
	v_and_b32_e32 v11, 0xfffff, v12
                                        ; implicit-def: $vgpr12
	s_delay_alu instid0(VALU_DEP_1) | instskip(NEXT) | instid1(VALU_DEP_1)
	v_dual_add_nc_u32 v83, 6, v13 :: v_dual_add_nc_u32 v14, v11, v10
                                        ; implicit-def: $vgpr10_vgpr11
	v_cmpx_ne_u32_e32 0, v83
	s_xor_b32 s11, exec_lo, s11
; %bb.9821:                             ;   in Loop: Header=BB4_9447 Depth=2
	s_delay_alu instid0(VALU_DEP_2) | instskip(SKIP_1) | instid1(VALU_DEP_1)
	v_cmp_lt_u64_e32 vcc_lo, 0xffffff, v[14:15]
	v_add_nc_u32_e32 v10, 7, v13
	v_cndmask_b32_e32 v12, v83, v10, vcc_lo
	v_cndmask_b32_e64 v10, 0, 1, vcc_lo
	s_delay_alu instid0(VALU_DEP_1)
	v_lshrrev_b64 v[10:11], v10, v[14:15]
; %bb.9822:                             ;   in Loop: Header=BB4_9447 Depth=2
	s_and_not1_saveexec_b32 s11, s11
; %bb.9823:                             ;   in Loop: Header=BB4_9447 Depth=2
	v_mov_b64_e32 v[10:11], v[14:15]
	v_bfe_u32 v12, v14, 23, 1
; %bb.9824:                             ;   in Loop: Header=BB4_9447 Depth=2
	s_or_b32 exec_lo, exec_lo, s11
	s_delay_alu instid0(VALU_DEP_2) | instskip(NEXT) | instid1(VALU_DEP_2)
	v_lshrrev_b64 v[10:11], 20, v[10:11]
	v_cmp_gt_i32_e32 vcc_lo, 16, v12
	v_min_i32_e32 v13, 15, v12
	v_cmp_eq_u32_e64 s11, 0, v12
	s_delay_alu instid0(VALU_DEP_2) | instskip(SKIP_1) | instid1(VALU_DEP_2)
	v_dual_cndmask_b32 v11, 0, v11, vcc_lo :: v_dual_lshlrev_b32 v13, 3, v13
	v_cndmask_b32_e32 v10, 7, v10, vcc_lo
	v_and_b32_e32 v13, 0xf8, v13
	s_delay_alu instid0(VALU_DEP_2) | instskip(NEXT) | instid1(VALU_DEP_2)
	v_cmp_eq_u64_e32 vcc_lo, 0, v[10:11]
	v_and_or_b32 v10, v10, 7, v13
	s_and_b32 s11, s11, vcc_lo
	s_delay_alu instid0(VALU_DEP_1) | instid1(SALU_CYCLE_1)
	v_cndmask_b32_e64 v10, v10, 0, s11
	s_delay_alu instid0(VALU_DEP_1)
	v_or_b32_e32 v10, v10, v82
.LBB4_9825:                             ;   in Loop: Header=BB4_9447 Depth=2
	s_or_b32 exec_lo, exec_lo, s29
                                        ; implicit-def: $vgpr82
.LBB4_9826:                             ;   in Loop: Header=BB4_9447 Depth=2
	s_and_not1_saveexec_b32 s11, s28
; %bb.9827:                             ;   in Loop: Header=BB4_9447 Depth=2
	v_or_b32_e32 v10, 0x7e, v82
; %bb.9828:                             ;   in Loop: Header=BB4_9447 Depth=2
	s_or_b32 exec_lo, exec_lo, s11
                                        ; implicit-def: $vgpr12
.LBB4_9829:                             ;   in Loop: Header=BB4_9447 Depth=2
	s_and_not1_saveexec_b32 s11, s27
	s_cbranch_execz .LBB4_9446
; %bb.9830:                             ;   in Loop: Header=BB4_9447 Depth=2
	v_or_b32_e32 v10, 0x7f, v12
	s_branch .LBB4_9446
.LBB4_9831:                             ;   in Loop: Header=BB4_7855 Depth=1
	s_or_b32 exec_lo, exec_lo, s24
.LBB4_9832:                             ;   in Loop: Header=BB4_7855 Depth=1
	s_delay_alu instid0(SALU_CYCLE_1) | instskip(SKIP_3) | instid1(VALU_DEP_2)
	s_or_b32 exec_lo, exec_lo, s23
	v_cmp_lt_i32_e32 vcc_lo, 0, v87
	v_and_b32_e32 v2, 15, v65
	v_and_b32_e32 v3, 0x1f0, v65
	v_dual_cndmask_b32 v10, 0, v16, vcc_lo :: v_dual_cndmask_b32 v85, v86, v2, s10
	s_delay_alu instid0(VALU_DEP_2) | instskip(NEXT) | instid1(VALU_DEP_2)
	v_cndmask_b32_e64 v2, 0, v3, s10
	v_sub_nc_u32_e32 v3, v10, v87
	s_delay_alu instid0(VALU_DEP_3) | instskip(NEXT) | instid1(VALU_DEP_3)
	v_cmp_ne_u32_e32 vcc_lo, 0, v85
	v_and_or_b32 v84, 0x3ffffe00, v65, v2
	s_delay_alu instid0(VALU_DEP_3)
	v_lshl_add_u32 v86, v3, 5, v67
	s_and_b32 s10, vcc_lo, exec_lo
.LBB4_9833:                             ;   in Loop: Header=BB4_7855 Depth=1
	s_or_b32 exec_lo, exec_lo, s22
	s_and_saveexec_b32 s22, s10
	s_cbranch_execz .LBB4_10326
.LBB4_9834:                             ;   in Loop: Header=BB4_7855 Depth=1
	v_dual_ashrrev_i32 v2, 31, v86 :: v_dual_lshrrev_b32 v3, 9, v85
	s_mov_b32 s23, exec_lo
	s_delay_alu instid0(VALU_DEP_1) | instskip(NEXT) | instid1(VALU_DEP_1)
	v_lshrrev_b32_e32 v2, 27, v2
	v_add_nc_u32_e32 v2, v86, v2
	s_delay_alu instid0(VALU_DEP_1) | instskip(NEXT) | instid1(VALU_DEP_1)
	v_ashrrev_i32_e32 v67, 5, v2
	v_sub_nc_u32_e32 v87, v3, v67
	s_delay_alu instid0(VALU_DEP_1)
	v_cmpx_lt_i32_e32 0, v87
	s_cbranch_execz .LBB4_10290
; %bb.9835:                             ;   in Loop: Header=BB4_7855 Depth=1
	v_and_b32_e32 v2, 0xffffffe0, v2
	s_mov_b32 s24, 0
	s_delay_alu instid0(VALU_DEP_1) | instskip(NEXT) | instid1(VALU_DEP_1)
	v_dual_lshlrev_b32 v3, 9, v67 :: v_dual_sub_nc_u32 v2, v86, v2
	v_add3_u32 v10, v84, v2, v3
	s_delay_alu instid0(VALU_DEP_1)
	v_ashrrev_i32_e32 v11, 31, v10
	s_branch .LBB4_9837
.LBB4_9836:                             ;   in Loop: Header=BB4_9837 Depth=2
	s_or_b32 exec_lo, exec_lo, s10
	v_sub_nc_u32_e32 v87, v87, v16
	v_add_nc_u64_e32 v[20:21], v[10:11], v[70:71]
	v_add_nc_u64_e32 v[68:69], v[68:69], v[48:49]
	;; [unrolled: 1-line block ×3, first 2 shown]
	s_clause 0x7
	flat_store_b8 v[20:21], v96 th:TH_STORE_NT
	flat_store_b8 v[20:21], v97 offset:32 th:TH_STORE_NT
	flat_store_b8 v[20:21], v100 offset:64 th:TH_STORE_NT
	;; [unrolled: 1-line block ×7, first 2 shown]
	v_cmp_gt_i32_e32 vcc_lo, 1, v87
	s_clause 0x7
	flat_store_b8 v[20:21], v116 offset:256 th:TH_STORE_NT
	flat_store_b8 v[20:21], v117 offset:288 th:TH_STORE_NT
	;; [unrolled: 1-line block ×8, first 2 shown]
	s_or_b32 s24, vcc_lo, s24
	s_wait_xcnt 0x0
	s_and_not1_b32 exec_lo, exec_lo, s24
	s_cbranch_execz .LBB4_10289
.LBB4_9837:                             ;   Parent Loop BB4_7855 Depth=1
                                        ; =>  This Inner Loop Header: Depth=2
	s_trap 2
	ds_load_b64 v[12:13], v0
	s_mov_b32 s25, 0
	s_wait_dscnt 0x0
	v_and_b32_e32 v2, 0xff, v12
	v_readfirstlane_b32 s10, v12
	v_readfirstlane_b32 s11, v13
	s_delay_alu instid0(VALU_DEP_3)
	v_cmp_eq_u32_e32 vcc_lo, 0, v2
	s_cbranch_vccnz .LBB4_9841
; %bb.9838:                             ;   in Loop: Header=BB4_9837 Depth=2
	v_cmp_eq_u32_e32 vcc_lo, 0x80, v2
	s_brev_b32 s25, 1
	s_cbranch_vccnz .LBB4_9841
; %bb.9839:                             ;   in Loop: Header=BB4_9837 Depth=2
	s_and_b32 s26, s10, 0x7f
	s_mov_b32 s25, 0x7f800001
	s_cmp_eq_u32 s26, 0x7f
	s_cbranch_scc1 .LBB4_9841
; %bb.9840:                             ;   in Loop: Header=BB4_9837 Depth=2
	s_and_b32 s25, s10, 7
	s_lshr_b32 s27, s26, 3
	s_clz_i32_u32 s25, s25
	s_delay_alu instid0(SALU_CYCLE_1) | instskip(NEXT) | instid1(SALU_CYCLE_1)
	s_min_u32 s25, s25, 32
	s_sub_co_i32 s28, s25, 28
	s_sub_co_i32 s25, 29, s25
	s_cmp_lt_u32 s26, 8
	s_cselect_b32 s26, s28, 0
	s_cselect_b32 s25, s25, s27
	s_lshl_b64 s[26:27], s[10:11], s26
	s_lshl_b32 s10, s10, 24
	s_lshl_b32 s11, s26, 20
	;; [unrolled: 1-line block ×3, first 2 shown]
	s_and_b32 s11, s11, 0x700000
	s_and_b32 s10, s10, 0x80000000
	s_add_co_i32 s25, s25, 0x3c000000
	s_or_b32 s10, s11, s10
	s_delay_alu instid0(SALU_CYCLE_1)
	s_or_b32 s25, s25, s10
.LBB4_9841:                             ;   in Loop: Header=BB4_9837 Depth=2
	v_add_nc_u64_e32 v[12:13], v[10:11], v[68:69]
	v_mov_b32_e32 v3, 0
	s_mov_b32 s10, exec_lo
	flat_load_u8 v2, v[12:13] th:TH_LOAD_NT
	s_wait_loadcnt_dscnt 0x0
	v_cmpx_ne_u16_e32 0, v2
	s_cbranch_execz .LBB4_9849
; %bb.9842:                             ;   in Loop: Header=BB4_9837 Depth=2
	v_bfrev_b32_e32 v3, 1
	s_mov_b32 s11, exec_lo
	v_cmpx_ne_u16_e32 0x80, v2
	s_cbranch_execz .LBB4_9848
; %bb.9843:                             ;   in Loop: Header=BB4_9837 Depth=2
	v_and_b32_e32 v14, 0xffff, v2
	v_mov_b32_e32 v3, 0x7f800001
	s_mov_b32 s26, exec_lo
	s_delay_alu instid0(VALU_DEP_2) | instskip(NEXT) | instid1(VALU_DEP_1)
	v_and_b32_e32 v80, 0x7f, v14
	v_cmpx_ne_u32_e32 0x7f, v80
	s_cbranch_execz .LBB4_9847
; %bb.9844:                             ;   in Loop: Header=BB4_9837 Depth=2
	v_dual_lshrrev_b32 v3, 3, v80 :: v_dual_bitop2_b32 v14, 7, v14 bitop3:0x40
	s_mov_b32 s27, exec_lo
	v_cmpx_gt_u32_e32 8, v80
; %bb.9845:                             ;   in Loop: Header=BB4_9837 Depth=2
	s_delay_alu instid0(VALU_DEP_2) | instskip(NEXT) | instid1(VALU_DEP_1)
	v_clz_i32_u32_e32 v3, v14
	v_min_u32_e32 v3, 32, v3
	s_delay_alu instid0(VALU_DEP_1) | instskip(NEXT) | instid1(VALU_DEP_1)
	v_subrev_nc_u32_e32 v20, 28, v3
	v_lshlrev_b64_e32 v[20:21], v20, v[14:15]
	s_delay_alu instid0(VALU_DEP_1)
	v_dual_sub_nc_u32 v3, 29, v3 :: v_dual_bitop2_b32 v14, 7, v20 bitop3:0x40
; %bb.9846:                             ;   in Loop: Header=BB4_9837 Depth=2
	s_or_b32 exec_lo, exec_lo, s27
	v_lshlrev_b32_e32 v2, 24, v2
	s_delay_alu instid0(VALU_DEP_2) | instskip(NEXT) | instid1(VALU_DEP_3)
	v_lshlrev_b32_e32 v14, 20, v14
	v_lshl_add_u32 v3, v3, 23, 0x3c000000
	s_delay_alu instid0(VALU_DEP_3) | instskip(NEXT) | instid1(VALU_DEP_1)
	v_and_b32_e32 v2, 0x80000000, v2
	v_or3_b32 v3, v14, v2, v3
.LBB4_9847:                             ;   in Loop: Header=BB4_9837 Depth=2
	s_or_b32 exec_lo, exec_lo, s26
.LBB4_9848:                             ;   in Loop: Header=BB4_9837 Depth=2
	s_delay_alu instid0(SALU_CYCLE_1)
	s_or_b32 exec_lo, exec_lo, s11
.LBB4_9849:                             ;   in Loop: Header=BB4_9837 Depth=2
	s_delay_alu instid0(SALU_CYCLE_1) | instskip(NEXT) | instid1(VALU_DEP_1)
	s_or_b32 exec_lo, exec_lo, s10
	v_mul_f32_e32 v3, s25, v3
                                        ; implicit-def: $vgpr96
	s_mov_b32 s10, exec_lo
	s_delay_alu instid0(VALU_DEP_1) | instskip(SKIP_1) | instid1(VALU_DEP_2)
	v_and_b32_e32 v14, 0x7f800000, v3
	v_lshrrev_b32_e32 v2, 24, v3
	v_cmpx_ne_u64_e32 0x7f800000, v[14:15]
	s_xor_b32 s11, exec_lo, s10
	s_cbranch_execz .LBB4_9867
; %bb.9850:                             ;   in Loop: Header=BB4_9837 Depth=2
	v_and_b32_e32 v14, 0x7fffffff, v3
	v_and_b32_e32 v2, 0x80, v2
                                        ; implicit-def: $vgpr96
	s_mov_b32 s10, exec_lo
	s_delay_alu instid0(VALU_DEP_2)
	v_cmpx_gt_u64_e32 0x43e00001, v[14:15]
	s_xor_b32 s26, exec_lo, s10
	s_cbranch_execz .LBB4_9864
; %bb.9851:                             ;   in Loop: Header=BB4_9837 Depth=2
	v_mov_b32_e32 v96, 0
	s_mov_b32 s27, exec_lo
	v_cmpx_ne_u32_e32 0, v3
	s_cbranch_execz .LBB4_9863
; %bb.9852:                             ;   in Loop: Header=BB4_9837 Depth=2
	v_bfe_u32 v96, v3, 23, 8
	v_and_b32_e32 v3, 0x7fffff, v3
	s_delay_alu instid0(VALU_DEP_2) | instskip(SKIP_1) | instid1(VALU_DEP_3)
	v_sub_nc_u32_e32 v14, 0x79, v96
	v_cmp_gt_u32_e32 vcc_lo, 0x7a, v96
	v_or_b32_e32 v80, 0x800000, v3
	s_delay_alu instid0(VALU_DEP_3) | instskip(SKIP_1) | instid1(VALU_DEP_2)
	v_cndmask_b32_e32 v14, 0, v14, vcc_lo
	v_cmp_eq_u32_e32 vcc_lo, 0, v96
	v_cndmask_b32_e64 v97, v14, 0x78, vcc_lo
	s_delay_alu instid0(VALU_DEP_1) | instskip(NEXT) | instid1(VALU_DEP_1)
	v_dual_add_nc_u32 v14, 20, v97 :: v_dual_add_nc_u32 v81, 19, v97
	v_lshlrev_b64_e64 v[20:21], v14, -1
	v_cndmask_b32_e32 v14, v80, v3, vcc_lo
	s_delay_alu instid0(VALU_DEP_3) | instskip(NEXT) | instid1(VALU_DEP_2)
	v_lshlrev_b64_e64 v[82:83], v81, 1
	v_lshrrev_b64 v[80:81], v97, v[14:15]
	s_delay_alu instid0(VALU_DEP_4) | instskip(SKIP_1) | instid1(VALU_DEP_1)
	v_bfi_b32 v21, v21, 0, 0
	v_bfi_b32 v20, v20, 0, v14
	v_cmp_eq_u64_e64 s10, v[20:21], v[82:83]
	s_delay_alu instid0(VALU_DEP_4)
	v_mov_b64_e32 v[82:83], v[80:81]
	s_and_saveexec_b32 s28, s10
; %bb.9853:                             ;   in Loop: Header=BB4_9837 Depth=2
	v_bfe_u32 v14, v80, 20, 1
	s_delay_alu instid0(VALU_DEP_1) | instskip(NEXT) | instid1(VALU_DEP_1)
	v_add_nc_u64_e32 v[20:21], v[80:81], v[14:15]
	v_add_nc_u64_e32 v[82:83], -1, v[20:21]
; %bb.9854:                             ;   in Loop: Header=BB4_9837 Depth=2
	s_or_b32 exec_lo, exec_lo, s28
	v_add_nc_u32_e32 v3, 0xffffff81, v96
	v_lshrrev_b32_e32 v14, 23, v80
	s_mov_b32 s10, exec_lo
	s_delay_alu instid0(VALU_DEP_2) | instskip(NEXT) | instid1(VALU_DEP_1)
	v_cndmask_b32_e64 v3, v3, 0xffffff82, vcc_lo
	v_add3_u32 v83, v97, v3, v14
	v_and_b32_e32 v3, 0xfffff, v82
	s_delay_alu instid0(VALU_DEP_1) | instskip(NEXT) | instid1(VALU_DEP_1)
	v_dual_add_nc_u32 v82, 6, v83 :: v_dual_add_nc_u32 v14, v3, v80
                                        ; implicit-def: $vgpr80_vgpr81
                                        ; implicit-def: $vgpr3
	v_cmpx_ne_u32_e32 0, v82
	s_xor_b32 s10, exec_lo, s10
; %bb.9855:                             ;   in Loop: Header=BB4_9837 Depth=2
	s_delay_alu instid0(VALU_DEP_2) | instskip(SKIP_2) | instid1(VALU_DEP_2)
	v_cmp_lt_u64_e32 vcc_lo, 0xffffff, v[14:15]
	v_add_nc_u32_e32 v3, 7, v83
	v_cndmask_b32_e64 v20, 0, 1, vcc_lo
	v_cndmask_b32_e32 v3, v82, v3, vcc_lo
	s_delay_alu instid0(VALU_DEP_2)
	v_lshrrev_b64 v[80:81], v20, v[14:15]
; %bb.9856:                             ;   in Loop: Header=BB4_9837 Depth=2
	s_and_not1_saveexec_b32 s10, s10
; %bb.9857:                             ;   in Loop: Header=BB4_9837 Depth=2
	v_mov_b64_e32 v[80:81], v[14:15]
	v_bfe_u32 v3, v14, 23, 1
; %bb.9858:                             ;   in Loop: Header=BB4_9837 Depth=2
	s_or_b32 exec_lo, exec_lo, s10
	s_delay_alu instid0(VALU_DEP_2) | instskip(NEXT) | instid1(VALU_DEP_2)
	v_lshrrev_b64 v[20:21], 20, v[80:81]
	v_cmp_gt_i32_e32 vcc_lo, 16, v3
	v_cmp_ne_u32_e64 s10, 0, v3
                                        ; implicit-def: $vgpr96
	s_delay_alu instid0(VALU_DEP_3) | instskip(NEXT) | instid1(VALU_DEP_1)
	v_dual_cndmask_b32 v81, 0, v21 :: v_dual_cndmask_b32 v80, 7, v20
	v_cmp_ne_u64_e32 vcc_lo, 0, v[80:81]
	s_or_b32 s10, s10, vcc_lo
	s_delay_alu instid0(SALU_CYCLE_1) | instskip(NEXT) | instid1(SALU_CYCLE_1)
	s_and_saveexec_b32 s28, s10
	s_xor_b32 s10, exec_lo, s28
; %bb.9859:                             ;   in Loop: Header=BB4_9837 Depth=2
	v_min_i32_e32 v3, 15, v3
	s_delay_alu instid0(VALU_DEP_1) | instskip(NEXT) | instid1(VALU_DEP_1)
	v_lshl_or_b32 v2, v3, 3, v2
	v_and_or_b32 v96, v80, 7, v2
                                        ; implicit-def: $vgpr2
; %bb.9860:                             ;   in Loop: Header=BB4_9837 Depth=2
	s_and_not1_saveexec_b32 s10, s10
; %bb.9861:                             ;   in Loop: Header=BB4_9837 Depth=2
	v_mov_b32_e32 v96, v2
; %bb.9862:                             ;   in Loop: Header=BB4_9837 Depth=2
	s_or_b32 exec_lo, exec_lo, s10
.LBB4_9863:                             ;   in Loop: Header=BB4_9837 Depth=2
	s_delay_alu instid0(SALU_CYCLE_1)
	s_or_b32 exec_lo, exec_lo, s27
                                        ; implicit-def: $vgpr2
.LBB4_9864:                             ;   in Loop: Header=BB4_9837 Depth=2
	s_and_not1_saveexec_b32 s10, s26
; %bb.9865:                             ;   in Loop: Header=BB4_9837 Depth=2
	v_or_b32_e32 v96, 0x7e, v2
; %bb.9866:                             ;   in Loop: Header=BB4_9837 Depth=2
	s_or_b32 exec_lo, exec_lo, s10
                                        ; implicit-def: $vgpr2
.LBB4_9867:                             ;   in Loop: Header=BB4_9837 Depth=2
	s_and_not1_saveexec_b32 s10, s11
; %bb.9868:                             ;   in Loop: Header=BB4_9837 Depth=2
	v_or_b32_e32 v96, 0x7f, v2
; %bb.9869:                             ;   in Loop: Header=BB4_9837 Depth=2
	s_or_b32 exec_lo, exec_lo, s10
	flat_load_u8 v2, v[12:13] offset:32 th:TH_LOAD_NT
	v_mov_b32_e32 v3, 0
	s_mov_b32 s10, exec_lo
	s_wait_loadcnt_dscnt 0x0
	v_cmpx_ne_u16_e32 0, v2
	s_cbranch_execz .LBB4_9877
; %bb.9870:                             ;   in Loop: Header=BB4_9837 Depth=2
	v_bfrev_b32_e32 v3, 1
	s_mov_b32 s11, exec_lo
	v_cmpx_ne_u16_e32 0x80, v2
	s_cbranch_execz .LBB4_9876
; %bb.9871:                             ;   in Loop: Header=BB4_9837 Depth=2
	v_and_b32_e32 v14, 0xffff, v2
	v_mov_b32_e32 v3, 0x7f800001
	s_mov_b32 s26, exec_lo
	s_delay_alu instid0(VALU_DEP_2) | instskip(NEXT) | instid1(VALU_DEP_1)
	v_and_b32_e32 v80, 0x7f, v14
	v_cmpx_ne_u32_e32 0x7f, v80
	s_cbranch_execz .LBB4_9875
; %bb.9872:                             ;   in Loop: Header=BB4_9837 Depth=2
	v_dual_lshrrev_b32 v3, 3, v80 :: v_dual_bitop2_b32 v14, 7, v14 bitop3:0x40
	s_mov_b32 s27, exec_lo
	v_cmpx_gt_u32_e32 8, v80
; %bb.9873:                             ;   in Loop: Header=BB4_9837 Depth=2
	s_delay_alu instid0(VALU_DEP_2) | instskip(NEXT) | instid1(VALU_DEP_1)
	v_clz_i32_u32_e32 v3, v14
	v_min_u32_e32 v3, 32, v3
	s_delay_alu instid0(VALU_DEP_1) | instskip(NEXT) | instid1(VALU_DEP_1)
	v_subrev_nc_u32_e32 v20, 28, v3
	v_lshlrev_b64_e32 v[20:21], v20, v[14:15]
	s_delay_alu instid0(VALU_DEP_1)
	v_dual_sub_nc_u32 v3, 29, v3 :: v_dual_bitop2_b32 v14, 7, v20 bitop3:0x40
; %bb.9874:                             ;   in Loop: Header=BB4_9837 Depth=2
	s_or_b32 exec_lo, exec_lo, s27
	v_lshlrev_b32_e32 v2, 24, v2
	s_delay_alu instid0(VALU_DEP_2) | instskip(NEXT) | instid1(VALU_DEP_3)
	v_lshlrev_b32_e32 v14, 20, v14
	v_lshl_add_u32 v3, v3, 23, 0x3c000000
	s_delay_alu instid0(VALU_DEP_3) | instskip(NEXT) | instid1(VALU_DEP_1)
	v_and_b32_e32 v2, 0x80000000, v2
	v_or3_b32 v3, v14, v2, v3
.LBB4_9875:                             ;   in Loop: Header=BB4_9837 Depth=2
	s_or_b32 exec_lo, exec_lo, s26
.LBB4_9876:                             ;   in Loop: Header=BB4_9837 Depth=2
	s_delay_alu instid0(SALU_CYCLE_1)
	s_or_b32 exec_lo, exec_lo, s11
.LBB4_9877:                             ;   in Loop: Header=BB4_9837 Depth=2
	s_delay_alu instid0(SALU_CYCLE_1) | instskip(NEXT) | instid1(VALU_DEP_1)
	s_or_b32 exec_lo, exec_lo, s10
	v_mul_f32_e32 v3, s25, v3
                                        ; implicit-def: $vgpr97
	s_mov_b32 s10, exec_lo
	s_delay_alu instid0(VALU_DEP_1) | instskip(SKIP_1) | instid1(VALU_DEP_2)
	v_and_b32_e32 v14, 0x7f800000, v3
	v_lshrrev_b32_e32 v2, 24, v3
	v_cmpx_ne_u64_e32 0x7f800000, v[14:15]
	s_xor_b32 s11, exec_lo, s10
	s_cbranch_execz .LBB4_9895
; %bb.9878:                             ;   in Loop: Header=BB4_9837 Depth=2
	v_and_b32_e32 v14, 0x7fffffff, v3
	v_and_b32_e32 v2, 0x80, v2
                                        ; implicit-def: $vgpr97
	s_mov_b32 s10, exec_lo
	s_delay_alu instid0(VALU_DEP_2)
	v_cmpx_gt_u64_e32 0x43e00001, v[14:15]
	s_xor_b32 s26, exec_lo, s10
	s_cbranch_execz .LBB4_9892
; %bb.9879:                             ;   in Loop: Header=BB4_9837 Depth=2
	v_mov_b32_e32 v97, 0
	s_mov_b32 s27, exec_lo
	v_cmpx_ne_u32_e32 0, v3
	s_cbranch_execz .LBB4_9891
; %bb.9880:                             ;   in Loop: Header=BB4_9837 Depth=2
	v_bfe_u32 v97, v3, 23, 8
	v_and_b32_e32 v3, 0x7fffff, v3
	s_delay_alu instid0(VALU_DEP_2) | instskip(SKIP_1) | instid1(VALU_DEP_3)
	v_sub_nc_u32_e32 v14, 0x79, v97
	v_cmp_gt_u32_e32 vcc_lo, 0x7a, v97
	v_or_b32_e32 v80, 0x800000, v3
	s_delay_alu instid0(VALU_DEP_3) | instskip(SKIP_1) | instid1(VALU_DEP_2)
	v_cndmask_b32_e32 v14, 0, v14, vcc_lo
	v_cmp_eq_u32_e32 vcc_lo, 0, v97
	v_cndmask_b32_e64 v98, v14, 0x78, vcc_lo
	s_delay_alu instid0(VALU_DEP_1) | instskip(NEXT) | instid1(VALU_DEP_1)
	v_dual_add_nc_u32 v14, 20, v98 :: v_dual_add_nc_u32 v81, 19, v98
	v_lshlrev_b64_e64 v[20:21], v14, -1
	v_cndmask_b32_e32 v14, v80, v3, vcc_lo
	s_delay_alu instid0(VALU_DEP_3) | instskip(NEXT) | instid1(VALU_DEP_2)
	v_lshlrev_b64_e64 v[82:83], v81, 1
	v_lshrrev_b64 v[80:81], v98, v[14:15]
	s_delay_alu instid0(VALU_DEP_4) | instskip(SKIP_1) | instid1(VALU_DEP_1)
	v_bfi_b32 v21, v21, 0, 0
	v_bfi_b32 v20, v20, 0, v14
	v_cmp_eq_u64_e64 s10, v[20:21], v[82:83]
	s_delay_alu instid0(VALU_DEP_4)
	v_mov_b64_e32 v[82:83], v[80:81]
	s_and_saveexec_b32 s28, s10
; %bb.9881:                             ;   in Loop: Header=BB4_9837 Depth=2
	v_bfe_u32 v14, v80, 20, 1
	s_delay_alu instid0(VALU_DEP_1) | instskip(NEXT) | instid1(VALU_DEP_1)
	v_add_nc_u64_e32 v[20:21], v[80:81], v[14:15]
	v_add_nc_u64_e32 v[82:83], -1, v[20:21]
; %bb.9882:                             ;   in Loop: Header=BB4_9837 Depth=2
	s_or_b32 exec_lo, exec_lo, s28
	v_add_nc_u32_e32 v3, 0xffffff81, v97
	v_lshrrev_b32_e32 v14, 23, v80
	s_mov_b32 s10, exec_lo
	s_delay_alu instid0(VALU_DEP_2) | instskip(NEXT) | instid1(VALU_DEP_1)
	v_cndmask_b32_e64 v3, v3, 0xffffff82, vcc_lo
	v_add3_u32 v83, v98, v3, v14
	v_and_b32_e32 v3, 0xfffff, v82
	s_delay_alu instid0(VALU_DEP_1) | instskip(NEXT) | instid1(VALU_DEP_1)
	v_dual_add_nc_u32 v82, 6, v83 :: v_dual_add_nc_u32 v14, v3, v80
                                        ; implicit-def: $vgpr80_vgpr81
                                        ; implicit-def: $vgpr3
	v_cmpx_ne_u32_e32 0, v82
	s_xor_b32 s10, exec_lo, s10
; %bb.9883:                             ;   in Loop: Header=BB4_9837 Depth=2
	s_delay_alu instid0(VALU_DEP_2) | instskip(SKIP_2) | instid1(VALU_DEP_2)
	v_cmp_lt_u64_e32 vcc_lo, 0xffffff, v[14:15]
	v_add_nc_u32_e32 v3, 7, v83
	v_cndmask_b32_e64 v20, 0, 1, vcc_lo
	v_cndmask_b32_e32 v3, v82, v3, vcc_lo
	s_delay_alu instid0(VALU_DEP_2)
	v_lshrrev_b64 v[80:81], v20, v[14:15]
; %bb.9884:                             ;   in Loop: Header=BB4_9837 Depth=2
	s_and_not1_saveexec_b32 s10, s10
; %bb.9885:                             ;   in Loop: Header=BB4_9837 Depth=2
	v_mov_b64_e32 v[80:81], v[14:15]
	v_bfe_u32 v3, v14, 23, 1
; %bb.9886:                             ;   in Loop: Header=BB4_9837 Depth=2
	s_or_b32 exec_lo, exec_lo, s10
	s_delay_alu instid0(VALU_DEP_2) | instskip(NEXT) | instid1(VALU_DEP_2)
	v_lshrrev_b64 v[20:21], 20, v[80:81]
	v_cmp_gt_i32_e32 vcc_lo, 16, v3
	v_cmp_ne_u32_e64 s10, 0, v3
                                        ; implicit-def: $vgpr97
	s_delay_alu instid0(VALU_DEP_3) | instskip(NEXT) | instid1(VALU_DEP_1)
	v_dual_cndmask_b32 v81, 0, v21 :: v_dual_cndmask_b32 v80, 7, v20
	v_cmp_ne_u64_e32 vcc_lo, 0, v[80:81]
	s_or_b32 s10, s10, vcc_lo
	s_delay_alu instid0(SALU_CYCLE_1) | instskip(NEXT) | instid1(SALU_CYCLE_1)
	s_and_saveexec_b32 s28, s10
	s_xor_b32 s10, exec_lo, s28
; %bb.9887:                             ;   in Loop: Header=BB4_9837 Depth=2
	v_min_i32_e32 v3, 15, v3
	s_delay_alu instid0(VALU_DEP_1) | instskip(NEXT) | instid1(VALU_DEP_1)
	v_lshl_or_b32 v2, v3, 3, v2
	v_and_or_b32 v97, v80, 7, v2
                                        ; implicit-def: $vgpr2
; %bb.9888:                             ;   in Loop: Header=BB4_9837 Depth=2
	s_and_not1_saveexec_b32 s10, s10
; %bb.9889:                             ;   in Loop: Header=BB4_9837 Depth=2
	v_mov_b32_e32 v97, v2
; %bb.9890:                             ;   in Loop: Header=BB4_9837 Depth=2
	s_or_b32 exec_lo, exec_lo, s10
.LBB4_9891:                             ;   in Loop: Header=BB4_9837 Depth=2
	s_delay_alu instid0(SALU_CYCLE_1)
	s_or_b32 exec_lo, exec_lo, s27
                                        ; implicit-def: $vgpr2
.LBB4_9892:                             ;   in Loop: Header=BB4_9837 Depth=2
	s_and_not1_saveexec_b32 s10, s26
; %bb.9893:                             ;   in Loop: Header=BB4_9837 Depth=2
	v_or_b32_e32 v97, 0x7e, v2
; %bb.9894:                             ;   in Loop: Header=BB4_9837 Depth=2
	s_or_b32 exec_lo, exec_lo, s10
                                        ; implicit-def: $vgpr2
.LBB4_9895:                             ;   in Loop: Header=BB4_9837 Depth=2
	s_and_not1_saveexec_b32 s10, s11
; %bb.9896:                             ;   in Loop: Header=BB4_9837 Depth=2
	v_or_b32_e32 v97, 0x7f, v2
; %bb.9897:                             ;   in Loop: Header=BB4_9837 Depth=2
	s_or_b32 exec_lo, exec_lo, s10
	flat_load_u8 v2, v[12:13] offset:64 th:TH_LOAD_NT
	v_mov_b32_e32 v3, 0
	s_mov_b32 s10, exec_lo
	s_wait_loadcnt_dscnt 0x0
	v_cmpx_ne_u16_e32 0, v2
	s_cbranch_execz .LBB4_9905
; %bb.9898:                             ;   in Loop: Header=BB4_9837 Depth=2
	v_bfrev_b32_e32 v3, 1
	s_mov_b32 s11, exec_lo
	v_cmpx_ne_u16_e32 0x80, v2
	s_cbranch_execz .LBB4_9904
; %bb.9899:                             ;   in Loop: Header=BB4_9837 Depth=2
	v_and_b32_e32 v14, 0xffff, v2
	v_mov_b32_e32 v3, 0x7f800001
	s_mov_b32 s26, exec_lo
	s_delay_alu instid0(VALU_DEP_2) | instskip(NEXT) | instid1(VALU_DEP_1)
	v_and_b32_e32 v80, 0x7f, v14
	v_cmpx_ne_u32_e32 0x7f, v80
	s_cbranch_execz .LBB4_9903
; %bb.9900:                             ;   in Loop: Header=BB4_9837 Depth=2
	v_dual_lshrrev_b32 v3, 3, v80 :: v_dual_bitop2_b32 v14, 7, v14 bitop3:0x40
	s_mov_b32 s27, exec_lo
	v_cmpx_gt_u32_e32 8, v80
; %bb.9901:                             ;   in Loop: Header=BB4_9837 Depth=2
	s_delay_alu instid0(VALU_DEP_2) | instskip(NEXT) | instid1(VALU_DEP_1)
	v_clz_i32_u32_e32 v3, v14
	v_min_u32_e32 v3, 32, v3
	s_delay_alu instid0(VALU_DEP_1) | instskip(NEXT) | instid1(VALU_DEP_1)
	v_subrev_nc_u32_e32 v20, 28, v3
	v_lshlrev_b64_e32 v[20:21], v20, v[14:15]
	s_delay_alu instid0(VALU_DEP_1)
	v_dual_sub_nc_u32 v3, 29, v3 :: v_dual_bitop2_b32 v14, 7, v20 bitop3:0x40
; %bb.9902:                             ;   in Loop: Header=BB4_9837 Depth=2
	s_or_b32 exec_lo, exec_lo, s27
	v_lshlrev_b32_e32 v2, 24, v2
	s_delay_alu instid0(VALU_DEP_2) | instskip(NEXT) | instid1(VALU_DEP_3)
	v_lshlrev_b32_e32 v14, 20, v14
	v_lshl_add_u32 v3, v3, 23, 0x3c000000
	s_delay_alu instid0(VALU_DEP_3) | instskip(NEXT) | instid1(VALU_DEP_1)
	v_and_b32_e32 v2, 0x80000000, v2
	v_or3_b32 v3, v14, v2, v3
.LBB4_9903:                             ;   in Loop: Header=BB4_9837 Depth=2
	s_or_b32 exec_lo, exec_lo, s26
.LBB4_9904:                             ;   in Loop: Header=BB4_9837 Depth=2
	s_delay_alu instid0(SALU_CYCLE_1)
	s_or_b32 exec_lo, exec_lo, s11
.LBB4_9905:                             ;   in Loop: Header=BB4_9837 Depth=2
	s_delay_alu instid0(SALU_CYCLE_1) | instskip(NEXT) | instid1(VALU_DEP_1)
	s_or_b32 exec_lo, exec_lo, s10
	v_mul_f32_e32 v3, s25, v3
                                        ; implicit-def: $vgpr100
	s_mov_b32 s10, exec_lo
	s_delay_alu instid0(VALU_DEP_1) | instskip(SKIP_1) | instid1(VALU_DEP_2)
	v_and_b32_e32 v14, 0x7f800000, v3
	v_lshrrev_b32_e32 v2, 24, v3
	v_cmpx_ne_u64_e32 0x7f800000, v[14:15]
	s_xor_b32 s11, exec_lo, s10
	s_cbranch_execz .LBB4_9923
; %bb.9906:                             ;   in Loop: Header=BB4_9837 Depth=2
	v_and_b32_e32 v14, 0x7fffffff, v3
	v_and_b32_e32 v2, 0x80, v2
                                        ; implicit-def: $vgpr100
	s_mov_b32 s10, exec_lo
	s_delay_alu instid0(VALU_DEP_2)
	v_cmpx_gt_u64_e32 0x43e00001, v[14:15]
	s_xor_b32 s26, exec_lo, s10
	s_cbranch_execz .LBB4_9920
; %bb.9907:                             ;   in Loop: Header=BB4_9837 Depth=2
	v_mov_b32_e32 v100, 0
	s_mov_b32 s27, exec_lo
	v_cmpx_ne_u32_e32 0, v3
	s_cbranch_execz .LBB4_9919
; %bb.9908:                             ;   in Loop: Header=BB4_9837 Depth=2
	v_bfe_u32 v98, v3, 23, 8
	v_and_b32_e32 v3, 0x7fffff, v3
	s_delay_alu instid0(VALU_DEP_2) | instskip(SKIP_1) | instid1(VALU_DEP_3)
	v_sub_nc_u32_e32 v14, 0x79, v98
	v_cmp_gt_u32_e32 vcc_lo, 0x7a, v98
	v_or_b32_e32 v80, 0x800000, v3
	s_delay_alu instid0(VALU_DEP_3) | instskip(SKIP_1) | instid1(VALU_DEP_2)
	v_cndmask_b32_e32 v14, 0, v14, vcc_lo
	v_cmp_eq_u32_e32 vcc_lo, 0, v98
	v_cndmask_b32_e64 v100, v14, 0x78, vcc_lo
	s_delay_alu instid0(VALU_DEP_1) | instskip(NEXT) | instid1(VALU_DEP_1)
	v_dual_add_nc_u32 v14, 20, v100 :: v_dual_add_nc_u32 v81, 19, v100
	v_lshlrev_b64_e64 v[20:21], v14, -1
	v_cndmask_b32_e32 v14, v80, v3, vcc_lo
	s_delay_alu instid0(VALU_DEP_3) | instskip(NEXT) | instid1(VALU_DEP_2)
	v_lshlrev_b64_e64 v[82:83], v81, 1
	v_lshrrev_b64 v[80:81], v100, v[14:15]
	s_delay_alu instid0(VALU_DEP_4) | instskip(SKIP_1) | instid1(VALU_DEP_1)
	v_bfi_b32 v21, v21, 0, 0
	v_bfi_b32 v20, v20, 0, v14
	v_cmp_eq_u64_e64 s10, v[20:21], v[82:83]
	s_delay_alu instid0(VALU_DEP_4)
	v_mov_b64_e32 v[82:83], v[80:81]
	s_and_saveexec_b32 s28, s10
; %bb.9909:                             ;   in Loop: Header=BB4_9837 Depth=2
	v_bfe_u32 v14, v80, 20, 1
	s_delay_alu instid0(VALU_DEP_1) | instskip(NEXT) | instid1(VALU_DEP_1)
	v_add_nc_u64_e32 v[20:21], v[80:81], v[14:15]
	v_add_nc_u64_e32 v[82:83], -1, v[20:21]
; %bb.9910:                             ;   in Loop: Header=BB4_9837 Depth=2
	s_or_b32 exec_lo, exec_lo, s28
	v_add_nc_u32_e32 v3, 0xffffff81, v98
	v_lshrrev_b32_e32 v14, 23, v80
	s_mov_b32 s10, exec_lo
	s_delay_alu instid0(VALU_DEP_2) | instskip(NEXT) | instid1(VALU_DEP_1)
	v_cndmask_b32_e64 v3, v3, 0xffffff82, vcc_lo
	v_add3_u32 v83, v100, v3, v14
	v_and_b32_e32 v3, 0xfffff, v82
	s_delay_alu instid0(VALU_DEP_1) | instskip(NEXT) | instid1(VALU_DEP_1)
	v_dual_add_nc_u32 v82, 6, v83 :: v_dual_add_nc_u32 v14, v3, v80
                                        ; implicit-def: $vgpr80_vgpr81
                                        ; implicit-def: $vgpr3
	v_cmpx_ne_u32_e32 0, v82
	s_xor_b32 s10, exec_lo, s10
; %bb.9911:                             ;   in Loop: Header=BB4_9837 Depth=2
	s_delay_alu instid0(VALU_DEP_2) | instskip(SKIP_2) | instid1(VALU_DEP_2)
	v_cmp_lt_u64_e32 vcc_lo, 0xffffff, v[14:15]
	v_add_nc_u32_e32 v3, 7, v83
	v_cndmask_b32_e64 v20, 0, 1, vcc_lo
	v_cndmask_b32_e32 v3, v82, v3, vcc_lo
	s_delay_alu instid0(VALU_DEP_2)
	v_lshrrev_b64 v[80:81], v20, v[14:15]
; %bb.9912:                             ;   in Loop: Header=BB4_9837 Depth=2
	s_and_not1_saveexec_b32 s10, s10
; %bb.9913:                             ;   in Loop: Header=BB4_9837 Depth=2
	v_mov_b64_e32 v[80:81], v[14:15]
	v_bfe_u32 v3, v14, 23, 1
; %bb.9914:                             ;   in Loop: Header=BB4_9837 Depth=2
	s_or_b32 exec_lo, exec_lo, s10
	s_delay_alu instid0(VALU_DEP_2) | instskip(NEXT) | instid1(VALU_DEP_2)
	v_lshrrev_b64 v[20:21], 20, v[80:81]
	v_cmp_gt_i32_e32 vcc_lo, 16, v3
	v_cmp_ne_u32_e64 s10, 0, v3
                                        ; implicit-def: $vgpr100
	s_delay_alu instid0(VALU_DEP_3) | instskip(NEXT) | instid1(VALU_DEP_1)
	v_dual_cndmask_b32 v81, 0, v21 :: v_dual_cndmask_b32 v80, 7, v20
	v_cmp_ne_u64_e32 vcc_lo, 0, v[80:81]
	s_or_b32 s10, s10, vcc_lo
	s_delay_alu instid0(SALU_CYCLE_1) | instskip(NEXT) | instid1(SALU_CYCLE_1)
	s_and_saveexec_b32 s28, s10
	s_xor_b32 s10, exec_lo, s28
; %bb.9915:                             ;   in Loop: Header=BB4_9837 Depth=2
	v_min_i32_e32 v3, 15, v3
	s_delay_alu instid0(VALU_DEP_1) | instskip(NEXT) | instid1(VALU_DEP_1)
	v_lshl_or_b32 v2, v3, 3, v2
	v_and_or_b32 v100, v80, 7, v2
                                        ; implicit-def: $vgpr2
; %bb.9916:                             ;   in Loop: Header=BB4_9837 Depth=2
	s_and_not1_saveexec_b32 s10, s10
; %bb.9917:                             ;   in Loop: Header=BB4_9837 Depth=2
	v_mov_b32_e32 v100, v2
; %bb.9918:                             ;   in Loop: Header=BB4_9837 Depth=2
	s_or_b32 exec_lo, exec_lo, s10
.LBB4_9919:                             ;   in Loop: Header=BB4_9837 Depth=2
	s_delay_alu instid0(SALU_CYCLE_1)
	s_or_b32 exec_lo, exec_lo, s27
                                        ; implicit-def: $vgpr2
.LBB4_9920:                             ;   in Loop: Header=BB4_9837 Depth=2
	s_and_not1_saveexec_b32 s10, s26
; %bb.9921:                             ;   in Loop: Header=BB4_9837 Depth=2
	v_or_b32_e32 v100, 0x7e, v2
; %bb.9922:                             ;   in Loop: Header=BB4_9837 Depth=2
	s_or_b32 exec_lo, exec_lo, s10
                                        ; implicit-def: $vgpr2
.LBB4_9923:                             ;   in Loop: Header=BB4_9837 Depth=2
	s_and_not1_saveexec_b32 s10, s11
; %bb.9924:                             ;   in Loop: Header=BB4_9837 Depth=2
	v_or_b32_e32 v100, 0x7f, v2
; %bb.9925:                             ;   in Loop: Header=BB4_9837 Depth=2
	s_or_b32 exec_lo, exec_lo, s10
	flat_load_u8 v2, v[12:13] offset:96 th:TH_LOAD_NT
	v_mov_b32_e32 v3, 0
	s_mov_b32 s10, exec_lo
	s_wait_loadcnt_dscnt 0x0
	v_cmpx_ne_u16_e32 0, v2
	s_cbranch_execz .LBB4_9933
; %bb.9926:                             ;   in Loop: Header=BB4_9837 Depth=2
	v_bfrev_b32_e32 v3, 1
	s_mov_b32 s11, exec_lo
	v_cmpx_ne_u16_e32 0x80, v2
	s_cbranch_execz .LBB4_9932
; %bb.9927:                             ;   in Loop: Header=BB4_9837 Depth=2
	v_and_b32_e32 v14, 0xffff, v2
	v_mov_b32_e32 v3, 0x7f800001
	s_mov_b32 s26, exec_lo
	s_delay_alu instid0(VALU_DEP_2) | instskip(NEXT) | instid1(VALU_DEP_1)
	v_and_b32_e32 v80, 0x7f, v14
	v_cmpx_ne_u32_e32 0x7f, v80
	s_cbranch_execz .LBB4_9931
; %bb.9928:                             ;   in Loop: Header=BB4_9837 Depth=2
	v_dual_lshrrev_b32 v3, 3, v80 :: v_dual_bitop2_b32 v14, 7, v14 bitop3:0x40
	s_mov_b32 s27, exec_lo
	v_cmpx_gt_u32_e32 8, v80
; %bb.9929:                             ;   in Loop: Header=BB4_9837 Depth=2
	s_delay_alu instid0(VALU_DEP_2) | instskip(NEXT) | instid1(VALU_DEP_1)
	v_clz_i32_u32_e32 v3, v14
	v_min_u32_e32 v3, 32, v3
	s_delay_alu instid0(VALU_DEP_1) | instskip(NEXT) | instid1(VALU_DEP_1)
	v_subrev_nc_u32_e32 v20, 28, v3
	v_lshlrev_b64_e32 v[20:21], v20, v[14:15]
	s_delay_alu instid0(VALU_DEP_1)
	v_dual_sub_nc_u32 v3, 29, v3 :: v_dual_bitop2_b32 v14, 7, v20 bitop3:0x40
; %bb.9930:                             ;   in Loop: Header=BB4_9837 Depth=2
	s_or_b32 exec_lo, exec_lo, s27
	v_lshlrev_b32_e32 v2, 24, v2
	s_delay_alu instid0(VALU_DEP_2) | instskip(NEXT) | instid1(VALU_DEP_3)
	v_lshlrev_b32_e32 v14, 20, v14
	v_lshl_add_u32 v3, v3, 23, 0x3c000000
	s_delay_alu instid0(VALU_DEP_3) | instskip(NEXT) | instid1(VALU_DEP_1)
	v_and_b32_e32 v2, 0x80000000, v2
	v_or3_b32 v3, v14, v2, v3
.LBB4_9931:                             ;   in Loop: Header=BB4_9837 Depth=2
	s_or_b32 exec_lo, exec_lo, s26
.LBB4_9932:                             ;   in Loop: Header=BB4_9837 Depth=2
	s_delay_alu instid0(SALU_CYCLE_1)
	s_or_b32 exec_lo, exec_lo, s11
.LBB4_9933:                             ;   in Loop: Header=BB4_9837 Depth=2
	s_delay_alu instid0(SALU_CYCLE_1) | instskip(NEXT) | instid1(VALU_DEP_1)
	s_or_b32 exec_lo, exec_lo, s10
	v_mul_f32_e32 v3, s25, v3
                                        ; implicit-def: $vgpr101
	s_mov_b32 s10, exec_lo
	s_delay_alu instid0(VALU_DEP_1) | instskip(SKIP_1) | instid1(VALU_DEP_2)
	v_and_b32_e32 v14, 0x7f800000, v3
	v_lshrrev_b32_e32 v2, 24, v3
	v_cmpx_ne_u64_e32 0x7f800000, v[14:15]
	s_xor_b32 s11, exec_lo, s10
	s_cbranch_execz .LBB4_9951
; %bb.9934:                             ;   in Loop: Header=BB4_9837 Depth=2
	v_and_b32_e32 v14, 0x7fffffff, v3
	v_and_b32_e32 v2, 0x80, v2
                                        ; implicit-def: $vgpr101
	s_mov_b32 s10, exec_lo
	s_delay_alu instid0(VALU_DEP_2)
	v_cmpx_gt_u64_e32 0x43e00001, v[14:15]
	s_xor_b32 s26, exec_lo, s10
	s_cbranch_execz .LBB4_9948
; %bb.9935:                             ;   in Loop: Header=BB4_9837 Depth=2
	v_mov_b32_e32 v101, 0
	s_mov_b32 s27, exec_lo
	v_cmpx_ne_u32_e32 0, v3
	s_cbranch_execz .LBB4_9947
; %bb.9936:                             ;   in Loop: Header=BB4_9837 Depth=2
	v_bfe_u32 v98, v3, 23, 8
	v_and_b32_e32 v3, 0x7fffff, v3
	s_delay_alu instid0(VALU_DEP_2) | instskip(SKIP_1) | instid1(VALU_DEP_3)
	v_sub_nc_u32_e32 v14, 0x79, v98
	v_cmp_gt_u32_e32 vcc_lo, 0x7a, v98
	v_or_b32_e32 v80, 0x800000, v3
	s_delay_alu instid0(VALU_DEP_3) | instskip(SKIP_1) | instid1(VALU_DEP_2)
	v_cndmask_b32_e32 v14, 0, v14, vcc_lo
	v_cmp_eq_u32_e32 vcc_lo, 0, v98
	v_cndmask_b32_e64 v101, v14, 0x78, vcc_lo
	s_delay_alu instid0(VALU_DEP_1) | instskip(NEXT) | instid1(VALU_DEP_1)
	v_dual_add_nc_u32 v14, 20, v101 :: v_dual_add_nc_u32 v81, 19, v101
	v_lshlrev_b64_e64 v[20:21], v14, -1
	v_cndmask_b32_e32 v14, v80, v3, vcc_lo
	s_delay_alu instid0(VALU_DEP_3) | instskip(NEXT) | instid1(VALU_DEP_2)
	v_lshlrev_b64_e64 v[82:83], v81, 1
	v_lshrrev_b64 v[80:81], v101, v[14:15]
	s_delay_alu instid0(VALU_DEP_4) | instskip(SKIP_1) | instid1(VALU_DEP_1)
	v_bfi_b32 v21, v21, 0, 0
	v_bfi_b32 v20, v20, 0, v14
	v_cmp_eq_u64_e64 s10, v[20:21], v[82:83]
	s_delay_alu instid0(VALU_DEP_4)
	v_mov_b64_e32 v[82:83], v[80:81]
	s_and_saveexec_b32 s28, s10
; %bb.9937:                             ;   in Loop: Header=BB4_9837 Depth=2
	v_bfe_u32 v14, v80, 20, 1
	s_delay_alu instid0(VALU_DEP_1) | instskip(NEXT) | instid1(VALU_DEP_1)
	v_add_nc_u64_e32 v[20:21], v[80:81], v[14:15]
	v_add_nc_u64_e32 v[82:83], -1, v[20:21]
; %bb.9938:                             ;   in Loop: Header=BB4_9837 Depth=2
	s_or_b32 exec_lo, exec_lo, s28
	v_add_nc_u32_e32 v3, 0xffffff81, v98
	v_lshrrev_b32_e32 v14, 23, v80
	s_mov_b32 s10, exec_lo
	s_delay_alu instid0(VALU_DEP_2) | instskip(NEXT) | instid1(VALU_DEP_1)
	v_cndmask_b32_e64 v3, v3, 0xffffff82, vcc_lo
	v_add3_u32 v83, v101, v3, v14
	v_and_b32_e32 v3, 0xfffff, v82
	s_delay_alu instid0(VALU_DEP_1) | instskip(NEXT) | instid1(VALU_DEP_1)
	v_dual_add_nc_u32 v82, 6, v83 :: v_dual_add_nc_u32 v14, v3, v80
                                        ; implicit-def: $vgpr80_vgpr81
                                        ; implicit-def: $vgpr3
	v_cmpx_ne_u32_e32 0, v82
	s_xor_b32 s10, exec_lo, s10
; %bb.9939:                             ;   in Loop: Header=BB4_9837 Depth=2
	s_delay_alu instid0(VALU_DEP_2) | instskip(SKIP_2) | instid1(VALU_DEP_2)
	v_cmp_lt_u64_e32 vcc_lo, 0xffffff, v[14:15]
	v_add_nc_u32_e32 v3, 7, v83
	v_cndmask_b32_e64 v20, 0, 1, vcc_lo
	v_cndmask_b32_e32 v3, v82, v3, vcc_lo
	s_delay_alu instid0(VALU_DEP_2)
	v_lshrrev_b64 v[80:81], v20, v[14:15]
; %bb.9940:                             ;   in Loop: Header=BB4_9837 Depth=2
	s_and_not1_saveexec_b32 s10, s10
; %bb.9941:                             ;   in Loop: Header=BB4_9837 Depth=2
	v_mov_b64_e32 v[80:81], v[14:15]
	v_bfe_u32 v3, v14, 23, 1
; %bb.9942:                             ;   in Loop: Header=BB4_9837 Depth=2
	s_or_b32 exec_lo, exec_lo, s10
	s_delay_alu instid0(VALU_DEP_2) | instskip(NEXT) | instid1(VALU_DEP_2)
	v_lshrrev_b64 v[20:21], 20, v[80:81]
	v_cmp_gt_i32_e32 vcc_lo, 16, v3
	v_cmp_ne_u32_e64 s10, 0, v3
                                        ; implicit-def: $vgpr101
	s_delay_alu instid0(VALU_DEP_3) | instskip(NEXT) | instid1(VALU_DEP_1)
	v_dual_cndmask_b32 v81, 0, v21 :: v_dual_cndmask_b32 v80, 7, v20
	v_cmp_ne_u64_e32 vcc_lo, 0, v[80:81]
	s_or_b32 s10, s10, vcc_lo
	s_delay_alu instid0(SALU_CYCLE_1) | instskip(NEXT) | instid1(SALU_CYCLE_1)
	s_and_saveexec_b32 s28, s10
	s_xor_b32 s10, exec_lo, s28
; %bb.9943:                             ;   in Loop: Header=BB4_9837 Depth=2
	v_min_i32_e32 v3, 15, v3
	s_delay_alu instid0(VALU_DEP_1) | instskip(NEXT) | instid1(VALU_DEP_1)
	v_lshl_or_b32 v2, v3, 3, v2
	v_and_or_b32 v101, v80, 7, v2
                                        ; implicit-def: $vgpr2
; %bb.9944:                             ;   in Loop: Header=BB4_9837 Depth=2
	s_and_not1_saveexec_b32 s10, s10
; %bb.9945:                             ;   in Loop: Header=BB4_9837 Depth=2
	v_mov_b32_e32 v101, v2
; %bb.9946:                             ;   in Loop: Header=BB4_9837 Depth=2
	s_or_b32 exec_lo, exec_lo, s10
.LBB4_9947:                             ;   in Loop: Header=BB4_9837 Depth=2
	s_delay_alu instid0(SALU_CYCLE_1)
	s_or_b32 exec_lo, exec_lo, s27
                                        ; implicit-def: $vgpr2
.LBB4_9948:                             ;   in Loop: Header=BB4_9837 Depth=2
	s_and_not1_saveexec_b32 s10, s26
; %bb.9949:                             ;   in Loop: Header=BB4_9837 Depth=2
	v_or_b32_e32 v101, 0x7e, v2
; %bb.9950:                             ;   in Loop: Header=BB4_9837 Depth=2
	s_or_b32 exec_lo, exec_lo, s10
                                        ; implicit-def: $vgpr2
.LBB4_9951:                             ;   in Loop: Header=BB4_9837 Depth=2
	s_and_not1_saveexec_b32 s10, s11
; %bb.9952:                             ;   in Loop: Header=BB4_9837 Depth=2
	v_or_b32_e32 v101, 0x7f, v2
; %bb.9953:                             ;   in Loop: Header=BB4_9837 Depth=2
	s_or_b32 exec_lo, exec_lo, s10
	flat_load_u8 v2, v[12:13] offset:128 th:TH_LOAD_NT
	v_mov_b32_e32 v3, 0
	s_mov_b32 s10, exec_lo
	s_wait_loadcnt_dscnt 0x0
	v_cmpx_ne_u16_e32 0, v2
	s_cbranch_execz .LBB4_9961
; %bb.9954:                             ;   in Loop: Header=BB4_9837 Depth=2
	v_bfrev_b32_e32 v3, 1
	s_mov_b32 s11, exec_lo
	v_cmpx_ne_u16_e32 0x80, v2
	s_cbranch_execz .LBB4_9960
; %bb.9955:                             ;   in Loop: Header=BB4_9837 Depth=2
	v_and_b32_e32 v14, 0xffff, v2
	v_mov_b32_e32 v3, 0x7f800001
	s_mov_b32 s26, exec_lo
	s_delay_alu instid0(VALU_DEP_2) | instskip(NEXT) | instid1(VALU_DEP_1)
	v_and_b32_e32 v80, 0x7f, v14
	v_cmpx_ne_u32_e32 0x7f, v80
	s_cbranch_execz .LBB4_9959
; %bb.9956:                             ;   in Loop: Header=BB4_9837 Depth=2
	v_dual_lshrrev_b32 v3, 3, v80 :: v_dual_bitop2_b32 v14, 7, v14 bitop3:0x40
	s_mov_b32 s27, exec_lo
	v_cmpx_gt_u32_e32 8, v80
; %bb.9957:                             ;   in Loop: Header=BB4_9837 Depth=2
	s_delay_alu instid0(VALU_DEP_2) | instskip(NEXT) | instid1(VALU_DEP_1)
	v_clz_i32_u32_e32 v3, v14
	v_min_u32_e32 v3, 32, v3
	s_delay_alu instid0(VALU_DEP_1) | instskip(NEXT) | instid1(VALU_DEP_1)
	v_subrev_nc_u32_e32 v20, 28, v3
	v_lshlrev_b64_e32 v[20:21], v20, v[14:15]
	s_delay_alu instid0(VALU_DEP_1)
	v_dual_sub_nc_u32 v3, 29, v3 :: v_dual_bitop2_b32 v14, 7, v20 bitop3:0x40
; %bb.9958:                             ;   in Loop: Header=BB4_9837 Depth=2
	s_or_b32 exec_lo, exec_lo, s27
	v_lshlrev_b32_e32 v2, 24, v2
	s_delay_alu instid0(VALU_DEP_2) | instskip(NEXT) | instid1(VALU_DEP_3)
	v_lshlrev_b32_e32 v14, 20, v14
	v_lshl_add_u32 v3, v3, 23, 0x3c000000
	s_delay_alu instid0(VALU_DEP_3) | instskip(NEXT) | instid1(VALU_DEP_1)
	v_and_b32_e32 v2, 0x80000000, v2
	v_or3_b32 v3, v14, v2, v3
.LBB4_9959:                             ;   in Loop: Header=BB4_9837 Depth=2
	s_or_b32 exec_lo, exec_lo, s26
.LBB4_9960:                             ;   in Loop: Header=BB4_9837 Depth=2
	s_delay_alu instid0(SALU_CYCLE_1)
	s_or_b32 exec_lo, exec_lo, s11
.LBB4_9961:                             ;   in Loop: Header=BB4_9837 Depth=2
	s_delay_alu instid0(SALU_CYCLE_1) | instskip(NEXT) | instid1(VALU_DEP_1)
	s_or_b32 exec_lo, exec_lo, s10
	v_mul_f32_e32 v3, s25, v3
                                        ; implicit-def: $vgpr102
	s_mov_b32 s10, exec_lo
	s_delay_alu instid0(VALU_DEP_1) | instskip(SKIP_1) | instid1(VALU_DEP_2)
	v_and_b32_e32 v14, 0x7f800000, v3
	v_lshrrev_b32_e32 v2, 24, v3
	v_cmpx_ne_u64_e32 0x7f800000, v[14:15]
	s_xor_b32 s11, exec_lo, s10
	s_cbranch_execz .LBB4_9979
; %bb.9962:                             ;   in Loop: Header=BB4_9837 Depth=2
	v_and_b32_e32 v14, 0x7fffffff, v3
	v_and_b32_e32 v2, 0x80, v2
                                        ; implicit-def: $vgpr102
	s_mov_b32 s10, exec_lo
	s_delay_alu instid0(VALU_DEP_2)
	v_cmpx_gt_u64_e32 0x43e00001, v[14:15]
	s_xor_b32 s26, exec_lo, s10
	s_cbranch_execz .LBB4_9976
; %bb.9963:                             ;   in Loop: Header=BB4_9837 Depth=2
	v_mov_b32_e32 v102, 0
	s_mov_b32 s27, exec_lo
	v_cmpx_ne_u32_e32 0, v3
	s_cbranch_execz .LBB4_9975
; %bb.9964:                             ;   in Loop: Header=BB4_9837 Depth=2
	v_bfe_u32 v98, v3, 23, 8
	v_and_b32_e32 v3, 0x7fffff, v3
	s_delay_alu instid0(VALU_DEP_2) | instskip(SKIP_1) | instid1(VALU_DEP_3)
	v_sub_nc_u32_e32 v14, 0x79, v98
	v_cmp_gt_u32_e32 vcc_lo, 0x7a, v98
	v_or_b32_e32 v80, 0x800000, v3
	s_delay_alu instid0(VALU_DEP_3) | instskip(SKIP_1) | instid1(VALU_DEP_2)
	v_cndmask_b32_e32 v14, 0, v14, vcc_lo
	v_cmp_eq_u32_e32 vcc_lo, 0, v98
	v_cndmask_b32_e64 v102, v14, 0x78, vcc_lo
	s_delay_alu instid0(VALU_DEP_1) | instskip(NEXT) | instid1(VALU_DEP_1)
	v_dual_add_nc_u32 v14, 20, v102 :: v_dual_add_nc_u32 v81, 19, v102
	v_lshlrev_b64_e64 v[20:21], v14, -1
	v_cndmask_b32_e32 v14, v80, v3, vcc_lo
	s_delay_alu instid0(VALU_DEP_3) | instskip(NEXT) | instid1(VALU_DEP_2)
	v_lshlrev_b64_e64 v[82:83], v81, 1
	v_lshrrev_b64 v[80:81], v102, v[14:15]
	s_delay_alu instid0(VALU_DEP_4) | instskip(SKIP_1) | instid1(VALU_DEP_1)
	v_bfi_b32 v21, v21, 0, 0
	v_bfi_b32 v20, v20, 0, v14
	v_cmp_eq_u64_e64 s10, v[20:21], v[82:83]
	s_delay_alu instid0(VALU_DEP_4)
	v_mov_b64_e32 v[82:83], v[80:81]
	s_and_saveexec_b32 s28, s10
; %bb.9965:                             ;   in Loop: Header=BB4_9837 Depth=2
	v_bfe_u32 v14, v80, 20, 1
	s_delay_alu instid0(VALU_DEP_1) | instskip(NEXT) | instid1(VALU_DEP_1)
	v_add_nc_u64_e32 v[20:21], v[80:81], v[14:15]
	v_add_nc_u64_e32 v[82:83], -1, v[20:21]
; %bb.9966:                             ;   in Loop: Header=BB4_9837 Depth=2
	s_or_b32 exec_lo, exec_lo, s28
	v_add_nc_u32_e32 v3, 0xffffff81, v98
	v_lshrrev_b32_e32 v14, 23, v80
	s_mov_b32 s10, exec_lo
	s_delay_alu instid0(VALU_DEP_2) | instskip(NEXT) | instid1(VALU_DEP_1)
	v_cndmask_b32_e64 v3, v3, 0xffffff82, vcc_lo
	v_add3_u32 v83, v102, v3, v14
	v_and_b32_e32 v3, 0xfffff, v82
	s_delay_alu instid0(VALU_DEP_1) | instskip(NEXT) | instid1(VALU_DEP_1)
	v_dual_add_nc_u32 v82, 6, v83 :: v_dual_add_nc_u32 v14, v3, v80
                                        ; implicit-def: $vgpr80_vgpr81
                                        ; implicit-def: $vgpr3
	v_cmpx_ne_u32_e32 0, v82
	s_xor_b32 s10, exec_lo, s10
; %bb.9967:                             ;   in Loop: Header=BB4_9837 Depth=2
	s_delay_alu instid0(VALU_DEP_2) | instskip(SKIP_2) | instid1(VALU_DEP_2)
	v_cmp_lt_u64_e32 vcc_lo, 0xffffff, v[14:15]
	v_add_nc_u32_e32 v3, 7, v83
	v_cndmask_b32_e64 v20, 0, 1, vcc_lo
	v_cndmask_b32_e32 v3, v82, v3, vcc_lo
	s_delay_alu instid0(VALU_DEP_2)
	v_lshrrev_b64 v[80:81], v20, v[14:15]
; %bb.9968:                             ;   in Loop: Header=BB4_9837 Depth=2
	s_and_not1_saveexec_b32 s10, s10
; %bb.9969:                             ;   in Loop: Header=BB4_9837 Depth=2
	v_mov_b64_e32 v[80:81], v[14:15]
	v_bfe_u32 v3, v14, 23, 1
; %bb.9970:                             ;   in Loop: Header=BB4_9837 Depth=2
	s_or_b32 exec_lo, exec_lo, s10
	s_delay_alu instid0(VALU_DEP_2) | instskip(NEXT) | instid1(VALU_DEP_2)
	v_lshrrev_b64 v[20:21], 20, v[80:81]
	v_cmp_gt_i32_e32 vcc_lo, 16, v3
	v_cmp_ne_u32_e64 s10, 0, v3
                                        ; implicit-def: $vgpr102
	s_delay_alu instid0(VALU_DEP_3) | instskip(NEXT) | instid1(VALU_DEP_1)
	v_dual_cndmask_b32 v81, 0, v21 :: v_dual_cndmask_b32 v80, 7, v20
	v_cmp_ne_u64_e32 vcc_lo, 0, v[80:81]
	s_or_b32 s10, s10, vcc_lo
	s_delay_alu instid0(SALU_CYCLE_1) | instskip(NEXT) | instid1(SALU_CYCLE_1)
	s_and_saveexec_b32 s28, s10
	s_xor_b32 s10, exec_lo, s28
; %bb.9971:                             ;   in Loop: Header=BB4_9837 Depth=2
	v_min_i32_e32 v3, 15, v3
	s_delay_alu instid0(VALU_DEP_1) | instskip(NEXT) | instid1(VALU_DEP_1)
	v_lshl_or_b32 v2, v3, 3, v2
	v_and_or_b32 v102, v80, 7, v2
                                        ; implicit-def: $vgpr2
; %bb.9972:                             ;   in Loop: Header=BB4_9837 Depth=2
	s_and_not1_saveexec_b32 s10, s10
; %bb.9973:                             ;   in Loop: Header=BB4_9837 Depth=2
	v_mov_b32_e32 v102, v2
; %bb.9974:                             ;   in Loop: Header=BB4_9837 Depth=2
	s_or_b32 exec_lo, exec_lo, s10
.LBB4_9975:                             ;   in Loop: Header=BB4_9837 Depth=2
	s_delay_alu instid0(SALU_CYCLE_1)
	s_or_b32 exec_lo, exec_lo, s27
                                        ; implicit-def: $vgpr2
.LBB4_9976:                             ;   in Loop: Header=BB4_9837 Depth=2
	s_and_not1_saveexec_b32 s10, s26
; %bb.9977:                             ;   in Loop: Header=BB4_9837 Depth=2
	v_or_b32_e32 v102, 0x7e, v2
; %bb.9978:                             ;   in Loop: Header=BB4_9837 Depth=2
	s_or_b32 exec_lo, exec_lo, s10
                                        ; implicit-def: $vgpr2
.LBB4_9979:                             ;   in Loop: Header=BB4_9837 Depth=2
	s_and_not1_saveexec_b32 s10, s11
; %bb.9980:                             ;   in Loop: Header=BB4_9837 Depth=2
	v_or_b32_e32 v102, 0x7f, v2
; %bb.9981:                             ;   in Loop: Header=BB4_9837 Depth=2
	s_or_b32 exec_lo, exec_lo, s10
	flat_load_u8 v2, v[12:13] offset:160 th:TH_LOAD_NT
	v_mov_b32_e32 v3, 0
	s_mov_b32 s10, exec_lo
	s_wait_loadcnt_dscnt 0x0
	v_cmpx_ne_u16_e32 0, v2
	s_cbranch_execz .LBB4_9989
; %bb.9982:                             ;   in Loop: Header=BB4_9837 Depth=2
	v_bfrev_b32_e32 v3, 1
	s_mov_b32 s11, exec_lo
	v_cmpx_ne_u16_e32 0x80, v2
	s_cbranch_execz .LBB4_9988
; %bb.9983:                             ;   in Loop: Header=BB4_9837 Depth=2
	v_and_b32_e32 v14, 0xffff, v2
	v_mov_b32_e32 v3, 0x7f800001
	s_mov_b32 s26, exec_lo
	s_delay_alu instid0(VALU_DEP_2) | instskip(NEXT) | instid1(VALU_DEP_1)
	v_and_b32_e32 v80, 0x7f, v14
	v_cmpx_ne_u32_e32 0x7f, v80
	s_cbranch_execz .LBB4_9987
; %bb.9984:                             ;   in Loop: Header=BB4_9837 Depth=2
	v_dual_lshrrev_b32 v3, 3, v80 :: v_dual_bitop2_b32 v14, 7, v14 bitop3:0x40
	s_mov_b32 s27, exec_lo
	v_cmpx_gt_u32_e32 8, v80
; %bb.9985:                             ;   in Loop: Header=BB4_9837 Depth=2
	s_delay_alu instid0(VALU_DEP_2) | instskip(NEXT) | instid1(VALU_DEP_1)
	v_clz_i32_u32_e32 v3, v14
	v_min_u32_e32 v3, 32, v3
	s_delay_alu instid0(VALU_DEP_1) | instskip(NEXT) | instid1(VALU_DEP_1)
	v_subrev_nc_u32_e32 v20, 28, v3
	v_lshlrev_b64_e32 v[20:21], v20, v[14:15]
	s_delay_alu instid0(VALU_DEP_1)
	v_dual_sub_nc_u32 v3, 29, v3 :: v_dual_bitop2_b32 v14, 7, v20 bitop3:0x40
; %bb.9986:                             ;   in Loop: Header=BB4_9837 Depth=2
	s_or_b32 exec_lo, exec_lo, s27
	v_lshlrev_b32_e32 v2, 24, v2
	s_delay_alu instid0(VALU_DEP_2) | instskip(NEXT) | instid1(VALU_DEP_3)
	v_lshlrev_b32_e32 v14, 20, v14
	v_lshl_add_u32 v3, v3, 23, 0x3c000000
	s_delay_alu instid0(VALU_DEP_3) | instskip(NEXT) | instid1(VALU_DEP_1)
	v_and_b32_e32 v2, 0x80000000, v2
	v_or3_b32 v3, v14, v2, v3
.LBB4_9987:                             ;   in Loop: Header=BB4_9837 Depth=2
	s_or_b32 exec_lo, exec_lo, s26
.LBB4_9988:                             ;   in Loop: Header=BB4_9837 Depth=2
	s_delay_alu instid0(SALU_CYCLE_1)
	s_or_b32 exec_lo, exec_lo, s11
.LBB4_9989:                             ;   in Loop: Header=BB4_9837 Depth=2
	s_delay_alu instid0(SALU_CYCLE_1) | instskip(NEXT) | instid1(VALU_DEP_1)
	s_or_b32 exec_lo, exec_lo, s10
	v_mul_f32_e32 v3, s25, v3
                                        ; implicit-def: $vgpr103
	s_mov_b32 s10, exec_lo
	s_delay_alu instid0(VALU_DEP_1) | instskip(SKIP_1) | instid1(VALU_DEP_2)
	v_and_b32_e32 v14, 0x7f800000, v3
	v_lshrrev_b32_e32 v2, 24, v3
	v_cmpx_ne_u64_e32 0x7f800000, v[14:15]
	s_xor_b32 s11, exec_lo, s10
	s_cbranch_execz .LBB4_10007
; %bb.9990:                             ;   in Loop: Header=BB4_9837 Depth=2
	v_and_b32_e32 v14, 0x7fffffff, v3
	v_and_b32_e32 v2, 0x80, v2
                                        ; implicit-def: $vgpr103
	s_mov_b32 s10, exec_lo
	s_delay_alu instid0(VALU_DEP_2)
	v_cmpx_gt_u64_e32 0x43e00001, v[14:15]
	s_xor_b32 s26, exec_lo, s10
	s_cbranch_execz .LBB4_10004
; %bb.9991:                             ;   in Loop: Header=BB4_9837 Depth=2
	v_mov_b32_e32 v103, 0
	s_mov_b32 s27, exec_lo
	v_cmpx_ne_u32_e32 0, v3
	s_cbranch_execz .LBB4_10003
; %bb.9992:                             ;   in Loop: Header=BB4_9837 Depth=2
	v_bfe_u32 v98, v3, 23, 8
	v_and_b32_e32 v3, 0x7fffff, v3
	s_delay_alu instid0(VALU_DEP_2) | instskip(SKIP_1) | instid1(VALU_DEP_3)
	v_sub_nc_u32_e32 v14, 0x79, v98
	v_cmp_gt_u32_e32 vcc_lo, 0x7a, v98
	v_or_b32_e32 v80, 0x800000, v3
	s_delay_alu instid0(VALU_DEP_3) | instskip(SKIP_1) | instid1(VALU_DEP_2)
	v_cndmask_b32_e32 v14, 0, v14, vcc_lo
	v_cmp_eq_u32_e32 vcc_lo, 0, v98
	v_cndmask_b32_e64 v103, v14, 0x78, vcc_lo
	s_delay_alu instid0(VALU_DEP_1) | instskip(NEXT) | instid1(VALU_DEP_1)
	v_dual_add_nc_u32 v14, 20, v103 :: v_dual_add_nc_u32 v81, 19, v103
	v_lshlrev_b64_e64 v[20:21], v14, -1
	v_cndmask_b32_e32 v14, v80, v3, vcc_lo
	s_delay_alu instid0(VALU_DEP_3) | instskip(NEXT) | instid1(VALU_DEP_2)
	v_lshlrev_b64_e64 v[82:83], v81, 1
	v_lshrrev_b64 v[80:81], v103, v[14:15]
	s_delay_alu instid0(VALU_DEP_4) | instskip(SKIP_1) | instid1(VALU_DEP_1)
	v_bfi_b32 v21, v21, 0, 0
	v_bfi_b32 v20, v20, 0, v14
	v_cmp_eq_u64_e64 s10, v[20:21], v[82:83]
	s_delay_alu instid0(VALU_DEP_4)
	v_mov_b64_e32 v[82:83], v[80:81]
	s_and_saveexec_b32 s28, s10
; %bb.9993:                             ;   in Loop: Header=BB4_9837 Depth=2
	v_bfe_u32 v14, v80, 20, 1
	s_delay_alu instid0(VALU_DEP_1) | instskip(NEXT) | instid1(VALU_DEP_1)
	v_add_nc_u64_e32 v[20:21], v[80:81], v[14:15]
	v_add_nc_u64_e32 v[82:83], -1, v[20:21]
; %bb.9994:                             ;   in Loop: Header=BB4_9837 Depth=2
	s_or_b32 exec_lo, exec_lo, s28
	v_add_nc_u32_e32 v3, 0xffffff81, v98
	v_lshrrev_b32_e32 v14, 23, v80
	s_mov_b32 s10, exec_lo
	s_delay_alu instid0(VALU_DEP_2) | instskip(NEXT) | instid1(VALU_DEP_1)
	v_cndmask_b32_e64 v3, v3, 0xffffff82, vcc_lo
	v_add3_u32 v83, v103, v3, v14
	v_and_b32_e32 v3, 0xfffff, v82
	s_delay_alu instid0(VALU_DEP_1) | instskip(NEXT) | instid1(VALU_DEP_1)
	v_dual_add_nc_u32 v82, 6, v83 :: v_dual_add_nc_u32 v14, v3, v80
                                        ; implicit-def: $vgpr80_vgpr81
                                        ; implicit-def: $vgpr3
	v_cmpx_ne_u32_e32 0, v82
	s_xor_b32 s10, exec_lo, s10
; %bb.9995:                             ;   in Loop: Header=BB4_9837 Depth=2
	s_delay_alu instid0(VALU_DEP_2) | instskip(SKIP_2) | instid1(VALU_DEP_2)
	v_cmp_lt_u64_e32 vcc_lo, 0xffffff, v[14:15]
	v_add_nc_u32_e32 v3, 7, v83
	v_cndmask_b32_e64 v20, 0, 1, vcc_lo
	v_cndmask_b32_e32 v3, v82, v3, vcc_lo
	s_delay_alu instid0(VALU_DEP_2)
	v_lshrrev_b64 v[80:81], v20, v[14:15]
; %bb.9996:                             ;   in Loop: Header=BB4_9837 Depth=2
	s_and_not1_saveexec_b32 s10, s10
; %bb.9997:                             ;   in Loop: Header=BB4_9837 Depth=2
	v_mov_b64_e32 v[80:81], v[14:15]
	v_bfe_u32 v3, v14, 23, 1
; %bb.9998:                             ;   in Loop: Header=BB4_9837 Depth=2
	s_or_b32 exec_lo, exec_lo, s10
	s_delay_alu instid0(VALU_DEP_2) | instskip(NEXT) | instid1(VALU_DEP_2)
	v_lshrrev_b64 v[20:21], 20, v[80:81]
	v_cmp_gt_i32_e32 vcc_lo, 16, v3
	v_cmp_ne_u32_e64 s10, 0, v3
                                        ; implicit-def: $vgpr103
	s_delay_alu instid0(VALU_DEP_3) | instskip(NEXT) | instid1(VALU_DEP_1)
	v_dual_cndmask_b32 v81, 0, v21 :: v_dual_cndmask_b32 v80, 7, v20
	v_cmp_ne_u64_e32 vcc_lo, 0, v[80:81]
	s_or_b32 s10, s10, vcc_lo
	s_delay_alu instid0(SALU_CYCLE_1) | instskip(NEXT) | instid1(SALU_CYCLE_1)
	s_and_saveexec_b32 s28, s10
	s_xor_b32 s10, exec_lo, s28
; %bb.9999:                             ;   in Loop: Header=BB4_9837 Depth=2
	v_min_i32_e32 v3, 15, v3
	s_delay_alu instid0(VALU_DEP_1) | instskip(NEXT) | instid1(VALU_DEP_1)
	v_lshl_or_b32 v2, v3, 3, v2
	v_and_or_b32 v103, v80, 7, v2
                                        ; implicit-def: $vgpr2
; %bb.10000:                            ;   in Loop: Header=BB4_9837 Depth=2
	s_and_not1_saveexec_b32 s10, s10
; %bb.10001:                            ;   in Loop: Header=BB4_9837 Depth=2
	v_mov_b32_e32 v103, v2
; %bb.10002:                            ;   in Loop: Header=BB4_9837 Depth=2
	s_or_b32 exec_lo, exec_lo, s10
.LBB4_10003:                            ;   in Loop: Header=BB4_9837 Depth=2
	s_delay_alu instid0(SALU_CYCLE_1)
	s_or_b32 exec_lo, exec_lo, s27
                                        ; implicit-def: $vgpr2
.LBB4_10004:                            ;   in Loop: Header=BB4_9837 Depth=2
	s_and_not1_saveexec_b32 s10, s26
; %bb.10005:                            ;   in Loop: Header=BB4_9837 Depth=2
	v_or_b32_e32 v103, 0x7e, v2
; %bb.10006:                            ;   in Loop: Header=BB4_9837 Depth=2
	s_or_b32 exec_lo, exec_lo, s10
                                        ; implicit-def: $vgpr2
.LBB4_10007:                            ;   in Loop: Header=BB4_9837 Depth=2
	s_and_not1_saveexec_b32 s10, s11
; %bb.10008:                            ;   in Loop: Header=BB4_9837 Depth=2
	v_or_b32_e32 v103, 0x7f, v2
; %bb.10009:                            ;   in Loop: Header=BB4_9837 Depth=2
	s_or_b32 exec_lo, exec_lo, s10
	flat_load_u8 v2, v[12:13] offset:192 th:TH_LOAD_NT
	v_mov_b32_e32 v3, 0
	s_mov_b32 s10, exec_lo
	s_wait_loadcnt_dscnt 0x0
	v_cmpx_ne_u16_e32 0, v2
	s_cbranch_execz .LBB4_10017
; %bb.10010:                            ;   in Loop: Header=BB4_9837 Depth=2
	v_bfrev_b32_e32 v3, 1
	s_mov_b32 s11, exec_lo
	v_cmpx_ne_u16_e32 0x80, v2
	s_cbranch_execz .LBB4_10016
; %bb.10011:                            ;   in Loop: Header=BB4_9837 Depth=2
	v_and_b32_e32 v14, 0xffff, v2
	v_mov_b32_e32 v3, 0x7f800001
	s_mov_b32 s26, exec_lo
	s_delay_alu instid0(VALU_DEP_2) | instskip(NEXT) | instid1(VALU_DEP_1)
	v_and_b32_e32 v80, 0x7f, v14
	v_cmpx_ne_u32_e32 0x7f, v80
	s_cbranch_execz .LBB4_10015
; %bb.10012:                            ;   in Loop: Header=BB4_9837 Depth=2
	v_dual_lshrrev_b32 v3, 3, v80 :: v_dual_bitop2_b32 v14, 7, v14 bitop3:0x40
	s_mov_b32 s27, exec_lo
	v_cmpx_gt_u32_e32 8, v80
; %bb.10013:                            ;   in Loop: Header=BB4_9837 Depth=2
	s_delay_alu instid0(VALU_DEP_2) | instskip(NEXT) | instid1(VALU_DEP_1)
	v_clz_i32_u32_e32 v3, v14
	v_min_u32_e32 v3, 32, v3
	s_delay_alu instid0(VALU_DEP_1) | instskip(NEXT) | instid1(VALU_DEP_1)
	v_subrev_nc_u32_e32 v20, 28, v3
	v_lshlrev_b64_e32 v[20:21], v20, v[14:15]
	s_delay_alu instid0(VALU_DEP_1)
	v_dual_sub_nc_u32 v3, 29, v3 :: v_dual_bitop2_b32 v14, 7, v20 bitop3:0x40
; %bb.10014:                            ;   in Loop: Header=BB4_9837 Depth=2
	s_or_b32 exec_lo, exec_lo, s27
	v_lshlrev_b32_e32 v2, 24, v2
	s_delay_alu instid0(VALU_DEP_2) | instskip(NEXT) | instid1(VALU_DEP_3)
	v_lshlrev_b32_e32 v14, 20, v14
	v_lshl_add_u32 v3, v3, 23, 0x3c000000
	s_delay_alu instid0(VALU_DEP_3) | instskip(NEXT) | instid1(VALU_DEP_1)
	v_and_b32_e32 v2, 0x80000000, v2
	v_or3_b32 v3, v14, v2, v3
.LBB4_10015:                            ;   in Loop: Header=BB4_9837 Depth=2
	s_or_b32 exec_lo, exec_lo, s26
.LBB4_10016:                            ;   in Loop: Header=BB4_9837 Depth=2
	s_delay_alu instid0(SALU_CYCLE_1)
	s_or_b32 exec_lo, exec_lo, s11
.LBB4_10017:                            ;   in Loop: Header=BB4_9837 Depth=2
	s_delay_alu instid0(SALU_CYCLE_1) | instskip(NEXT) | instid1(VALU_DEP_1)
	s_or_b32 exec_lo, exec_lo, s10
	v_mul_f32_e32 v3, s25, v3
                                        ; implicit-def: $vgpr114
	s_mov_b32 s10, exec_lo
	s_delay_alu instid0(VALU_DEP_1) | instskip(SKIP_1) | instid1(VALU_DEP_2)
	v_and_b32_e32 v14, 0x7f800000, v3
	v_lshrrev_b32_e32 v2, 24, v3
	v_cmpx_ne_u64_e32 0x7f800000, v[14:15]
	s_xor_b32 s11, exec_lo, s10
	s_cbranch_execz .LBB4_10035
; %bb.10018:                            ;   in Loop: Header=BB4_9837 Depth=2
	v_and_b32_e32 v14, 0x7fffffff, v3
	v_and_b32_e32 v2, 0x80, v2
                                        ; implicit-def: $vgpr114
	s_mov_b32 s10, exec_lo
	s_delay_alu instid0(VALU_DEP_2)
	v_cmpx_gt_u64_e32 0x43e00001, v[14:15]
	s_xor_b32 s26, exec_lo, s10
	s_cbranch_execz .LBB4_10032
; %bb.10019:                            ;   in Loop: Header=BB4_9837 Depth=2
	v_mov_b32_e32 v114, 0
	s_mov_b32 s27, exec_lo
	v_cmpx_ne_u32_e32 0, v3
	s_cbranch_execz .LBB4_10031
; %bb.10020:                            ;   in Loop: Header=BB4_9837 Depth=2
	v_bfe_u32 v98, v3, 23, 8
	v_and_b32_e32 v3, 0x7fffff, v3
	s_delay_alu instid0(VALU_DEP_2) | instskip(SKIP_1) | instid1(VALU_DEP_3)
	v_sub_nc_u32_e32 v14, 0x79, v98
	v_cmp_gt_u32_e32 vcc_lo, 0x7a, v98
	v_or_b32_e32 v80, 0x800000, v3
	s_delay_alu instid0(VALU_DEP_3) | instskip(SKIP_1) | instid1(VALU_DEP_2)
	v_cndmask_b32_e32 v14, 0, v14, vcc_lo
	v_cmp_eq_u32_e32 vcc_lo, 0, v98
	v_cndmask_b32_e64 v113, v14, 0x78, vcc_lo
	s_delay_alu instid0(VALU_DEP_1) | instskip(NEXT) | instid1(VALU_DEP_1)
	v_dual_add_nc_u32 v14, 20, v113 :: v_dual_add_nc_u32 v81, 19, v113
	v_lshlrev_b64_e64 v[20:21], v14, -1
	v_cndmask_b32_e32 v14, v80, v3, vcc_lo
	s_delay_alu instid0(VALU_DEP_3) | instskip(NEXT) | instid1(VALU_DEP_2)
	v_lshlrev_b64_e64 v[82:83], v81, 1
	v_lshrrev_b64 v[80:81], v113, v[14:15]
	s_delay_alu instid0(VALU_DEP_4) | instskip(SKIP_1) | instid1(VALU_DEP_1)
	v_bfi_b32 v21, v21, 0, 0
	v_bfi_b32 v20, v20, 0, v14
	v_cmp_eq_u64_e64 s10, v[20:21], v[82:83]
	s_delay_alu instid0(VALU_DEP_4)
	v_mov_b64_e32 v[82:83], v[80:81]
	s_and_saveexec_b32 s28, s10
; %bb.10021:                            ;   in Loop: Header=BB4_9837 Depth=2
	v_bfe_u32 v14, v80, 20, 1
	s_delay_alu instid0(VALU_DEP_1) | instskip(NEXT) | instid1(VALU_DEP_1)
	v_add_nc_u64_e32 v[20:21], v[80:81], v[14:15]
	v_add_nc_u64_e32 v[82:83], -1, v[20:21]
; %bb.10022:                            ;   in Loop: Header=BB4_9837 Depth=2
	s_or_b32 exec_lo, exec_lo, s28
	v_add_nc_u32_e32 v3, 0xffffff81, v98
	v_lshrrev_b32_e32 v14, 23, v80
	s_mov_b32 s10, exec_lo
	s_delay_alu instid0(VALU_DEP_2) | instskip(NEXT) | instid1(VALU_DEP_1)
	v_cndmask_b32_e64 v3, v3, 0xffffff82, vcc_lo
	v_add3_u32 v83, v113, v3, v14
	v_and_b32_e32 v3, 0xfffff, v82
	s_delay_alu instid0(VALU_DEP_1) | instskip(NEXT) | instid1(VALU_DEP_1)
	v_dual_add_nc_u32 v82, 6, v83 :: v_dual_add_nc_u32 v14, v3, v80
                                        ; implicit-def: $vgpr80_vgpr81
                                        ; implicit-def: $vgpr3
	v_cmpx_ne_u32_e32 0, v82
	s_xor_b32 s10, exec_lo, s10
; %bb.10023:                            ;   in Loop: Header=BB4_9837 Depth=2
	s_delay_alu instid0(VALU_DEP_2) | instskip(SKIP_2) | instid1(VALU_DEP_2)
	v_cmp_lt_u64_e32 vcc_lo, 0xffffff, v[14:15]
	v_add_nc_u32_e32 v3, 7, v83
	v_cndmask_b32_e64 v20, 0, 1, vcc_lo
	v_cndmask_b32_e32 v3, v82, v3, vcc_lo
	s_delay_alu instid0(VALU_DEP_2)
	v_lshrrev_b64 v[80:81], v20, v[14:15]
; %bb.10024:                            ;   in Loop: Header=BB4_9837 Depth=2
	s_and_not1_saveexec_b32 s10, s10
; %bb.10025:                            ;   in Loop: Header=BB4_9837 Depth=2
	v_mov_b64_e32 v[80:81], v[14:15]
	v_bfe_u32 v3, v14, 23, 1
; %bb.10026:                            ;   in Loop: Header=BB4_9837 Depth=2
	s_or_b32 exec_lo, exec_lo, s10
	s_delay_alu instid0(VALU_DEP_2) | instskip(NEXT) | instid1(VALU_DEP_2)
	v_lshrrev_b64 v[20:21], 20, v[80:81]
	v_cmp_gt_i32_e32 vcc_lo, 16, v3
	v_cmp_ne_u32_e64 s10, 0, v3
                                        ; implicit-def: $vgpr114
	s_delay_alu instid0(VALU_DEP_3) | instskip(NEXT) | instid1(VALU_DEP_1)
	v_dual_cndmask_b32 v81, 0, v21 :: v_dual_cndmask_b32 v80, 7, v20
	v_cmp_ne_u64_e32 vcc_lo, 0, v[80:81]
	s_or_b32 s10, s10, vcc_lo
	s_delay_alu instid0(SALU_CYCLE_1) | instskip(NEXT) | instid1(SALU_CYCLE_1)
	s_and_saveexec_b32 s28, s10
	s_xor_b32 s10, exec_lo, s28
; %bb.10027:                            ;   in Loop: Header=BB4_9837 Depth=2
	v_min_i32_e32 v3, 15, v3
	s_delay_alu instid0(VALU_DEP_1) | instskip(NEXT) | instid1(VALU_DEP_1)
	v_lshl_or_b32 v2, v3, 3, v2
	v_and_or_b32 v114, v80, 7, v2
                                        ; implicit-def: $vgpr2
; %bb.10028:                            ;   in Loop: Header=BB4_9837 Depth=2
	s_and_not1_saveexec_b32 s10, s10
; %bb.10029:                            ;   in Loop: Header=BB4_9837 Depth=2
	v_mov_b32_e32 v114, v2
; %bb.10030:                            ;   in Loop: Header=BB4_9837 Depth=2
	s_or_b32 exec_lo, exec_lo, s10
.LBB4_10031:                            ;   in Loop: Header=BB4_9837 Depth=2
	s_delay_alu instid0(SALU_CYCLE_1)
	s_or_b32 exec_lo, exec_lo, s27
                                        ; implicit-def: $vgpr2
.LBB4_10032:                            ;   in Loop: Header=BB4_9837 Depth=2
	s_and_not1_saveexec_b32 s10, s26
; %bb.10033:                            ;   in Loop: Header=BB4_9837 Depth=2
	v_or_b32_e32 v114, 0x7e, v2
; %bb.10034:                            ;   in Loop: Header=BB4_9837 Depth=2
	s_or_b32 exec_lo, exec_lo, s10
                                        ; implicit-def: $vgpr2
.LBB4_10035:                            ;   in Loop: Header=BB4_9837 Depth=2
	s_and_not1_saveexec_b32 s10, s11
; %bb.10036:                            ;   in Loop: Header=BB4_9837 Depth=2
	v_or_b32_e32 v114, 0x7f, v2
; %bb.10037:                            ;   in Loop: Header=BB4_9837 Depth=2
	s_or_b32 exec_lo, exec_lo, s10
	flat_load_u8 v2, v[12:13] offset:224 th:TH_LOAD_NT
	v_mov_b32_e32 v3, 0
	s_mov_b32 s10, exec_lo
	s_wait_loadcnt_dscnt 0x0
	v_cmpx_ne_u16_e32 0, v2
	s_cbranch_execz .LBB4_10045
; %bb.10038:                            ;   in Loop: Header=BB4_9837 Depth=2
	v_bfrev_b32_e32 v3, 1
	s_mov_b32 s11, exec_lo
	v_cmpx_ne_u16_e32 0x80, v2
	s_cbranch_execz .LBB4_10044
; %bb.10039:                            ;   in Loop: Header=BB4_9837 Depth=2
	v_and_b32_e32 v14, 0xffff, v2
	v_mov_b32_e32 v3, 0x7f800001
	s_mov_b32 s26, exec_lo
	s_delay_alu instid0(VALU_DEP_2) | instskip(NEXT) | instid1(VALU_DEP_1)
	v_and_b32_e32 v80, 0x7f, v14
	v_cmpx_ne_u32_e32 0x7f, v80
	s_cbranch_execz .LBB4_10043
; %bb.10040:                            ;   in Loop: Header=BB4_9837 Depth=2
	v_dual_lshrrev_b32 v3, 3, v80 :: v_dual_bitop2_b32 v14, 7, v14 bitop3:0x40
	s_mov_b32 s27, exec_lo
	v_cmpx_gt_u32_e32 8, v80
; %bb.10041:                            ;   in Loop: Header=BB4_9837 Depth=2
	s_delay_alu instid0(VALU_DEP_2) | instskip(NEXT) | instid1(VALU_DEP_1)
	v_clz_i32_u32_e32 v3, v14
	v_min_u32_e32 v3, 32, v3
	s_delay_alu instid0(VALU_DEP_1) | instskip(NEXT) | instid1(VALU_DEP_1)
	v_subrev_nc_u32_e32 v20, 28, v3
	v_lshlrev_b64_e32 v[20:21], v20, v[14:15]
	s_delay_alu instid0(VALU_DEP_1)
	v_dual_sub_nc_u32 v3, 29, v3 :: v_dual_bitop2_b32 v14, 7, v20 bitop3:0x40
; %bb.10042:                            ;   in Loop: Header=BB4_9837 Depth=2
	s_or_b32 exec_lo, exec_lo, s27
	v_lshlrev_b32_e32 v2, 24, v2
	s_delay_alu instid0(VALU_DEP_2) | instskip(NEXT) | instid1(VALU_DEP_3)
	v_lshlrev_b32_e32 v14, 20, v14
	v_lshl_add_u32 v3, v3, 23, 0x3c000000
	s_delay_alu instid0(VALU_DEP_3) | instskip(NEXT) | instid1(VALU_DEP_1)
	v_and_b32_e32 v2, 0x80000000, v2
	v_or3_b32 v3, v14, v2, v3
.LBB4_10043:                            ;   in Loop: Header=BB4_9837 Depth=2
	s_or_b32 exec_lo, exec_lo, s26
.LBB4_10044:                            ;   in Loop: Header=BB4_9837 Depth=2
	s_delay_alu instid0(SALU_CYCLE_1)
	s_or_b32 exec_lo, exec_lo, s11
.LBB4_10045:                            ;   in Loop: Header=BB4_9837 Depth=2
	s_delay_alu instid0(SALU_CYCLE_1) | instskip(NEXT) | instid1(VALU_DEP_1)
	s_or_b32 exec_lo, exec_lo, s10
	v_mul_f32_e32 v3, s25, v3
                                        ; implicit-def: $vgpr115
	s_mov_b32 s10, exec_lo
	s_delay_alu instid0(VALU_DEP_1) | instskip(SKIP_1) | instid1(VALU_DEP_2)
	v_and_b32_e32 v14, 0x7f800000, v3
	v_lshrrev_b32_e32 v2, 24, v3
	v_cmpx_ne_u64_e32 0x7f800000, v[14:15]
	s_xor_b32 s11, exec_lo, s10
	s_cbranch_execz .LBB4_10063
; %bb.10046:                            ;   in Loop: Header=BB4_9837 Depth=2
	v_and_b32_e32 v14, 0x7fffffff, v3
	v_and_b32_e32 v2, 0x80, v2
                                        ; implicit-def: $vgpr115
	s_mov_b32 s10, exec_lo
	s_delay_alu instid0(VALU_DEP_2)
	v_cmpx_gt_u64_e32 0x43e00001, v[14:15]
	s_xor_b32 s26, exec_lo, s10
	s_cbranch_execz .LBB4_10060
; %bb.10047:                            ;   in Loop: Header=BB4_9837 Depth=2
	v_mov_b32_e32 v115, 0
	s_mov_b32 s27, exec_lo
	v_cmpx_ne_u32_e32 0, v3
	s_cbranch_execz .LBB4_10059
; %bb.10048:                            ;   in Loop: Header=BB4_9837 Depth=2
	v_bfe_u32 v98, v3, 23, 8
	v_and_b32_e32 v3, 0x7fffff, v3
	s_delay_alu instid0(VALU_DEP_2) | instskip(SKIP_1) | instid1(VALU_DEP_3)
	v_sub_nc_u32_e32 v14, 0x79, v98
	v_cmp_gt_u32_e32 vcc_lo, 0x7a, v98
	v_or_b32_e32 v80, 0x800000, v3
	s_delay_alu instid0(VALU_DEP_3) | instskip(SKIP_1) | instid1(VALU_DEP_2)
	v_cndmask_b32_e32 v14, 0, v14, vcc_lo
	v_cmp_eq_u32_e32 vcc_lo, 0, v98
	v_cndmask_b32_e64 v113, v14, 0x78, vcc_lo
	s_delay_alu instid0(VALU_DEP_1) | instskip(NEXT) | instid1(VALU_DEP_1)
	v_dual_add_nc_u32 v14, 20, v113 :: v_dual_add_nc_u32 v81, 19, v113
	v_lshlrev_b64_e64 v[20:21], v14, -1
	v_cndmask_b32_e32 v14, v80, v3, vcc_lo
	s_delay_alu instid0(VALU_DEP_3) | instskip(NEXT) | instid1(VALU_DEP_2)
	v_lshlrev_b64_e64 v[82:83], v81, 1
	v_lshrrev_b64 v[80:81], v113, v[14:15]
	s_delay_alu instid0(VALU_DEP_4) | instskip(SKIP_1) | instid1(VALU_DEP_1)
	v_bfi_b32 v21, v21, 0, 0
	v_bfi_b32 v20, v20, 0, v14
	v_cmp_eq_u64_e64 s10, v[20:21], v[82:83]
	s_delay_alu instid0(VALU_DEP_4)
	v_mov_b64_e32 v[82:83], v[80:81]
	s_and_saveexec_b32 s28, s10
; %bb.10049:                            ;   in Loop: Header=BB4_9837 Depth=2
	v_bfe_u32 v14, v80, 20, 1
	s_delay_alu instid0(VALU_DEP_1) | instskip(NEXT) | instid1(VALU_DEP_1)
	v_add_nc_u64_e32 v[20:21], v[80:81], v[14:15]
	v_add_nc_u64_e32 v[82:83], -1, v[20:21]
; %bb.10050:                            ;   in Loop: Header=BB4_9837 Depth=2
	s_or_b32 exec_lo, exec_lo, s28
	v_add_nc_u32_e32 v3, 0xffffff81, v98
	v_lshrrev_b32_e32 v14, 23, v80
	s_mov_b32 s10, exec_lo
	s_delay_alu instid0(VALU_DEP_2) | instskip(NEXT) | instid1(VALU_DEP_1)
	v_cndmask_b32_e64 v3, v3, 0xffffff82, vcc_lo
	v_add3_u32 v83, v113, v3, v14
	v_and_b32_e32 v3, 0xfffff, v82
	s_delay_alu instid0(VALU_DEP_1) | instskip(NEXT) | instid1(VALU_DEP_1)
	v_dual_add_nc_u32 v82, 6, v83 :: v_dual_add_nc_u32 v14, v3, v80
                                        ; implicit-def: $vgpr80_vgpr81
                                        ; implicit-def: $vgpr3
	v_cmpx_ne_u32_e32 0, v82
	s_xor_b32 s10, exec_lo, s10
; %bb.10051:                            ;   in Loop: Header=BB4_9837 Depth=2
	s_delay_alu instid0(VALU_DEP_2) | instskip(SKIP_2) | instid1(VALU_DEP_2)
	v_cmp_lt_u64_e32 vcc_lo, 0xffffff, v[14:15]
	v_add_nc_u32_e32 v3, 7, v83
	v_cndmask_b32_e64 v20, 0, 1, vcc_lo
	v_cndmask_b32_e32 v3, v82, v3, vcc_lo
	s_delay_alu instid0(VALU_DEP_2)
	v_lshrrev_b64 v[80:81], v20, v[14:15]
; %bb.10052:                            ;   in Loop: Header=BB4_9837 Depth=2
	s_and_not1_saveexec_b32 s10, s10
; %bb.10053:                            ;   in Loop: Header=BB4_9837 Depth=2
	v_mov_b64_e32 v[80:81], v[14:15]
	v_bfe_u32 v3, v14, 23, 1
; %bb.10054:                            ;   in Loop: Header=BB4_9837 Depth=2
	s_or_b32 exec_lo, exec_lo, s10
	s_delay_alu instid0(VALU_DEP_2) | instskip(NEXT) | instid1(VALU_DEP_2)
	v_lshrrev_b64 v[20:21], 20, v[80:81]
	v_cmp_gt_i32_e32 vcc_lo, 16, v3
	v_cmp_ne_u32_e64 s10, 0, v3
                                        ; implicit-def: $vgpr115
	s_delay_alu instid0(VALU_DEP_3) | instskip(NEXT) | instid1(VALU_DEP_1)
	v_dual_cndmask_b32 v81, 0, v21 :: v_dual_cndmask_b32 v80, 7, v20
	v_cmp_ne_u64_e32 vcc_lo, 0, v[80:81]
	s_or_b32 s10, s10, vcc_lo
	s_delay_alu instid0(SALU_CYCLE_1) | instskip(NEXT) | instid1(SALU_CYCLE_1)
	s_and_saveexec_b32 s28, s10
	s_xor_b32 s10, exec_lo, s28
; %bb.10055:                            ;   in Loop: Header=BB4_9837 Depth=2
	v_min_i32_e32 v3, 15, v3
	s_delay_alu instid0(VALU_DEP_1) | instskip(NEXT) | instid1(VALU_DEP_1)
	v_lshl_or_b32 v2, v3, 3, v2
	v_and_or_b32 v115, v80, 7, v2
                                        ; implicit-def: $vgpr2
; %bb.10056:                            ;   in Loop: Header=BB4_9837 Depth=2
	s_and_not1_saveexec_b32 s10, s10
; %bb.10057:                            ;   in Loop: Header=BB4_9837 Depth=2
	v_mov_b32_e32 v115, v2
; %bb.10058:                            ;   in Loop: Header=BB4_9837 Depth=2
	s_or_b32 exec_lo, exec_lo, s10
.LBB4_10059:                            ;   in Loop: Header=BB4_9837 Depth=2
	s_delay_alu instid0(SALU_CYCLE_1)
	s_or_b32 exec_lo, exec_lo, s27
                                        ; implicit-def: $vgpr2
.LBB4_10060:                            ;   in Loop: Header=BB4_9837 Depth=2
	s_and_not1_saveexec_b32 s10, s26
; %bb.10061:                            ;   in Loop: Header=BB4_9837 Depth=2
	v_or_b32_e32 v115, 0x7e, v2
; %bb.10062:                            ;   in Loop: Header=BB4_9837 Depth=2
	s_or_b32 exec_lo, exec_lo, s10
                                        ; implicit-def: $vgpr2
.LBB4_10063:                            ;   in Loop: Header=BB4_9837 Depth=2
	s_and_not1_saveexec_b32 s10, s11
; %bb.10064:                            ;   in Loop: Header=BB4_9837 Depth=2
	v_or_b32_e32 v115, 0x7f, v2
; %bb.10065:                            ;   in Loop: Header=BB4_9837 Depth=2
	s_or_b32 exec_lo, exec_lo, s10
	flat_load_u8 v2, v[12:13] offset:256 th:TH_LOAD_NT
	v_mov_b32_e32 v3, 0
	s_mov_b32 s10, exec_lo
	s_wait_loadcnt_dscnt 0x0
	v_cmpx_ne_u16_e32 0, v2
	s_cbranch_execz .LBB4_10073
; %bb.10066:                            ;   in Loop: Header=BB4_9837 Depth=2
	v_bfrev_b32_e32 v3, 1
	s_mov_b32 s11, exec_lo
	v_cmpx_ne_u16_e32 0x80, v2
	s_cbranch_execz .LBB4_10072
; %bb.10067:                            ;   in Loop: Header=BB4_9837 Depth=2
	v_and_b32_e32 v14, 0xffff, v2
	v_mov_b32_e32 v3, 0x7f800001
	s_mov_b32 s26, exec_lo
	s_delay_alu instid0(VALU_DEP_2) | instskip(NEXT) | instid1(VALU_DEP_1)
	v_and_b32_e32 v80, 0x7f, v14
	v_cmpx_ne_u32_e32 0x7f, v80
	s_cbranch_execz .LBB4_10071
; %bb.10068:                            ;   in Loop: Header=BB4_9837 Depth=2
	v_dual_lshrrev_b32 v3, 3, v80 :: v_dual_bitop2_b32 v14, 7, v14 bitop3:0x40
	s_mov_b32 s27, exec_lo
	v_cmpx_gt_u32_e32 8, v80
; %bb.10069:                            ;   in Loop: Header=BB4_9837 Depth=2
	s_delay_alu instid0(VALU_DEP_2) | instskip(NEXT) | instid1(VALU_DEP_1)
	v_clz_i32_u32_e32 v3, v14
	v_min_u32_e32 v3, 32, v3
	s_delay_alu instid0(VALU_DEP_1) | instskip(NEXT) | instid1(VALU_DEP_1)
	v_subrev_nc_u32_e32 v20, 28, v3
	v_lshlrev_b64_e32 v[20:21], v20, v[14:15]
	s_delay_alu instid0(VALU_DEP_1)
	v_dual_sub_nc_u32 v3, 29, v3 :: v_dual_bitop2_b32 v14, 7, v20 bitop3:0x40
; %bb.10070:                            ;   in Loop: Header=BB4_9837 Depth=2
	s_or_b32 exec_lo, exec_lo, s27
	v_lshlrev_b32_e32 v2, 24, v2
	s_delay_alu instid0(VALU_DEP_2) | instskip(NEXT) | instid1(VALU_DEP_3)
	v_lshlrev_b32_e32 v14, 20, v14
	v_lshl_add_u32 v3, v3, 23, 0x3c000000
	s_delay_alu instid0(VALU_DEP_3) | instskip(NEXT) | instid1(VALU_DEP_1)
	v_and_b32_e32 v2, 0x80000000, v2
	v_or3_b32 v3, v14, v2, v3
.LBB4_10071:                            ;   in Loop: Header=BB4_9837 Depth=2
	s_or_b32 exec_lo, exec_lo, s26
.LBB4_10072:                            ;   in Loop: Header=BB4_9837 Depth=2
	s_delay_alu instid0(SALU_CYCLE_1)
	s_or_b32 exec_lo, exec_lo, s11
.LBB4_10073:                            ;   in Loop: Header=BB4_9837 Depth=2
	s_delay_alu instid0(SALU_CYCLE_1) | instskip(NEXT) | instid1(VALU_DEP_1)
	s_or_b32 exec_lo, exec_lo, s10
	v_mul_f32_e32 v3, s25, v3
                                        ; implicit-def: $vgpr116
	s_mov_b32 s10, exec_lo
	s_delay_alu instid0(VALU_DEP_1) | instskip(SKIP_1) | instid1(VALU_DEP_2)
	v_and_b32_e32 v14, 0x7f800000, v3
	v_lshrrev_b32_e32 v2, 24, v3
	v_cmpx_ne_u64_e32 0x7f800000, v[14:15]
	s_xor_b32 s11, exec_lo, s10
	s_cbranch_execz .LBB4_10091
; %bb.10074:                            ;   in Loop: Header=BB4_9837 Depth=2
	v_and_b32_e32 v14, 0x7fffffff, v3
	v_and_b32_e32 v2, 0x80, v2
                                        ; implicit-def: $vgpr116
	s_mov_b32 s10, exec_lo
	s_delay_alu instid0(VALU_DEP_2)
	v_cmpx_gt_u64_e32 0x43e00001, v[14:15]
	s_xor_b32 s26, exec_lo, s10
	s_cbranch_execz .LBB4_10088
; %bb.10075:                            ;   in Loop: Header=BB4_9837 Depth=2
	v_mov_b32_e32 v116, 0
	s_mov_b32 s27, exec_lo
	v_cmpx_ne_u32_e32 0, v3
	s_cbranch_execz .LBB4_10087
; %bb.10076:                            ;   in Loop: Header=BB4_9837 Depth=2
	v_bfe_u32 v98, v3, 23, 8
	v_and_b32_e32 v3, 0x7fffff, v3
	s_delay_alu instid0(VALU_DEP_2) | instskip(SKIP_1) | instid1(VALU_DEP_3)
	v_sub_nc_u32_e32 v14, 0x79, v98
	v_cmp_gt_u32_e32 vcc_lo, 0x7a, v98
	v_or_b32_e32 v80, 0x800000, v3
	s_delay_alu instid0(VALU_DEP_3) | instskip(SKIP_1) | instid1(VALU_DEP_2)
	v_cndmask_b32_e32 v14, 0, v14, vcc_lo
	v_cmp_eq_u32_e32 vcc_lo, 0, v98
	v_cndmask_b32_e64 v113, v14, 0x78, vcc_lo
	s_delay_alu instid0(VALU_DEP_1) | instskip(NEXT) | instid1(VALU_DEP_1)
	v_dual_add_nc_u32 v14, 20, v113 :: v_dual_add_nc_u32 v81, 19, v113
	v_lshlrev_b64_e64 v[20:21], v14, -1
	v_cndmask_b32_e32 v14, v80, v3, vcc_lo
	s_delay_alu instid0(VALU_DEP_3) | instskip(NEXT) | instid1(VALU_DEP_2)
	v_lshlrev_b64_e64 v[82:83], v81, 1
	v_lshrrev_b64 v[80:81], v113, v[14:15]
	s_delay_alu instid0(VALU_DEP_4) | instskip(SKIP_1) | instid1(VALU_DEP_1)
	v_bfi_b32 v21, v21, 0, 0
	v_bfi_b32 v20, v20, 0, v14
	v_cmp_eq_u64_e64 s10, v[20:21], v[82:83]
	s_delay_alu instid0(VALU_DEP_4)
	v_mov_b64_e32 v[82:83], v[80:81]
	s_and_saveexec_b32 s28, s10
; %bb.10077:                            ;   in Loop: Header=BB4_9837 Depth=2
	v_bfe_u32 v14, v80, 20, 1
	s_delay_alu instid0(VALU_DEP_1) | instskip(NEXT) | instid1(VALU_DEP_1)
	v_add_nc_u64_e32 v[20:21], v[80:81], v[14:15]
	v_add_nc_u64_e32 v[82:83], -1, v[20:21]
; %bb.10078:                            ;   in Loop: Header=BB4_9837 Depth=2
	s_or_b32 exec_lo, exec_lo, s28
	v_add_nc_u32_e32 v3, 0xffffff81, v98
	v_lshrrev_b32_e32 v14, 23, v80
	s_mov_b32 s10, exec_lo
	s_delay_alu instid0(VALU_DEP_2) | instskip(NEXT) | instid1(VALU_DEP_1)
	v_cndmask_b32_e64 v3, v3, 0xffffff82, vcc_lo
	v_add3_u32 v83, v113, v3, v14
	v_and_b32_e32 v3, 0xfffff, v82
	s_delay_alu instid0(VALU_DEP_1) | instskip(NEXT) | instid1(VALU_DEP_1)
	v_dual_add_nc_u32 v82, 6, v83 :: v_dual_add_nc_u32 v14, v3, v80
                                        ; implicit-def: $vgpr80_vgpr81
                                        ; implicit-def: $vgpr3
	v_cmpx_ne_u32_e32 0, v82
	s_xor_b32 s10, exec_lo, s10
; %bb.10079:                            ;   in Loop: Header=BB4_9837 Depth=2
	s_delay_alu instid0(VALU_DEP_2) | instskip(SKIP_2) | instid1(VALU_DEP_2)
	v_cmp_lt_u64_e32 vcc_lo, 0xffffff, v[14:15]
	v_add_nc_u32_e32 v3, 7, v83
	v_cndmask_b32_e64 v20, 0, 1, vcc_lo
	v_cndmask_b32_e32 v3, v82, v3, vcc_lo
	s_delay_alu instid0(VALU_DEP_2)
	v_lshrrev_b64 v[80:81], v20, v[14:15]
; %bb.10080:                            ;   in Loop: Header=BB4_9837 Depth=2
	s_and_not1_saveexec_b32 s10, s10
; %bb.10081:                            ;   in Loop: Header=BB4_9837 Depth=2
	v_mov_b64_e32 v[80:81], v[14:15]
	v_bfe_u32 v3, v14, 23, 1
; %bb.10082:                            ;   in Loop: Header=BB4_9837 Depth=2
	s_or_b32 exec_lo, exec_lo, s10
	s_delay_alu instid0(VALU_DEP_2) | instskip(NEXT) | instid1(VALU_DEP_2)
	v_lshrrev_b64 v[20:21], 20, v[80:81]
	v_cmp_gt_i32_e32 vcc_lo, 16, v3
	v_cmp_ne_u32_e64 s10, 0, v3
                                        ; implicit-def: $vgpr116
	s_delay_alu instid0(VALU_DEP_3) | instskip(NEXT) | instid1(VALU_DEP_1)
	v_dual_cndmask_b32 v81, 0, v21 :: v_dual_cndmask_b32 v80, 7, v20
	v_cmp_ne_u64_e32 vcc_lo, 0, v[80:81]
	s_or_b32 s10, s10, vcc_lo
	s_delay_alu instid0(SALU_CYCLE_1) | instskip(NEXT) | instid1(SALU_CYCLE_1)
	s_and_saveexec_b32 s28, s10
	s_xor_b32 s10, exec_lo, s28
; %bb.10083:                            ;   in Loop: Header=BB4_9837 Depth=2
	v_min_i32_e32 v3, 15, v3
	s_delay_alu instid0(VALU_DEP_1) | instskip(NEXT) | instid1(VALU_DEP_1)
	v_lshl_or_b32 v2, v3, 3, v2
	v_and_or_b32 v116, v80, 7, v2
                                        ; implicit-def: $vgpr2
; %bb.10084:                            ;   in Loop: Header=BB4_9837 Depth=2
	s_and_not1_saveexec_b32 s10, s10
; %bb.10085:                            ;   in Loop: Header=BB4_9837 Depth=2
	v_mov_b32_e32 v116, v2
; %bb.10086:                            ;   in Loop: Header=BB4_9837 Depth=2
	s_or_b32 exec_lo, exec_lo, s10
.LBB4_10087:                            ;   in Loop: Header=BB4_9837 Depth=2
	s_delay_alu instid0(SALU_CYCLE_1)
	s_or_b32 exec_lo, exec_lo, s27
                                        ; implicit-def: $vgpr2
.LBB4_10088:                            ;   in Loop: Header=BB4_9837 Depth=2
	s_and_not1_saveexec_b32 s10, s26
; %bb.10089:                            ;   in Loop: Header=BB4_9837 Depth=2
	v_or_b32_e32 v116, 0x7e, v2
; %bb.10090:                            ;   in Loop: Header=BB4_9837 Depth=2
	s_or_b32 exec_lo, exec_lo, s10
                                        ; implicit-def: $vgpr2
.LBB4_10091:                            ;   in Loop: Header=BB4_9837 Depth=2
	s_and_not1_saveexec_b32 s10, s11
; %bb.10092:                            ;   in Loop: Header=BB4_9837 Depth=2
	v_or_b32_e32 v116, 0x7f, v2
; %bb.10093:                            ;   in Loop: Header=BB4_9837 Depth=2
	s_or_b32 exec_lo, exec_lo, s10
	flat_load_u8 v2, v[12:13] offset:288 th:TH_LOAD_NT
	v_mov_b32_e32 v3, 0
	s_mov_b32 s10, exec_lo
	s_wait_loadcnt_dscnt 0x0
	v_cmpx_ne_u16_e32 0, v2
	s_cbranch_execz .LBB4_10101
; %bb.10094:                            ;   in Loop: Header=BB4_9837 Depth=2
	v_bfrev_b32_e32 v3, 1
	s_mov_b32 s11, exec_lo
	v_cmpx_ne_u16_e32 0x80, v2
	s_cbranch_execz .LBB4_10100
; %bb.10095:                            ;   in Loop: Header=BB4_9837 Depth=2
	v_and_b32_e32 v14, 0xffff, v2
	v_mov_b32_e32 v3, 0x7f800001
	s_mov_b32 s26, exec_lo
	s_delay_alu instid0(VALU_DEP_2) | instskip(NEXT) | instid1(VALU_DEP_1)
	v_and_b32_e32 v80, 0x7f, v14
	v_cmpx_ne_u32_e32 0x7f, v80
	s_cbranch_execz .LBB4_10099
; %bb.10096:                            ;   in Loop: Header=BB4_9837 Depth=2
	v_dual_lshrrev_b32 v3, 3, v80 :: v_dual_bitop2_b32 v14, 7, v14 bitop3:0x40
	s_mov_b32 s27, exec_lo
	v_cmpx_gt_u32_e32 8, v80
; %bb.10097:                            ;   in Loop: Header=BB4_9837 Depth=2
	s_delay_alu instid0(VALU_DEP_2) | instskip(NEXT) | instid1(VALU_DEP_1)
	v_clz_i32_u32_e32 v3, v14
	v_min_u32_e32 v3, 32, v3
	s_delay_alu instid0(VALU_DEP_1) | instskip(NEXT) | instid1(VALU_DEP_1)
	v_subrev_nc_u32_e32 v20, 28, v3
	v_lshlrev_b64_e32 v[20:21], v20, v[14:15]
	s_delay_alu instid0(VALU_DEP_1)
	v_dual_sub_nc_u32 v3, 29, v3 :: v_dual_bitop2_b32 v14, 7, v20 bitop3:0x40
; %bb.10098:                            ;   in Loop: Header=BB4_9837 Depth=2
	s_or_b32 exec_lo, exec_lo, s27
	v_lshlrev_b32_e32 v2, 24, v2
	s_delay_alu instid0(VALU_DEP_2) | instskip(NEXT) | instid1(VALU_DEP_3)
	v_lshlrev_b32_e32 v14, 20, v14
	v_lshl_add_u32 v3, v3, 23, 0x3c000000
	s_delay_alu instid0(VALU_DEP_3) | instskip(NEXT) | instid1(VALU_DEP_1)
	v_and_b32_e32 v2, 0x80000000, v2
	v_or3_b32 v3, v14, v2, v3
.LBB4_10099:                            ;   in Loop: Header=BB4_9837 Depth=2
	s_or_b32 exec_lo, exec_lo, s26
.LBB4_10100:                            ;   in Loop: Header=BB4_9837 Depth=2
	s_delay_alu instid0(SALU_CYCLE_1)
	s_or_b32 exec_lo, exec_lo, s11
.LBB4_10101:                            ;   in Loop: Header=BB4_9837 Depth=2
	s_delay_alu instid0(SALU_CYCLE_1) | instskip(NEXT) | instid1(VALU_DEP_1)
	s_or_b32 exec_lo, exec_lo, s10
	v_mul_f32_e32 v3, s25, v3
                                        ; implicit-def: $vgpr117
	s_mov_b32 s10, exec_lo
	s_delay_alu instid0(VALU_DEP_1) | instskip(SKIP_1) | instid1(VALU_DEP_2)
	v_and_b32_e32 v14, 0x7f800000, v3
	v_lshrrev_b32_e32 v2, 24, v3
	v_cmpx_ne_u64_e32 0x7f800000, v[14:15]
	s_xor_b32 s11, exec_lo, s10
	s_cbranch_execz .LBB4_10119
; %bb.10102:                            ;   in Loop: Header=BB4_9837 Depth=2
	v_and_b32_e32 v14, 0x7fffffff, v3
	v_and_b32_e32 v2, 0x80, v2
                                        ; implicit-def: $vgpr117
	s_mov_b32 s10, exec_lo
	s_delay_alu instid0(VALU_DEP_2)
	v_cmpx_gt_u64_e32 0x43e00001, v[14:15]
	s_xor_b32 s26, exec_lo, s10
	s_cbranch_execz .LBB4_10116
; %bb.10103:                            ;   in Loop: Header=BB4_9837 Depth=2
	v_mov_b32_e32 v117, 0
	s_mov_b32 s27, exec_lo
	v_cmpx_ne_u32_e32 0, v3
	s_cbranch_execz .LBB4_10115
; %bb.10104:                            ;   in Loop: Header=BB4_9837 Depth=2
	v_bfe_u32 v98, v3, 23, 8
	v_and_b32_e32 v3, 0x7fffff, v3
	s_delay_alu instid0(VALU_DEP_2) | instskip(SKIP_1) | instid1(VALU_DEP_3)
	v_sub_nc_u32_e32 v14, 0x79, v98
	v_cmp_gt_u32_e32 vcc_lo, 0x7a, v98
	v_or_b32_e32 v80, 0x800000, v3
	s_delay_alu instid0(VALU_DEP_3) | instskip(SKIP_1) | instid1(VALU_DEP_2)
	v_cndmask_b32_e32 v14, 0, v14, vcc_lo
	v_cmp_eq_u32_e32 vcc_lo, 0, v98
	v_cndmask_b32_e64 v113, v14, 0x78, vcc_lo
	s_delay_alu instid0(VALU_DEP_1) | instskip(NEXT) | instid1(VALU_DEP_1)
	v_dual_add_nc_u32 v14, 20, v113 :: v_dual_add_nc_u32 v81, 19, v113
	v_lshlrev_b64_e64 v[20:21], v14, -1
	v_cndmask_b32_e32 v14, v80, v3, vcc_lo
	s_delay_alu instid0(VALU_DEP_3) | instskip(NEXT) | instid1(VALU_DEP_2)
	v_lshlrev_b64_e64 v[82:83], v81, 1
	v_lshrrev_b64 v[80:81], v113, v[14:15]
	s_delay_alu instid0(VALU_DEP_4) | instskip(SKIP_1) | instid1(VALU_DEP_1)
	v_bfi_b32 v21, v21, 0, 0
	v_bfi_b32 v20, v20, 0, v14
	v_cmp_eq_u64_e64 s10, v[20:21], v[82:83]
	s_delay_alu instid0(VALU_DEP_4)
	v_mov_b64_e32 v[82:83], v[80:81]
	s_and_saveexec_b32 s28, s10
; %bb.10105:                            ;   in Loop: Header=BB4_9837 Depth=2
	v_bfe_u32 v14, v80, 20, 1
	s_delay_alu instid0(VALU_DEP_1) | instskip(NEXT) | instid1(VALU_DEP_1)
	v_add_nc_u64_e32 v[20:21], v[80:81], v[14:15]
	v_add_nc_u64_e32 v[82:83], -1, v[20:21]
; %bb.10106:                            ;   in Loop: Header=BB4_9837 Depth=2
	s_or_b32 exec_lo, exec_lo, s28
	v_add_nc_u32_e32 v3, 0xffffff81, v98
	v_lshrrev_b32_e32 v14, 23, v80
	s_mov_b32 s10, exec_lo
	s_delay_alu instid0(VALU_DEP_2) | instskip(NEXT) | instid1(VALU_DEP_1)
	v_cndmask_b32_e64 v3, v3, 0xffffff82, vcc_lo
	v_add3_u32 v83, v113, v3, v14
	v_and_b32_e32 v3, 0xfffff, v82
	s_delay_alu instid0(VALU_DEP_1) | instskip(NEXT) | instid1(VALU_DEP_1)
	v_dual_add_nc_u32 v82, 6, v83 :: v_dual_add_nc_u32 v14, v3, v80
                                        ; implicit-def: $vgpr80_vgpr81
                                        ; implicit-def: $vgpr3
	v_cmpx_ne_u32_e32 0, v82
	s_xor_b32 s10, exec_lo, s10
; %bb.10107:                            ;   in Loop: Header=BB4_9837 Depth=2
	s_delay_alu instid0(VALU_DEP_2) | instskip(SKIP_2) | instid1(VALU_DEP_2)
	v_cmp_lt_u64_e32 vcc_lo, 0xffffff, v[14:15]
	v_add_nc_u32_e32 v3, 7, v83
	v_cndmask_b32_e64 v20, 0, 1, vcc_lo
	v_cndmask_b32_e32 v3, v82, v3, vcc_lo
	s_delay_alu instid0(VALU_DEP_2)
	v_lshrrev_b64 v[80:81], v20, v[14:15]
; %bb.10108:                            ;   in Loop: Header=BB4_9837 Depth=2
	s_and_not1_saveexec_b32 s10, s10
; %bb.10109:                            ;   in Loop: Header=BB4_9837 Depth=2
	v_mov_b64_e32 v[80:81], v[14:15]
	v_bfe_u32 v3, v14, 23, 1
; %bb.10110:                            ;   in Loop: Header=BB4_9837 Depth=2
	s_or_b32 exec_lo, exec_lo, s10
	s_delay_alu instid0(VALU_DEP_2) | instskip(NEXT) | instid1(VALU_DEP_2)
	v_lshrrev_b64 v[20:21], 20, v[80:81]
	v_cmp_gt_i32_e32 vcc_lo, 16, v3
	v_cmp_ne_u32_e64 s10, 0, v3
                                        ; implicit-def: $vgpr117
	s_delay_alu instid0(VALU_DEP_3) | instskip(NEXT) | instid1(VALU_DEP_1)
	v_dual_cndmask_b32 v81, 0, v21 :: v_dual_cndmask_b32 v80, 7, v20
	v_cmp_ne_u64_e32 vcc_lo, 0, v[80:81]
	s_or_b32 s10, s10, vcc_lo
	s_delay_alu instid0(SALU_CYCLE_1) | instskip(NEXT) | instid1(SALU_CYCLE_1)
	s_and_saveexec_b32 s28, s10
	s_xor_b32 s10, exec_lo, s28
; %bb.10111:                            ;   in Loop: Header=BB4_9837 Depth=2
	v_min_i32_e32 v3, 15, v3
	s_delay_alu instid0(VALU_DEP_1) | instskip(NEXT) | instid1(VALU_DEP_1)
	v_lshl_or_b32 v2, v3, 3, v2
	v_and_or_b32 v117, v80, 7, v2
                                        ; implicit-def: $vgpr2
; %bb.10112:                            ;   in Loop: Header=BB4_9837 Depth=2
	s_and_not1_saveexec_b32 s10, s10
; %bb.10113:                            ;   in Loop: Header=BB4_9837 Depth=2
	v_mov_b32_e32 v117, v2
; %bb.10114:                            ;   in Loop: Header=BB4_9837 Depth=2
	s_or_b32 exec_lo, exec_lo, s10
.LBB4_10115:                            ;   in Loop: Header=BB4_9837 Depth=2
	s_delay_alu instid0(SALU_CYCLE_1)
	s_or_b32 exec_lo, exec_lo, s27
                                        ; implicit-def: $vgpr2
.LBB4_10116:                            ;   in Loop: Header=BB4_9837 Depth=2
	s_and_not1_saveexec_b32 s10, s26
; %bb.10117:                            ;   in Loop: Header=BB4_9837 Depth=2
	v_or_b32_e32 v117, 0x7e, v2
; %bb.10118:                            ;   in Loop: Header=BB4_9837 Depth=2
	s_or_b32 exec_lo, exec_lo, s10
                                        ; implicit-def: $vgpr2
.LBB4_10119:                            ;   in Loop: Header=BB4_9837 Depth=2
	s_and_not1_saveexec_b32 s10, s11
; %bb.10120:                            ;   in Loop: Header=BB4_9837 Depth=2
	v_or_b32_e32 v117, 0x7f, v2
; %bb.10121:                            ;   in Loop: Header=BB4_9837 Depth=2
	s_or_b32 exec_lo, exec_lo, s10
	flat_load_u8 v2, v[12:13] offset:320 th:TH_LOAD_NT
	v_mov_b32_e32 v3, 0
	s_mov_b32 s10, exec_lo
	s_wait_loadcnt_dscnt 0x0
	v_cmpx_ne_u16_e32 0, v2
	s_cbranch_execz .LBB4_10129
; %bb.10122:                            ;   in Loop: Header=BB4_9837 Depth=2
	v_bfrev_b32_e32 v3, 1
	s_mov_b32 s11, exec_lo
	v_cmpx_ne_u16_e32 0x80, v2
	s_cbranch_execz .LBB4_10128
; %bb.10123:                            ;   in Loop: Header=BB4_9837 Depth=2
	v_and_b32_e32 v14, 0xffff, v2
	v_mov_b32_e32 v3, 0x7f800001
	s_mov_b32 s26, exec_lo
	s_delay_alu instid0(VALU_DEP_2) | instskip(NEXT) | instid1(VALU_DEP_1)
	v_and_b32_e32 v80, 0x7f, v14
	v_cmpx_ne_u32_e32 0x7f, v80
	s_cbranch_execz .LBB4_10127
; %bb.10124:                            ;   in Loop: Header=BB4_9837 Depth=2
	v_dual_lshrrev_b32 v3, 3, v80 :: v_dual_bitop2_b32 v14, 7, v14 bitop3:0x40
	s_mov_b32 s27, exec_lo
	v_cmpx_gt_u32_e32 8, v80
; %bb.10125:                            ;   in Loop: Header=BB4_9837 Depth=2
	s_delay_alu instid0(VALU_DEP_2) | instskip(NEXT) | instid1(VALU_DEP_1)
	v_clz_i32_u32_e32 v3, v14
	v_min_u32_e32 v3, 32, v3
	s_delay_alu instid0(VALU_DEP_1) | instskip(NEXT) | instid1(VALU_DEP_1)
	v_subrev_nc_u32_e32 v20, 28, v3
	v_lshlrev_b64_e32 v[20:21], v20, v[14:15]
	s_delay_alu instid0(VALU_DEP_1)
	v_dual_sub_nc_u32 v3, 29, v3 :: v_dual_bitop2_b32 v14, 7, v20 bitop3:0x40
; %bb.10126:                            ;   in Loop: Header=BB4_9837 Depth=2
	s_or_b32 exec_lo, exec_lo, s27
	v_lshlrev_b32_e32 v2, 24, v2
	s_delay_alu instid0(VALU_DEP_2) | instskip(NEXT) | instid1(VALU_DEP_3)
	v_lshlrev_b32_e32 v14, 20, v14
	v_lshl_add_u32 v3, v3, 23, 0x3c000000
	s_delay_alu instid0(VALU_DEP_3) | instskip(NEXT) | instid1(VALU_DEP_1)
	v_and_b32_e32 v2, 0x80000000, v2
	v_or3_b32 v3, v14, v2, v3
.LBB4_10127:                            ;   in Loop: Header=BB4_9837 Depth=2
	s_or_b32 exec_lo, exec_lo, s26
.LBB4_10128:                            ;   in Loop: Header=BB4_9837 Depth=2
	s_delay_alu instid0(SALU_CYCLE_1)
	s_or_b32 exec_lo, exec_lo, s11
.LBB4_10129:                            ;   in Loop: Header=BB4_9837 Depth=2
	s_delay_alu instid0(SALU_CYCLE_1) | instskip(NEXT) | instid1(VALU_DEP_1)
	s_or_b32 exec_lo, exec_lo, s10
	v_mul_f32_e32 v3, s25, v3
                                        ; implicit-def: $vgpr118
	s_mov_b32 s10, exec_lo
	s_delay_alu instid0(VALU_DEP_1) | instskip(SKIP_1) | instid1(VALU_DEP_2)
	v_and_b32_e32 v14, 0x7f800000, v3
	v_lshrrev_b32_e32 v2, 24, v3
	v_cmpx_ne_u64_e32 0x7f800000, v[14:15]
	s_xor_b32 s11, exec_lo, s10
	s_cbranch_execz .LBB4_10147
; %bb.10130:                            ;   in Loop: Header=BB4_9837 Depth=2
	v_and_b32_e32 v14, 0x7fffffff, v3
	v_and_b32_e32 v2, 0x80, v2
                                        ; implicit-def: $vgpr118
	s_mov_b32 s10, exec_lo
	s_delay_alu instid0(VALU_DEP_2)
	v_cmpx_gt_u64_e32 0x43e00001, v[14:15]
	s_xor_b32 s26, exec_lo, s10
	s_cbranch_execz .LBB4_10144
; %bb.10131:                            ;   in Loop: Header=BB4_9837 Depth=2
	v_mov_b32_e32 v118, 0
	s_mov_b32 s27, exec_lo
	v_cmpx_ne_u32_e32 0, v3
	s_cbranch_execz .LBB4_10143
; %bb.10132:                            ;   in Loop: Header=BB4_9837 Depth=2
	v_bfe_u32 v98, v3, 23, 8
	v_and_b32_e32 v3, 0x7fffff, v3
	s_delay_alu instid0(VALU_DEP_2) | instskip(SKIP_1) | instid1(VALU_DEP_3)
	v_sub_nc_u32_e32 v14, 0x79, v98
	v_cmp_gt_u32_e32 vcc_lo, 0x7a, v98
	v_or_b32_e32 v80, 0x800000, v3
	s_delay_alu instid0(VALU_DEP_3) | instskip(SKIP_1) | instid1(VALU_DEP_2)
	v_cndmask_b32_e32 v14, 0, v14, vcc_lo
	v_cmp_eq_u32_e32 vcc_lo, 0, v98
	v_cndmask_b32_e64 v113, v14, 0x78, vcc_lo
	s_delay_alu instid0(VALU_DEP_1) | instskip(NEXT) | instid1(VALU_DEP_1)
	v_dual_add_nc_u32 v14, 20, v113 :: v_dual_add_nc_u32 v81, 19, v113
	v_lshlrev_b64_e64 v[20:21], v14, -1
	v_cndmask_b32_e32 v14, v80, v3, vcc_lo
	s_delay_alu instid0(VALU_DEP_3) | instskip(NEXT) | instid1(VALU_DEP_2)
	v_lshlrev_b64_e64 v[82:83], v81, 1
	v_lshrrev_b64 v[80:81], v113, v[14:15]
	s_delay_alu instid0(VALU_DEP_4) | instskip(SKIP_1) | instid1(VALU_DEP_1)
	v_bfi_b32 v21, v21, 0, 0
	v_bfi_b32 v20, v20, 0, v14
	v_cmp_eq_u64_e64 s10, v[20:21], v[82:83]
	s_delay_alu instid0(VALU_DEP_4)
	v_mov_b64_e32 v[82:83], v[80:81]
	s_and_saveexec_b32 s28, s10
; %bb.10133:                            ;   in Loop: Header=BB4_9837 Depth=2
	v_bfe_u32 v14, v80, 20, 1
	s_delay_alu instid0(VALU_DEP_1) | instskip(NEXT) | instid1(VALU_DEP_1)
	v_add_nc_u64_e32 v[20:21], v[80:81], v[14:15]
	v_add_nc_u64_e32 v[82:83], -1, v[20:21]
; %bb.10134:                            ;   in Loop: Header=BB4_9837 Depth=2
	s_or_b32 exec_lo, exec_lo, s28
	v_add_nc_u32_e32 v3, 0xffffff81, v98
	v_lshrrev_b32_e32 v14, 23, v80
	s_mov_b32 s10, exec_lo
	s_delay_alu instid0(VALU_DEP_2) | instskip(NEXT) | instid1(VALU_DEP_1)
	v_cndmask_b32_e64 v3, v3, 0xffffff82, vcc_lo
	v_add3_u32 v83, v113, v3, v14
	v_and_b32_e32 v3, 0xfffff, v82
	s_delay_alu instid0(VALU_DEP_1) | instskip(NEXT) | instid1(VALU_DEP_1)
	v_dual_add_nc_u32 v82, 6, v83 :: v_dual_add_nc_u32 v14, v3, v80
                                        ; implicit-def: $vgpr80_vgpr81
                                        ; implicit-def: $vgpr3
	v_cmpx_ne_u32_e32 0, v82
	s_xor_b32 s10, exec_lo, s10
; %bb.10135:                            ;   in Loop: Header=BB4_9837 Depth=2
	s_delay_alu instid0(VALU_DEP_2) | instskip(SKIP_2) | instid1(VALU_DEP_2)
	v_cmp_lt_u64_e32 vcc_lo, 0xffffff, v[14:15]
	v_add_nc_u32_e32 v3, 7, v83
	v_cndmask_b32_e64 v20, 0, 1, vcc_lo
	v_cndmask_b32_e32 v3, v82, v3, vcc_lo
	s_delay_alu instid0(VALU_DEP_2)
	v_lshrrev_b64 v[80:81], v20, v[14:15]
; %bb.10136:                            ;   in Loop: Header=BB4_9837 Depth=2
	s_and_not1_saveexec_b32 s10, s10
; %bb.10137:                            ;   in Loop: Header=BB4_9837 Depth=2
	v_mov_b64_e32 v[80:81], v[14:15]
	v_bfe_u32 v3, v14, 23, 1
; %bb.10138:                            ;   in Loop: Header=BB4_9837 Depth=2
	s_or_b32 exec_lo, exec_lo, s10
	s_delay_alu instid0(VALU_DEP_2) | instskip(NEXT) | instid1(VALU_DEP_2)
	v_lshrrev_b64 v[20:21], 20, v[80:81]
	v_cmp_gt_i32_e32 vcc_lo, 16, v3
	v_cmp_ne_u32_e64 s10, 0, v3
                                        ; implicit-def: $vgpr118
	s_delay_alu instid0(VALU_DEP_3) | instskip(NEXT) | instid1(VALU_DEP_1)
	v_dual_cndmask_b32 v81, 0, v21 :: v_dual_cndmask_b32 v80, 7, v20
	v_cmp_ne_u64_e32 vcc_lo, 0, v[80:81]
	s_or_b32 s10, s10, vcc_lo
	s_delay_alu instid0(SALU_CYCLE_1) | instskip(NEXT) | instid1(SALU_CYCLE_1)
	s_and_saveexec_b32 s28, s10
	s_xor_b32 s10, exec_lo, s28
; %bb.10139:                            ;   in Loop: Header=BB4_9837 Depth=2
	v_min_i32_e32 v3, 15, v3
	s_delay_alu instid0(VALU_DEP_1) | instskip(NEXT) | instid1(VALU_DEP_1)
	v_lshl_or_b32 v2, v3, 3, v2
	v_and_or_b32 v118, v80, 7, v2
                                        ; implicit-def: $vgpr2
; %bb.10140:                            ;   in Loop: Header=BB4_9837 Depth=2
	s_and_not1_saveexec_b32 s10, s10
; %bb.10141:                            ;   in Loop: Header=BB4_9837 Depth=2
	v_mov_b32_e32 v118, v2
; %bb.10142:                            ;   in Loop: Header=BB4_9837 Depth=2
	s_or_b32 exec_lo, exec_lo, s10
.LBB4_10143:                            ;   in Loop: Header=BB4_9837 Depth=2
	s_delay_alu instid0(SALU_CYCLE_1)
	s_or_b32 exec_lo, exec_lo, s27
                                        ; implicit-def: $vgpr2
.LBB4_10144:                            ;   in Loop: Header=BB4_9837 Depth=2
	s_and_not1_saveexec_b32 s10, s26
; %bb.10145:                            ;   in Loop: Header=BB4_9837 Depth=2
	v_or_b32_e32 v118, 0x7e, v2
; %bb.10146:                            ;   in Loop: Header=BB4_9837 Depth=2
	s_or_b32 exec_lo, exec_lo, s10
                                        ; implicit-def: $vgpr2
.LBB4_10147:                            ;   in Loop: Header=BB4_9837 Depth=2
	s_and_not1_saveexec_b32 s10, s11
; %bb.10148:                            ;   in Loop: Header=BB4_9837 Depth=2
	v_or_b32_e32 v118, 0x7f, v2
; %bb.10149:                            ;   in Loop: Header=BB4_9837 Depth=2
	s_or_b32 exec_lo, exec_lo, s10
	flat_load_u8 v2, v[12:13] offset:352 th:TH_LOAD_NT
	v_mov_b32_e32 v3, 0
	s_mov_b32 s10, exec_lo
	s_wait_loadcnt_dscnt 0x0
	v_cmpx_ne_u16_e32 0, v2
	s_cbranch_execz .LBB4_10157
; %bb.10150:                            ;   in Loop: Header=BB4_9837 Depth=2
	v_bfrev_b32_e32 v3, 1
	s_mov_b32 s11, exec_lo
	v_cmpx_ne_u16_e32 0x80, v2
	s_cbranch_execz .LBB4_10156
; %bb.10151:                            ;   in Loop: Header=BB4_9837 Depth=2
	v_and_b32_e32 v14, 0xffff, v2
	v_mov_b32_e32 v3, 0x7f800001
	s_mov_b32 s26, exec_lo
	s_delay_alu instid0(VALU_DEP_2) | instskip(NEXT) | instid1(VALU_DEP_1)
	v_and_b32_e32 v80, 0x7f, v14
	v_cmpx_ne_u32_e32 0x7f, v80
	s_cbranch_execz .LBB4_10155
; %bb.10152:                            ;   in Loop: Header=BB4_9837 Depth=2
	v_dual_lshrrev_b32 v3, 3, v80 :: v_dual_bitop2_b32 v14, 7, v14 bitop3:0x40
	s_mov_b32 s27, exec_lo
	v_cmpx_gt_u32_e32 8, v80
; %bb.10153:                            ;   in Loop: Header=BB4_9837 Depth=2
	s_delay_alu instid0(VALU_DEP_2) | instskip(NEXT) | instid1(VALU_DEP_1)
	v_clz_i32_u32_e32 v3, v14
	v_min_u32_e32 v3, 32, v3
	s_delay_alu instid0(VALU_DEP_1) | instskip(NEXT) | instid1(VALU_DEP_1)
	v_subrev_nc_u32_e32 v20, 28, v3
	v_lshlrev_b64_e32 v[20:21], v20, v[14:15]
	s_delay_alu instid0(VALU_DEP_1)
	v_dual_sub_nc_u32 v3, 29, v3 :: v_dual_bitop2_b32 v14, 7, v20 bitop3:0x40
; %bb.10154:                            ;   in Loop: Header=BB4_9837 Depth=2
	s_or_b32 exec_lo, exec_lo, s27
	v_lshlrev_b32_e32 v2, 24, v2
	s_delay_alu instid0(VALU_DEP_2) | instskip(NEXT) | instid1(VALU_DEP_3)
	v_lshlrev_b32_e32 v14, 20, v14
	v_lshl_add_u32 v3, v3, 23, 0x3c000000
	s_delay_alu instid0(VALU_DEP_3) | instskip(NEXT) | instid1(VALU_DEP_1)
	v_and_b32_e32 v2, 0x80000000, v2
	v_or3_b32 v3, v14, v2, v3
.LBB4_10155:                            ;   in Loop: Header=BB4_9837 Depth=2
	s_or_b32 exec_lo, exec_lo, s26
.LBB4_10156:                            ;   in Loop: Header=BB4_9837 Depth=2
	s_delay_alu instid0(SALU_CYCLE_1)
	s_or_b32 exec_lo, exec_lo, s11
.LBB4_10157:                            ;   in Loop: Header=BB4_9837 Depth=2
	s_delay_alu instid0(SALU_CYCLE_1) | instskip(NEXT) | instid1(VALU_DEP_1)
	s_or_b32 exec_lo, exec_lo, s10
	v_mul_f32_e32 v3, s25, v3
                                        ; implicit-def: $vgpr119
	s_mov_b32 s10, exec_lo
	s_delay_alu instid0(VALU_DEP_1) | instskip(SKIP_1) | instid1(VALU_DEP_2)
	v_and_b32_e32 v14, 0x7f800000, v3
	v_lshrrev_b32_e32 v2, 24, v3
	v_cmpx_ne_u64_e32 0x7f800000, v[14:15]
	s_xor_b32 s11, exec_lo, s10
	s_cbranch_execz .LBB4_10175
; %bb.10158:                            ;   in Loop: Header=BB4_9837 Depth=2
	v_and_b32_e32 v14, 0x7fffffff, v3
	v_and_b32_e32 v2, 0x80, v2
                                        ; implicit-def: $vgpr119
	s_mov_b32 s10, exec_lo
	s_delay_alu instid0(VALU_DEP_2)
	v_cmpx_gt_u64_e32 0x43e00001, v[14:15]
	s_xor_b32 s26, exec_lo, s10
	s_cbranch_execz .LBB4_10172
; %bb.10159:                            ;   in Loop: Header=BB4_9837 Depth=2
	v_mov_b32_e32 v119, 0
	s_mov_b32 s27, exec_lo
	v_cmpx_ne_u32_e32 0, v3
	s_cbranch_execz .LBB4_10171
; %bb.10160:                            ;   in Loop: Header=BB4_9837 Depth=2
	v_bfe_u32 v98, v3, 23, 8
	v_and_b32_e32 v3, 0x7fffff, v3
	s_delay_alu instid0(VALU_DEP_2) | instskip(SKIP_1) | instid1(VALU_DEP_3)
	v_sub_nc_u32_e32 v14, 0x79, v98
	v_cmp_gt_u32_e32 vcc_lo, 0x7a, v98
	v_or_b32_e32 v80, 0x800000, v3
	s_delay_alu instid0(VALU_DEP_3) | instskip(SKIP_1) | instid1(VALU_DEP_2)
	v_cndmask_b32_e32 v14, 0, v14, vcc_lo
	v_cmp_eq_u32_e32 vcc_lo, 0, v98
	v_cndmask_b32_e64 v113, v14, 0x78, vcc_lo
	s_delay_alu instid0(VALU_DEP_1) | instskip(NEXT) | instid1(VALU_DEP_1)
	v_dual_add_nc_u32 v14, 20, v113 :: v_dual_add_nc_u32 v81, 19, v113
	v_lshlrev_b64_e64 v[20:21], v14, -1
	v_cndmask_b32_e32 v14, v80, v3, vcc_lo
	s_delay_alu instid0(VALU_DEP_3) | instskip(NEXT) | instid1(VALU_DEP_2)
	v_lshlrev_b64_e64 v[82:83], v81, 1
	v_lshrrev_b64 v[80:81], v113, v[14:15]
	s_delay_alu instid0(VALU_DEP_4) | instskip(SKIP_1) | instid1(VALU_DEP_1)
	v_bfi_b32 v21, v21, 0, 0
	v_bfi_b32 v20, v20, 0, v14
	v_cmp_eq_u64_e64 s10, v[20:21], v[82:83]
	s_delay_alu instid0(VALU_DEP_4)
	v_mov_b64_e32 v[82:83], v[80:81]
	s_and_saveexec_b32 s28, s10
; %bb.10161:                            ;   in Loop: Header=BB4_9837 Depth=2
	v_bfe_u32 v14, v80, 20, 1
	s_delay_alu instid0(VALU_DEP_1) | instskip(NEXT) | instid1(VALU_DEP_1)
	v_add_nc_u64_e32 v[20:21], v[80:81], v[14:15]
	v_add_nc_u64_e32 v[82:83], -1, v[20:21]
; %bb.10162:                            ;   in Loop: Header=BB4_9837 Depth=2
	s_or_b32 exec_lo, exec_lo, s28
	v_add_nc_u32_e32 v3, 0xffffff81, v98
	v_lshrrev_b32_e32 v14, 23, v80
	s_mov_b32 s10, exec_lo
	s_delay_alu instid0(VALU_DEP_2) | instskip(NEXT) | instid1(VALU_DEP_1)
	v_cndmask_b32_e64 v3, v3, 0xffffff82, vcc_lo
	v_add3_u32 v83, v113, v3, v14
	v_and_b32_e32 v3, 0xfffff, v82
	s_delay_alu instid0(VALU_DEP_1) | instskip(NEXT) | instid1(VALU_DEP_1)
	v_dual_add_nc_u32 v82, 6, v83 :: v_dual_add_nc_u32 v14, v3, v80
                                        ; implicit-def: $vgpr80_vgpr81
                                        ; implicit-def: $vgpr3
	v_cmpx_ne_u32_e32 0, v82
	s_xor_b32 s10, exec_lo, s10
; %bb.10163:                            ;   in Loop: Header=BB4_9837 Depth=2
	s_delay_alu instid0(VALU_DEP_2) | instskip(SKIP_2) | instid1(VALU_DEP_2)
	v_cmp_lt_u64_e32 vcc_lo, 0xffffff, v[14:15]
	v_add_nc_u32_e32 v3, 7, v83
	v_cndmask_b32_e64 v20, 0, 1, vcc_lo
	v_cndmask_b32_e32 v3, v82, v3, vcc_lo
	s_delay_alu instid0(VALU_DEP_2)
	v_lshrrev_b64 v[80:81], v20, v[14:15]
; %bb.10164:                            ;   in Loop: Header=BB4_9837 Depth=2
	s_and_not1_saveexec_b32 s10, s10
; %bb.10165:                            ;   in Loop: Header=BB4_9837 Depth=2
	v_mov_b64_e32 v[80:81], v[14:15]
	v_bfe_u32 v3, v14, 23, 1
; %bb.10166:                            ;   in Loop: Header=BB4_9837 Depth=2
	s_or_b32 exec_lo, exec_lo, s10
	s_delay_alu instid0(VALU_DEP_2) | instskip(NEXT) | instid1(VALU_DEP_2)
	v_lshrrev_b64 v[20:21], 20, v[80:81]
	v_cmp_gt_i32_e32 vcc_lo, 16, v3
	v_cmp_ne_u32_e64 s10, 0, v3
                                        ; implicit-def: $vgpr119
	s_delay_alu instid0(VALU_DEP_3) | instskip(NEXT) | instid1(VALU_DEP_1)
	v_dual_cndmask_b32 v81, 0, v21 :: v_dual_cndmask_b32 v80, 7, v20
	v_cmp_ne_u64_e32 vcc_lo, 0, v[80:81]
	s_or_b32 s10, s10, vcc_lo
	s_delay_alu instid0(SALU_CYCLE_1) | instskip(NEXT) | instid1(SALU_CYCLE_1)
	s_and_saveexec_b32 s28, s10
	s_xor_b32 s10, exec_lo, s28
; %bb.10167:                            ;   in Loop: Header=BB4_9837 Depth=2
	v_min_i32_e32 v3, 15, v3
	s_delay_alu instid0(VALU_DEP_1) | instskip(NEXT) | instid1(VALU_DEP_1)
	v_lshl_or_b32 v2, v3, 3, v2
	v_and_or_b32 v119, v80, 7, v2
                                        ; implicit-def: $vgpr2
; %bb.10168:                            ;   in Loop: Header=BB4_9837 Depth=2
	s_and_not1_saveexec_b32 s10, s10
; %bb.10169:                            ;   in Loop: Header=BB4_9837 Depth=2
	v_mov_b32_e32 v119, v2
; %bb.10170:                            ;   in Loop: Header=BB4_9837 Depth=2
	s_or_b32 exec_lo, exec_lo, s10
.LBB4_10171:                            ;   in Loop: Header=BB4_9837 Depth=2
	s_delay_alu instid0(SALU_CYCLE_1)
	s_or_b32 exec_lo, exec_lo, s27
                                        ; implicit-def: $vgpr2
.LBB4_10172:                            ;   in Loop: Header=BB4_9837 Depth=2
	s_and_not1_saveexec_b32 s10, s26
; %bb.10173:                            ;   in Loop: Header=BB4_9837 Depth=2
	v_or_b32_e32 v119, 0x7e, v2
; %bb.10174:                            ;   in Loop: Header=BB4_9837 Depth=2
	s_or_b32 exec_lo, exec_lo, s10
                                        ; implicit-def: $vgpr2
.LBB4_10175:                            ;   in Loop: Header=BB4_9837 Depth=2
	s_and_not1_saveexec_b32 s10, s11
; %bb.10176:                            ;   in Loop: Header=BB4_9837 Depth=2
	v_or_b32_e32 v119, 0x7f, v2
; %bb.10177:                            ;   in Loop: Header=BB4_9837 Depth=2
	s_or_b32 exec_lo, exec_lo, s10
	flat_load_u8 v2, v[12:13] offset:384 th:TH_LOAD_NT
	v_mov_b32_e32 v3, 0
	s_mov_b32 s10, exec_lo
	s_wait_loadcnt_dscnt 0x0
	v_cmpx_ne_u16_e32 0, v2
	s_cbranch_execz .LBB4_10185
; %bb.10178:                            ;   in Loop: Header=BB4_9837 Depth=2
	v_bfrev_b32_e32 v3, 1
	s_mov_b32 s11, exec_lo
	v_cmpx_ne_u16_e32 0x80, v2
	s_cbranch_execz .LBB4_10184
; %bb.10179:                            ;   in Loop: Header=BB4_9837 Depth=2
	v_and_b32_e32 v14, 0xffff, v2
	v_mov_b32_e32 v3, 0x7f800001
	s_mov_b32 s26, exec_lo
	s_delay_alu instid0(VALU_DEP_2) | instskip(NEXT) | instid1(VALU_DEP_1)
	v_and_b32_e32 v80, 0x7f, v14
	v_cmpx_ne_u32_e32 0x7f, v80
	s_cbranch_execz .LBB4_10183
; %bb.10180:                            ;   in Loop: Header=BB4_9837 Depth=2
	v_dual_lshrrev_b32 v3, 3, v80 :: v_dual_bitop2_b32 v14, 7, v14 bitop3:0x40
	s_mov_b32 s27, exec_lo
	v_cmpx_gt_u32_e32 8, v80
; %bb.10181:                            ;   in Loop: Header=BB4_9837 Depth=2
	s_delay_alu instid0(VALU_DEP_2) | instskip(NEXT) | instid1(VALU_DEP_1)
	v_clz_i32_u32_e32 v3, v14
	v_min_u32_e32 v3, 32, v3
	s_delay_alu instid0(VALU_DEP_1) | instskip(NEXT) | instid1(VALU_DEP_1)
	v_subrev_nc_u32_e32 v20, 28, v3
	v_lshlrev_b64_e32 v[20:21], v20, v[14:15]
	s_delay_alu instid0(VALU_DEP_1)
	v_dual_sub_nc_u32 v3, 29, v3 :: v_dual_bitop2_b32 v14, 7, v20 bitop3:0x40
; %bb.10182:                            ;   in Loop: Header=BB4_9837 Depth=2
	s_or_b32 exec_lo, exec_lo, s27
	v_lshlrev_b32_e32 v2, 24, v2
	s_delay_alu instid0(VALU_DEP_2) | instskip(NEXT) | instid1(VALU_DEP_3)
	v_lshlrev_b32_e32 v14, 20, v14
	v_lshl_add_u32 v3, v3, 23, 0x3c000000
	s_delay_alu instid0(VALU_DEP_3) | instskip(NEXT) | instid1(VALU_DEP_1)
	v_and_b32_e32 v2, 0x80000000, v2
	v_or3_b32 v3, v14, v2, v3
.LBB4_10183:                            ;   in Loop: Header=BB4_9837 Depth=2
	s_or_b32 exec_lo, exec_lo, s26
.LBB4_10184:                            ;   in Loop: Header=BB4_9837 Depth=2
	s_delay_alu instid0(SALU_CYCLE_1)
	s_or_b32 exec_lo, exec_lo, s11
.LBB4_10185:                            ;   in Loop: Header=BB4_9837 Depth=2
	s_delay_alu instid0(SALU_CYCLE_1) | instskip(NEXT) | instid1(VALU_DEP_1)
	s_or_b32 exec_lo, exec_lo, s10
	v_mul_f32_e32 v3, s25, v3
                                        ; implicit-def: $vgpr40
	s_mov_b32 s10, exec_lo
	s_delay_alu instid0(VALU_DEP_1) | instskip(SKIP_1) | instid1(VALU_DEP_2)
	v_and_b32_e32 v14, 0x7f800000, v3
	v_lshrrev_b32_e32 v2, 24, v3
	v_cmpx_ne_u64_e32 0x7f800000, v[14:15]
	s_xor_b32 s11, exec_lo, s10
	s_cbranch_execz .LBB4_10203
; %bb.10186:                            ;   in Loop: Header=BB4_9837 Depth=2
	v_and_b32_e32 v14, 0x7fffffff, v3
	v_and_b32_e32 v2, 0x80, v2
                                        ; implicit-def: $vgpr40
	s_mov_b32 s10, exec_lo
	s_delay_alu instid0(VALU_DEP_2)
	v_cmpx_gt_u64_e32 0x43e00001, v[14:15]
	s_xor_b32 s26, exec_lo, s10
	s_cbranch_execz .LBB4_10200
; %bb.10187:                            ;   in Loop: Header=BB4_9837 Depth=2
	v_mov_b32_e32 v40, 0
	s_mov_b32 s27, exec_lo
	v_cmpx_ne_u32_e32 0, v3
	s_cbranch_execz .LBB4_10199
; %bb.10188:                            ;   in Loop: Header=BB4_9837 Depth=2
	v_bfe_u32 v98, v3, 23, 8
	v_and_b32_e32 v3, 0x7fffff, v3
	s_delay_alu instid0(VALU_DEP_2) | instskip(SKIP_1) | instid1(VALU_DEP_3)
	v_sub_nc_u32_e32 v14, 0x79, v98
	v_cmp_gt_u32_e32 vcc_lo, 0x7a, v98
	v_or_b32_e32 v80, 0x800000, v3
	s_delay_alu instid0(VALU_DEP_3) | instskip(SKIP_1) | instid1(VALU_DEP_2)
	v_cndmask_b32_e32 v14, 0, v14, vcc_lo
	v_cmp_eq_u32_e32 vcc_lo, 0, v98
	v_cndmask_b32_e64 v113, v14, 0x78, vcc_lo
	s_delay_alu instid0(VALU_DEP_1) | instskip(NEXT) | instid1(VALU_DEP_1)
	v_dual_add_nc_u32 v14, 20, v113 :: v_dual_add_nc_u32 v81, 19, v113
	v_lshlrev_b64_e64 v[20:21], v14, -1
	v_cndmask_b32_e32 v14, v80, v3, vcc_lo
	s_delay_alu instid0(VALU_DEP_3) | instskip(NEXT) | instid1(VALU_DEP_2)
	v_lshlrev_b64_e64 v[82:83], v81, 1
	v_lshrrev_b64 v[80:81], v113, v[14:15]
	s_delay_alu instid0(VALU_DEP_4) | instskip(SKIP_1) | instid1(VALU_DEP_1)
	v_bfi_b32 v21, v21, 0, 0
	v_bfi_b32 v20, v20, 0, v14
	v_cmp_eq_u64_e64 s10, v[20:21], v[82:83]
	s_delay_alu instid0(VALU_DEP_4)
	v_mov_b64_e32 v[82:83], v[80:81]
	s_and_saveexec_b32 s28, s10
; %bb.10189:                            ;   in Loop: Header=BB4_9837 Depth=2
	v_bfe_u32 v14, v80, 20, 1
	s_delay_alu instid0(VALU_DEP_1) | instskip(NEXT) | instid1(VALU_DEP_1)
	v_add_nc_u64_e32 v[20:21], v[80:81], v[14:15]
	v_add_nc_u64_e32 v[82:83], -1, v[20:21]
; %bb.10190:                            ;   in Loop: Header=BB4_9837 Depth=2
	s_or_b32 exec_lo, exec_lo, s28
	v_add_nc_u32_e32 v3, 0xffffff81, v98
	v_lshrrev_b32_e32 v14, 23, v80
	s_mov_b32 s10, exec_lo
	s_delay_alu instid0(VALU_DEP_2) | instskip(NEXT) | instid1(VALU_DEP_1)
	v_cndmask_b32_e64 v3, v3, 0xffffff82, vcc_lo
	v_add3_u32 v83, v113, v3, v14
	v_and_b32_e32 v3, 0xfffff, v82
	s_delay_alu instid0(VALU_DEP_1) | instskip(NEXT) | instid1(VALU_DEP_1)
	v_dual_add_nc_u32 v82, 6, v83 :: v_dual_add_nc_u32 v14, v3, v80
                                        ; implicit-def: $vgpr80_vgpr81
                                        ; implicit-def: $vgpr3
	v_cmpx_ne_u32_e32 0, v82
	s_xor_b32 s10, exec_lo, s10
; %bb.10191:                            ;   in Loop: Header=BB4_9837 Depth=2
	s_delay_alu instid0(VALU_DEP_2) | instskip(SKIP_2) | instid1(VALU_DEP_2)
	v_cmp_lt_u64_e32 vcc_lo, 0xffffff, v[14:15]
	v_add_nc_u32_e32 v3, 7, v83
	v_cndmask_b32_e64 v20, 0, 1, vcc_lo
	v_cndmask_b32_e32 v3, v82, v3, vcc_lo
	s_delay_alu instid0(VALU_DEP_2)
	v_lshrrev_b64 v[80:81], v20, v[14:15]
; %bb.10192:                            ;   in Loop: Header=BB4_9837 Depth=2
	s_and_not1_saveexec_b32 s10, s10
; %bb.10193:                            ;   in Loop: Header=BB4_9837 Depth=2
	v_mov_b64_e32 v[80:81], v[14:15]
	v_bfe_u32 v3, v14, 23, 1
; %bb.10194:                            ;   in Loop: Header=BB4_9837 Depth=2
	s_or_b32 exec_lo, exec_lo, s10
	s_delay_alu instid0(VALU_DEP_2) | instskip(NEXT) | instid1(VALU_DEP_2)
	v_lshrrev_b64 v[20:21], 20, v[80:81]
	v_cmp_gt_i32_e32 vcc_lo, 16, v3
	v_cmp_ne_u32_e64 s10, 0, v3
                                        ; implicit-def: $vgpr40
	s_delay_alu instid0(VALU_DEP_3) | instskip(NEXT) | instid1(VALU_DEP_1)
	v_dual_cndmask_b32 v81, 0, v21 :: v_dual_cndmask_b32 v80, 7, v20
	v_cmp_ne_u64_e32 vcc_lo, 0, v[80:81]
	s_or_b32 s10, s10, vcc_lo
	s_delay_alu instid0(SALU_CYCLE_1) | instskip(NEXT) | instid1(SALU_CYCLE_1)
	s_and_saveexec_b32 s28, s10
	s_xor_b32 s10, exec_lo, s28
; %bb.10195:                            ;   in Loop: Header=BB4_9837 Depth=2
	v_min_i32_e32 v3, 15, v3
	s_delay_alu instid0(VALU_DEP_1) | instskip(NEXT) | instid1(VALU_DEP_1)
	v_lshl_or_b32 v2, v3, 3, v2
	v_and_or_b32 v40, v80, 7, v2
                                        ; implicit-def: $vgpr2
; %bb.10196:                            ;   in Loop: Header=BB4_9837 Depth=2
	s_and_not1_saveexec_b32 s10, s10
; %bb.10197:                            ;   in Loop: Header=BB4_9837 Depth=2
	v_mov_b32_e32 v40, v2
; %bb.10198:                            ;   in Loop: Header=BB4_9837 Depth=2
	s_or_b32 exec_lo, exec_lo, s10
.LBB4_10199:                            ;   in Loop: Header=BB4_9837 Depth=2
	s_delay_alu instid0(SALU_CYCLE_1)
	s_or_b32 exec_lo, exec_lo, s27
                                        ; implicit-def: $vgpr2
.LBB4_10200:                            ;   in Loop: Header=BB4_9837 Depth=2
	s_and_not1_saveexec_b32 s10, s26
; %bb.10201:                            ;   in Loop: Header=BB4_9837 Depth=2
	v_or_b32_e32 v40, 0x7e, v2
; %bb.10202:                            ;   in Loop: Header=BB4_9837 Depth=2
	s_or_b32 exec_lo, exec_lo, s10
                                        ; implicit-def: $vgpr2
.LBB4_10203:                            ;   in Loop: Header=BB4_9837 Depth=2
	s_and_not1_saveexec_b32 s10, s11
; %bb.10204:                            ;   in Loop: Header=BB4_9837 Depth=2
	v_or_b32_e32 v40, 0x7f, v2
; %bb.10205:                            ;   in Loop: Header=BB4_9837 Depth=2
	s_or_b32 exec_lo, exec_lo, s10
	flat_load_u8 v2, v[12:13] offset:416 th:TH_LOAD_NT
	v_mov_b32_e32 v3, 0
	s_mov_b32 s10, exec_lo
	s_wait_loadcnt_dscnt 0x0
	v_cmpx_ne_u16_e32 0, v2
	s_cbranch_execz .LBB4_10213
; %bb.10206:                            ;   in Loop: Header=BB4_9837 Depth=2
	v_bfrev_b32_e32 v3, 1
	s_mov_b32 s11, exec_lo
	v_cmpx_ne_u16_e32 0x80, v2
	s_cbranch_execz .LBB4_10212
; %bb.10207:                            ;   in Loop: Header=BB4_9837 Depth=2
	v_and_b32_e32 v14, 0xffff, v2
	v_mov_b32_e32 v3, 0x7f800001
	s_mov_b32 s26, exec_lo
	s_delay_alu instid0(VALU_DEP_2) | instskip(NEXT) | instid1(VALU_DEP_1)
	v_and_b32_e32 v80, 0x7f, v14
	v_cmpx_ne_u32_e32 0x7f, v80
	s_cbranch_execz .LBB4_10211
; %bb.10208:                            ;   in Loop: Header=BB4_9837 Depth=2
	v_dual_lshrrev_b32 v3, 3, v80 :: v_dual_bitop2_b32 v14, 7, v14 bitop3:0x40
	s_mov_b32 s27, exec_lo
	v_cmpx_gt_u32_e32 8, v80
; %bb.10209:                            ;   in Loop: Header=BB4_9837 Depth=2
	s_delay_alu instid0(VALU_DEP_2) | instskip(NEXT) | instid1(VALU_DEP_1)
	v_clz_i32_u32_e32 v3, v14
	v_min_u32_e32 v3, 32, v3
	s_delay_alu instid0(VALU_DEP_1) | instskip(NEXT) | instid1(VALU_DEP_1)
	v_subrev_nc_u32_e32 v20, 28, v3
	v_lshlrev_b64_e32 v[20:21], v20, v[14:15]
	s_delay_alu instid0(VALU_DEP_1)
	v_dual_sub_nc_u32 v3, 29, v3 :: v_dual_bitop2_b32 v14, 7, v20 bitop3:0x40
; %bb.10210:                            ;   in Loop: Header=BB4_9837 Depth=2
	s_or_b32 exec_lo, exec_lo, s27
	v_lshlrev_b32_e32 v2, 24, v2
	s_delay_alu instid0(VALU_DEP_2) | instskip(NEXT) | instid1(VALU_DEP_3)
	v_lshlrev_b32_e32 v14, 20, v14
	v_lshl_add_u32 v3, v3, 23, 0x3c000000
	s_delay_alu instid0(VALU_DEP_3) | instskip(NEXT) | instid1(VALU_DEP_1)
	v_and_b32_e32 v2, 0x80000000, v2
	v_or3_b32 v3, v14, v2, v3
.LBB4_10211:                            ;   in Loop: Header=BB4_9837 Depth=2
	s_or_b32 exec_lo, exec_lo, s26
.LBB4_10212:                            ;   in Loop: Header=BB4_9837 Depth=2
	s_delay_alu instid0(SALU_CYCLE_1)
	s_or_b32 exec_lo, exec_lo, s11
.LBB4_10213:                            ;   in Loop: Header=BB4_9837 Depth=2
	s_delay_alu instid0(SALU_CYCLE_1) | instskip(NEXT) | instid1(VALU_DEP_1)
	s_or_b32 exec_lo, exec_lo, s10
	v_mul_f32_e32 v80, s25, v3
                                        ; implicit-def: $vgpr2
	s_mov_b32 s10, exec_lo
	s_delay_alu instid0(VALU_DEP_1) | instskip(SKIP_1) | instid1(VALU_DEP_2)
	v_and_b32_e32 v14, 0x7f800000, v80
	v_lshrrev_b32_e32 v3, 24, v80
	v_cmpx_ne_u64_e32 0x7f800000, v[14:15]
	s_xor_b32 s11, exec_lo, s10
	s_cbranch_execz .LBB4_10231
; %bb.10214:                            ;   in Loop: Header=BB4_9837 Depth=2
	v_and_b32_e32 v14, 0x7fffffff, v80
	v_and_b32_e32 v3, 0x80, v3
                                        ; implicit-def: $vgpr2
	s_mov_b32 s10, exec_lo
	s_delay_alu instid0(VALU_DEP_2)
	v_cmpx_gt_u64_e32 0x43e00001, v[14:15]
	s_xor_b32 s26, exec_lo, s10
	s_cbranch_execz .LBB4_10228
; %bb.10215:                            ;   in Loop: Header=BB4_9837 Depth=2
	v_mov_b32_e32 v2, 0
	s_mov_b32 s27, exec_lo
	v_cmpx_ne_u32_e32 0, v80
	s_cbranch_execz .LBB4_10227
; %bb.10216:                            ;   in Loop: Header=BB4_9837 Depth=2
	v_bfe_u32 v2, v80, 23, 8
	s_delay_alu instid0(VALU_DEP_1) | instskip(SKIP_1) | instid1(VALU_DEP_2)
	v_sub_nc_u32_e32 v14, 0x79, v2
	v_cmp_gt_u32_e32 vcc_lo, 0x7a, v2
	v_cndmask_b32_e32 v14, 0, v14, vcc_lo
	v_cmp_eq_u32_e32 vcc_lo, 0, v2
	s_delay_alu instid0(VALU_DEP_2) | instskip(SKIP_1) | instid1(VALU_DEP_2)
	v_cndmask_b32_e64 v98, v14, 0x78, vcc_lo
	v_and_b32_e32 v14, 0x7fffff, v80
	v_dual_add_nc_u32 v20, 20, v98 :: v_dual_add_nc_u32 v81, 19, v98
	s_delay_alu instid0(VALU_DEP_2) | instskip(NEXT) | instid1(VALU_DEP_2)
	v_or_b32_e32 v80, 0x800000, v14
	v_lshlrev_b64_e64 v[20:21], v20, -1
	s_delay_alu instid0(VALU_DEP_3) | instskip(NEXT) | instid1(VALU_DEP_3)
	v_lshlrev_b64_e64 v[82:83], v81, 1
	v_cndmask_b32_e32 v14, v80, v14, vcc_lo
	s_delay_alu instid0(VALU_DEP_1) | instskip(NEXT) | instid1(VALU_DEP_4)
	v_lshrrev_b64 v[80:81], v98, v[14:15]
	v_bfi_b32 v21, v21, 0, 0
	v_bfi_b32 v20, v20, 0, v14
	s_delay_alu instid0(VALU_DEP_1) | instskip(NEXT) | instid1(VALU_DEP_4)
	v_cmp_eq_u64_e64 s10, v[20:21], v[82:83]
	v_mov_b64_e32 v[82:83], v[80:81]
	s_and_saveexec_b32 s28, s10
; %bb.10217:                            ;   in Loop: Header=BB4_9837 Depth=2
	v_bfe_u32 v14, v80, 20, 1
	s_delay_alu instid0(VALU_DEP_1) | instskip(NEXT) | instid1(VALU_DEP_1)
	v_add_nc_u64_e32 v[20:21], v[80:81], v[14:15]
	v_add_nc_u64_e32 v[82:83], -1, v[20:21]
; %bb.10218:                            ;   in Loop: Header=BB4_9837 Depth=2
	s_or_b32 exec_lo, exec_lo, s28
	v_add_nc_u32_e32 v2, 0xffffff81, v2
	v_lshrrev_b32_e32 v14, 23, v80
	s_mov_b32 s10, exec_lo
	s_delay_alu instid0(VALU_DEP_2) | instskip(NEXT) | instid1(VALU_DEP_1)
	v_cndmask_b32_e64 v2, v2, 0xffffff82, vcc_lo
	v_add3_u32 v2, v98, v2, v14
	v_and_b32_e32 v14, 0xfffff, v82
                                        ; implicit-def: $vgpr82
	s_delay_alu instid0(VALU_DEP_1) | instskip(NEXT) | instid1(VALU_DEP_1)
	v_dual_add_nc_u32 v83, 6, v2 :: v_dual_add_nc_u32 v14, v14, v80
                                        ; implicit-def: $vgpr80_vgpr81
	v_cmpx_ne_u32_e32 0, v83
	s_xor_b32 s10, exec_lo, s10
; %bb.10219:                            ;   in Loop: Header=BB4_9837 Depth=2
	s_delay_alu instid0(VALU_DEP_2) | instskip(SKIP_1) | instid1(VALU_DEP_1)
	v_cmp_lt_u64_e32 vcc_lo, 0xffffff, v[14:15]
	v_add_nc_u32_e32 v2, 7, v2
	v_cndmask_b32_e32 v82, v83, v2, vcc_lo
	v_cndmask_b32_e64 v2, 0, 1, vcc_lo
	s_delay_alu instid0(VALU_DEP_1)
	v_lshrrev_b64 v[80:81], v2, v[14:15]
; %bb.10220:                            ;   in Loop: Header=BB4_9837 Depth=2
	s_and_not1_saveexec_b32 s10, s10
; %bb.10221:                            ;   in Loop: Header=BB4_9837 Depth=2
	v_mov_b64_e32 v[80:81], v[14:15]
	v_bfe_u32 v82, v14, 23, 1
; %bb.10222:                            ;   in Loop: Header=BB4_9837 Depth=2
	s_or_b32 exec_lo, exec_lo, s10
	s_delay_alu instid0(VALU_DEP_2) | instskip(NEXT) | instid1(VALU_DEP_2)
	v_lshrrev_b64 v[20:21], 20, v[80:81]
	v_cmp_gt_i32_e32 vcc_lo, 16, v82
	v_cmp_ne_u32_e64 s10, 0, v82
                                        ; implicit-def: $vgpr2
	s_delay_alu instid0(VALU_DEP_3) | instskip(NEXT) | instid1(VALU_DEP_1)
	v_dual_cndmask_b32 v81, 0, v21 :: v_dual_cndmask_b32 v80, 7, v20
	v_cmp_ne_u64_e32 vcc_lo, 0, v[80:81]
	s_or_b32 s10, s10, vcc_lo
	s_delay_alu instid0(SALU_CYCLE_1) | instskip(NEXT) | instid1(SALU_CYCLE_1)
	s_and_saveexec_b32 s28, s10
	s_xor_b32 s10, exec_lo, s28
; %bb.10223:                            ;   in Loop: Header=BB4_9837 Depth=2
	v_min_i32_e32 v2, 15, v82
	s_delay_alu instid0(VALU_DEP_1) | instskip(NEXT) | instid1(VALU_DEP_1)
	v_lshl_or_b32 v2, v2, 3, v3
                                        ; implicit-def: $vgpr3
	v_and_or_b32 v2, v80, 7, v2
; %bb.10224:                            ;   in Loop: Header=BB4_9837 Depth=2
	s_and_not1_saveexec_b32 s10, s10
; %bb.10225:                            ;   in Loop: Header=BB4_9837 Depth=2
	v_mov_b32_e32 v2, v3
; %bb.10226:                            ;   in Loop: Header=BB4_9837 Depth=2
	s_or_b32 exec_lo, exec_lo, s10
.LBB4_10227:                            ;   in Loop: Header=BB4_9837 Depth=2
	s_delay_alu instid0(SALU_CYCLE_1)
	s_or_b32 exec_lo, exec_lo, s27
                                        ; implicit-def: $vgpr3
.LBB4_10228:                            ;   in Loop: Header=BB4_9837 Depth=2
	s_and_not1_saveexec_b32 s10, s26
; %bb.10229:                            ;   in Loop: Header=BB4_9837 Depth=2
	v_or_b32_e32 v2, 0x7e, v3
; %bb.10230:                            ;   in Loop: Header=BB4_9837 Depth=2
	s_or_b32 exec_lo, exec_lo, s10
                                        ; implicit-def: $vgpr3
.LBB4_10231:                            ;   in Loop: Header=BB4_9837 Depth=2
	s_and_not1_saveexec_b32 s10, s11
; %bb.10232:                            ;   in Loop: Header=BB4_9837 Depth=2
	v_or_b32_e32 v2, 0x7f, v3
; %bb.10233:                            ;   in Loop: Header=BB4_9837 Depth=2
	s_or_b32 exec_lo, exec_lo, s10
	flat_load_u8 v3, v[12:13] offset:448 th:TH_LOAD_NT
	v_mov_b32_e32 v14, 0
	s_mov_b32 s10, exec_lo
	s_wait_loadcnt_dscnt 0x0
	v_cmpx_ne_u16_e32 0, v3
	s_cbranch_execz .LBB4_10241
; %bb.10234:                            ;   in Loop: Header=BB4_9837 Depth=2
	v_bfrev_b32_e32 v14, 1
	s_mov_b32 s11, exec_lo
	v_cmpx_ne_u16_e32 0x80, v3
	s_cbranch_execz .LBB4_10240
; %bb.10235:                            ;   in Loop: Header=BB4_9837 Depth=2
	v_and_b32_e32 v80, 0xffff, v3
	v_mov_b32_e32 v14, 0x7f800001
	s_mov_b32 s26, exec_lo
	s_delay_alu instid0(VALU_DEP_2) | instskip(NEXT) | instid1(VALU_DEP_1)
	v_and_b32_e32 v81, 0x7f, v80
	v_cmpx_ne_u32_e32 0x7f, v81
	s_cbranch_execz .LBB4_10239
; %bb.10236:                            ;   in Loop: Header=BB4_9837 Depth=2
	v_dual_lshrrev_b32 v80, 3, v81 :: v_dual_bitop2_b32 v14, 7, v80 bitop3:0x40
	s_mov_b32 s27, exec_lo
	v_cmpx_gt_u32_e32 8, v81
; %bb.10237:                            ;   in Loop: Header=BB4_9837 Depth=2
	s_delay_alu instid0(VALU_DEP_2) | instskip(NEXT) | instid1(VALU_DEP_1)
	v_clz_i32_u32_e32 v20, v14
	v_min_u32_e32 v80, 32, v20
	s_delay_alu instid0(VALU_DEP_1) | instskip(SKIP_1) | instid1(VALU_DEP_2)
	v_subrev_nc_u32_e32 v20, 28, v80
	v_sub_nc_u32_e32 v80, 29, v80
	v_lshlrev_b64_e32 v[20:21], v20, v[14:15]
	s_delay_alu instid0(VALU_DEP_1)
	v_and_b32_e32 v14, 7, v20
; %bb.10238:                            ;   in Loop: Header=BB4_9837 Depth=2
	s_or_b32 exec_lo, exec_lo, s27
	s_delay_alu instid0(VALU_DEP_1) | instskip(SKIP_1) | instid1(VALU_DEP_2)
	v_dual_lshlrev_b32 v3, 24, v3 :: v_dual_lshlrev_b32 v14, 20, v14
	v_lshl_add_u32 v20, v80, 23, 0x3c000000
	v_and_b32_e32 v3, 0x80000000, v3
	s_delay_alu instid0(VALU_DEP_1)
	v_or3_b32 v14, v14, v3, v20
.LBB4_10239:                            ;   in Loop: Header=BB4_9837 Depth=2
	s_or_b32 exec_lo, exec_lo, s26
.LBB4_10240:                            ;   in Loop: Header=BB4_9837 Depth=2
	s_delay_alu instid0(SALU_CYCLE_1)
	s_or_b32 exec_lo, exec_lo, s11
.LBB4_10241:                            ;   in Loop: Header=BB4_9837 Depth=2
	s_delay_alu instid0(SALU_CYCLE_1) | instskip(NEXT) | instid1(VALU_DEP_1)
	s_or_b32 exec_lo, exec_lo, s10
	v_mul_f32_e32 v80, s25, v14
                                        ; implicit-def: $vgpr3
	s_mov_b32 s10, exec_lo
	s_delay_alu instid0(VALU_DEP_1) | instskip(SKIP_1) | instid1(VALU_DEP_2)
	v_and_b32_e32 v14, 0x7f800000, v80
	v_lshrrev_b32_e32 v81, 24, v80
	v_cmpx_ne_u64_e32 0x7f800000, v[14:15]
	s_xor_b32 s11, exec_lo, s10
	s_cbranch_execz .LBB4_10259
; %bb.10242:                            ;   in Loop: Header=BB4_9837 Depth=2
	v_and_b32_e32 v14, 0x7fffffff, v80
	v_and_b32_e32 v113, 0x80, v81
                                        ; implicit-def: $vgpr3
	s_mov_b32 s10, exec_lo
	s_delay_alu instid0(VALU_DEP_2)
	v_cmpx_gt_u64_e32 0x43e00001, v[14:15]
	s_xor_b32 s26, exec_lo, s10
	s_cbranch_execz .LBB4_10256
; %bb.10243:                            ;   in Loop: Header=BB4_9837 Depth=2
	v_mov_b32_e32 v3, 0
	s_mov_b32 s27, exec_lo
	v_cmpx_ne_u32_e32 0, v80
	s_cbranch_execz .LBB4_10255
; %bb.10244:                            ;   in Loop: Header=BB4_9837 Depth=2
	v_bfe_u32 v3, v80, 23, 8
	s_delay_alu instid0(VALU_DEP_1) | instskip(SKIP_1) | instid1(VALU_DEP_2)
	v_sub_nc_u32_e32 v14, 0x79, v3
	v_cmp_gt_u32_e32 vcc_lo, 0x7a, v3
	v_cndmask_b32_e32 v14, 0, v14, vcc_lo
	v_cmp_eq_u32_e32 vcc_lo, 0, v3
	s_delay_alu instid0(VALU_DEP_2) | instskip(SKIP_1) | instid1(VALU_DEP_2)
	v_cndmask_b32_e64 v98, v14, 0x78, vcc_lo
	v_and_b32_e32 v14, 0x7fffff, v80
	v_dual_add_nc_u32 v20, 20, v98 :: v_dual_add_nc_u32 v81, 19, v98
	s_delay_alu instid0(VALU_DEP_2) | instskip(NEXT) | instid1(VALU_DEP_2)
	v_or_b32_e32 v80, 0x800000, v14
	v_lshlrev_b64_e64 v[20:21], v20, -1
	s_delay_alu instid0(VALU_DEP_3) | instskip(NEXT) | instid1(VALU_DEP_3)
	v_lshlrev_b64_e64 v[82:83], v81, 1
	v_cndmask_b32_e32 v14, v80, v14, vcc_lo
	s_delay_alu instid0(VALU_DEP_1) | instskip(NEXT) | instid1(VALU_DEP_4)
	v_lshrrev_b64 v[80:81], v98, v[14:15]
	v_bfi_b32 v21, v21, 0, 0
	v_bfi_b32 v20, v20, 0, v14
	s_delay_alu instid0(VALU_DEP_1) | instskip(NEXT) | instid1(VALU_DEP_4)
	v_cmp_eq_u64_e64 s10, v[20:21], v[82:83]
	v_mov_b64_e32 v[82:83], v[80:81]
	s_and_saveexec_b32 s28, s10
; %bb.10245:                            ;   in Loop: Header=BB4_9837 Depth=2
	v_bfe_u32 v14, v80, 20, 1
	s_delay_alu instid0(VALU_DEP_1) | instskip(NEXT) | instid1(VALU_DEP_1)
	v_add_nc_u64_e32 v[20:21], v[80:81], v[14:15]
	v_add_nc_u64_e32 v[82:83], -1, v[20:21]
; %bb.10246:                            ;   in Loop: Header=BB4_9837 Depth=2
	s_or_b32 exec_lo, exec_lo, s28
	v_add_nc_u32_e32 v3, 0xffffff81, v3
	v_lshrrev_b32_e32 v14, 23, v80
	s_mov_b32 s10, exec_lo
	s_delay_alu instid0(VALU_DEP_2) | instskip(NEXT) | instid1(VALU_DEP_1)
	v_cndmask_b32_e64 v3, v3, 0xffffff82, vcc_lo
	v_add3_u32 v3, v98, v3, v14
	v_and_b32_e32 v14, 0xfffff, v82
                                        ; implicit-def: $vgpr82
	s_delay_alu instid0(VALU_DEP_1) | instskip(NEXT) | instid1(VALU_DEP_1)
	v_dual_add_nc_u32 v83, 6, v3 :: v_dual_add_nc_u32 v14, v14, v80
                                        ; implicit-def: $vgpr80_vgpr81
	v_cmpx_ne_u32_e32 0, v83
	s_xor_b32 s10, exec_lo, s10
; %bb.10247:                            ;   in Loop: Header=BB4_9837 Depth=2
	s_delay_alu instid0(VALU_DEP_2) | instskip(SKIP_1) | instid1(VALU_DEP_1)
	v_cmp_lt_u64_e32 vcc_lo, 0xffffff, v[14:15]
	v_add_nc_u32_e32 v3, 7, v3
	v_cndmask_b32_e32 v82, v83, v3, vcc_lo
	v_cndmask_b32_e64 v3, 0, 1, vcc_lo
	s_delay_alu instid0(VALU_DEP_1)
	v_lshrrev_b64 v[80:81], v3, v[14:15]
; %bb.10248:                            ;   in Loop: Header=BB4_9837 Depth=2
	s_and_not1_saveexec_b32 s10, s10
; %bb.10249:                            ;   in Loop: Header=BB4_9837 Depth=2
	v_mov_b64_e32 v[80:81], v[14:15]
	v_bfe_u32 v82, v14, 23, 1
; %bb.10250:                            ;   in Loop: Header=BB4_9837 Depth=2
	s_or_b32 exec_lo, exec_lo, s10
	s_delay_alu instid0(VALU_DEP_2) | instskip(NEXT) | instid1(VALU_DEP_2)
	v_lshrrev_b64 v[20:21], 20, v[80:81]
	v_cmp_gt_i32_e32 vcc_lo, 16, v82
	v_cmp_ne_u32_e64 s10, 0, v82
                                        ; implicit-def: $vgpr3
	s_delay_alu instid0(VALU_DEP_3) | instskip(NEXT) | instid1(VALU_DEP_1)
	v_dual_cndmask_b32 v81, 0, v21 :: v_dual_cndmask_b32 v80, 7, v20
	v_cmp_ne_u64_e32 vcc_lo, 0, v[80:81]
	s_or_b32 s10, s10, vcc_lo
	s_delay_alu instid0(SALU_CYCLE_1) | instskip(NEXT) | instid1(SALU_CYCLE_1)
	s_and_saveexec_b32 s28, s10
	s_xor_b32 s10, exec_lo, s28
; %bb.10251:                            ;   in Loop: Header=BB4_9837 Depth=2
	v_min_i32_e32 v3, 15, v82
	s_delay_alu instid0(VALU_DEP_1) | instskip(NEXT) | instid1(VALU_DEP_1)
	v_lshl_or_b32 v3, v3, 3, v113
                                        ; implicit-def: $vgpr113
	v_and_or_b32 v3, v80, 7, v3
; %bb.10252:                            ;   in Loop: Header=BB4_9837 Depth=2
	s_and_not1_saveexec_b32 s10, s10
; %bb.10253:                            ;   in Loop: Header=BB4_9837 Depth=2
	v_mov_b32_e32 v3, v113
; %bb.10254:                            ;   in Loop: Header=BB4_9837 Depth=2
	s_or_b32 exec_lo, exec_lo, s10
.LBB4_10255:                            ;   in Loop: Header=BB4_9837 Depth=2
	s_delay_alu instid0(SALU_CYCLE_1)
	s_or_b32 exec_lo, exec_lo, s27
                                        ; implicit-def: $vgpr113
.LBB4_10256:                            ;   in Loop: Header=BB4_9837 Depth=2
	s_and_not1_saveexec_b32 s10, s26
; %bb.10257:                            ;   in Loop: Header=BB4_9837 Depth=2
	v_or_b32_e32 v3, 0x7e, v113
; %bb.10258:                            ;   in Loop: Header=BB4_9837 Depth=2
	s_or_b32 exec_lo, exec_lo, s10
                                        ; implicit-def: $vgpr81
.LBB4_10259:                            ;   in Loop: Header=BB4_9837 Depth=2
	s_and_not1_saveexec_b32 s10, s11
; %bb.10260:                            ;   in Loop: Header=BB4_9837 Depth=2
	v_or_b32_e32 v3, 0x7f, v81
; %bb.10261:                            ;   in Loop: Header=BB4_9837 Depth=2
	s_or_b32 exec_lo, exec_lo, s10
	flat_load_u8 v12, v[12:13] offset:480 th:TH_LOAD_NT
	s_wait_xcnt 0x0
	v_mov_b32_e32 v13, 0
	s_mov_b32 s10, exec_lo
	s_wait_loadcnt_dscnt 0x0
	v_cmpx_ne_u16_e32 0, v12
	s_cbranch_execz .LBB4_10269
; %bb.10262:                            ;   in Loop: Header=BB4_9837 Depth=2
	v_bfrev_b32_e32 v13, 1
	s_mov_b32 s11, exec_lo
	v_cmpx_ne_u16_e32 0x80, v12
	s_cbranch_execz .LBB4_10268
; %bb.10263:                            ;   in Loop: Header=BB4_9837 Depth=2
	v_and_b32_e32 v14, 0xffff, v12
	v_mov_b32_e32 v13, 0x7f800001
	s_mov_b32 s26, exec_lo
	s_delay_alu instid0(VALU_DEP_2) | instskip(NEXT) | instid1(VALU_DEP_1)
	v_and_b32_e32 v80, 0x7f, v14
	v_cmpx_ne_u32_e32 0x7f, v80
	s_cbranch_execz .LBB4_10267
; %bb.10264:                            ;   in Loop: Header=BB4_9837 Depth=2
	v_dual_lshrrev_b32 v13, 3, v80 :: v_dual_bitop2_b32 v14, 7, v14 bitop3:0x40
	s_mov_b32 s27, exec_lo
	v_cmpx_gt_u32_e32 8, v80
; %bb.10265:                            ;   in Loop: Header=BB4_9837 Depth=2
	s_delay_alu instid0(VALU_DEP_2) | instskip(NEXT) | instid1(VALU_DEP_1)
	v_clz_i32_u32_e32 v13, v14
	v_min_u32_e32 v13, 32, v13
	s_delay_alu instid0(VALU_DEP_1) | instskip(NEXT) | instid1(VALU_DEP_1)
	v_subrev_nc_u32_e32 v20, 28, v13
	v_lshlrev_b64_e32 v[20:21], v20, v[14:15]
	s_delay_alu instid0(VALU_DEP_1)
	v_dual_sub_nc_u32 v13, 29, v13 :: v_dual_bitop2_b32 v14, 7, v20 bitop3:0x40
; %bb.10266:                            ;   in Loop: Header=BB4_9837 Depth=2
	s_or_b32 exec_lo, exec_lo, s27
	s_delay_alu instid0(VALU_DEP_1) | instskip(NEXT) | instid1(VALU_DEP_2)
	v_dual_lshlrev_b32 v12, 24, v12 :: v_dual_lshlrev_b32 v14, 20, v14
	v_lshl_add_u32 v13, v13, 23, 0x3c000000
	s_delay_alu instid0(VALU_DEP_2) | instskip(NEXT) | instid1(VALU_DEP_1)
	v_and_b32_e32 v12, 0x80000000, v12
	v_or3_b32 v13, v14, v12, v13
.LBB4_10267:                            ;   in Loop: Header=BB4_9837 Depth=2
	s_or_b32 exec_lo, exec_lo, s26
.LBB4_10268:                            ;   in Loop: Header=BB4_9837 Depth=2
	s_delay_alu instid0(SALU_CYCLE_1)
	s_or_b32 exec_lo, exec_lo, s11
.LBB4_10269:                            ;   in Loop: Header=BB4_9837 Depth=2
	s_delay_alu instid0(SALU_CYCLE_1) | instskip(NEXT) | instid1(VALU_DEP_1)
	s_or_b32 exec_lo, exec_lo, s10
	v_mul_f32_e32 v12, s25, v13
                                        ; implicit-def: $vgpr13
	s_mov_b32 s10, exec_lo
	s_delay_alu instid0(VALU_DEP_1) | instskip(SKIP_1) | instid1(VALU_DEP_2)
	v_and_b32_e32 v14, 0x7f800000, v12
	v_lshrrev_b32_e32 v80, 24, v12
	v_cmpx_ne_u64_e32 0x7f800000, v[14:15]
	s_xor_b32 s11, exec_lo, s10
	s_cbranch_execz .LBB4_10287
; %bb.10270:                            ;   in Loop: Header=BB4_9837 Depth=2
	v_and_b32_e32 v14, 0x7fffffff, v12
	v_and_b32_e32 v82, 0x80, v80
                                        ; implicit-def: $vgpr13
	s_mov_b32 s10, exec_lo
	s_delay_alu instid0(VALU_DEP_2)
	v_cmpx_gt_u64_e32 0x43e00001, v[14:15]
	s_xor_b32 s25, exec_lo, s10
	s_cbranch_execz .LBB4_10284
; %bb.10271:                            ;   in Loop: Header=BB4_9837 Depth=2
	v_mov_b32_e32 v13, 0
	s_mov_b32 s26, exec_lo
	v_cmpx_ne_u32_e32 0, v12
	s_cbranch_execz .LBB4_10283
; %bb.10272:                            ;   in Loop: Header=BB4_9837 Depth=2
	v_bfe_u32 v83, v12, 23, 8
	v_and_b32_e32 v14, 0x7fffff, v12
	s_delay_alu instid0(VALU_DEP_2) | instskip(NEXT) | instid1(VALU_DEP_2)
	v_cmp_gt_u32_e32 vcc_lo, 0x7a, v83
	v_or_b32_e32 v20, 0x800000, v14
	v_sub_nc_u32_e32 v13, 0x79, v83
	s_delay_alu instid0(VALU_DEP_1) | instskip(SKIP_1) | instid1(VALU_DEP_2)
	v_cndmask_b32_e32 v13, 0, v13, vcc_lo
	v_cmp_eq_u32_e32 vcc_lo, 0, v83
	v_cndmask_b32_e64 v98, v13, 0x78, vcc_lo
	v_cndmask_b32_e32 v14, v20, v14, vcc_lo
	s_delay_alu instid0(VALU_DEP_2) | instskip(NEXT) | instid1(VALU_DEP_1)
	v_dual_add_nc_u32 v12, 20, v98 :: v_dual_add_nc_u32 v21, 19, v98
	v_lshlrev_b64_e64 v[12:13], v12, -1
	s_delay_alu instid0(VALU_DEP_2) | instskip(NEXT) | instid1(VALU_DEP_2)
	v_lshlrev_b64_e64 v[20:21], v21, 1
	v_bfi_b32 v81, v13, 0, 0
	s_delay_alu instid0(VALU_DEP_3) | instskip(SKIP_1) | instid1(VALU_DEP_2)
	v_bfi_b32 v80, v12, 0, v14
	v_lshrrev_b64 v[12:13], v98, v[14:15]
	v_cmp_eq_u64_e64 s10, v[80:81], v[20:21]
	s_delay_alu instid0(VALU_DEP_2)
	v_mov_b64_e32 v[80:81], v[12:13]
	s_and_saveexec_b32 s27, s10
; %bb.10273:                            ;   in Loop: Header=BB4_9837 Depth=2
	v_bfe_u32 v14, v12, 20, 1
	s_delay_alu instid0(VALU_DEP_1) | instskip(NEXT) | instid1(VALU_DEP_1)
	v_add_nc_u64_e32 v[20:21], v[12:13], v[14:15]
	v_add_nc_u64_e32 v[80:81], -1, v[20:21]
; %bb.10274:                            ;   in Loop: Header=BB4_9837 Depth=2
	s_or_b32 exec_lo, exec_lo, s27
	v_add_nc_u32_e32 v13, 0xffffff81, v83
	v_lshrrev_b32_e32 v14, 23, v12
	s_mov_b32 s10, exec_lo
	s_delay_alu instid0(VALU_DEP_2) | instskip(NEXT) | instid1(VALU_DEP_1)
	v_cndmask_b32_e64 v13, v13, 0xffffff82, vcc_lo
	v_add3_u32 v81, v98, v13, v14
	v_and_b32_e32 v13, 0xfffff, v80
                                        ; implicit-def: $vgpr80
	s_delay_alu instid0(VALU_DEP_1) | instskip(NEXT) | instid1(VALU_DEP_1)
	v_dual_add_nc_u32 v83, 6, v81 :: v_dual_add_nc_u32 v14, v13, v12
                                        ; implicit-def: $vgpr12_vgpr13
	v_cmpx_ne_u32_e32 0, v83
	s_xor_b32 s10, exec_lo, s10
; %bb.10275:                            ;   in Loop: Header=BB4_9837 Depth=2
	s_delay_alu instid0(VALU_DEP_2) | instskip(SKIP_1) | instid1(VALU_DEP_1)
	v_cmp_lt_u64_e32 vcc_lo, 0xffffff, v[14:15]
	v_add_nc_u32_e32 v12, 7, v81
	v_cndmask_b32_e32 v80, v83, v12, vcc_lo
	v_cndmask_b32_e64 v12, 0, 1, vcc_lo
	s_delay_alu instid0(VALU_DEP_1)
	v_lshrrev_b64 v[12:13], v12, v[14:15]
; %bb.10276:                            ;   in Loop: Header=BB4_9837 Depth=2
	s_and_not1_saveexec_b32 s10, s10
; %bb.10277:                            ;   in Loop: Header=BB4_9837 Depth=2
	v_mov_b64_e32 v[12:13], v[14:15]
	v_bfe_u32 v80, v14, 23, 1
; %bb.10278:                            ;   in Loop: Header=BB4_9837 Depth=2
	s_or_b32 exec_lo, exec_lo, s10
	s_delay_alu instid0(VALU_DEP_2) | instskip(NEXT) | instid1(VALU_DEP_2)
	v_lshrrev_b64 v[12:13], 20, v[12:13]
	v_cmp_gt_i32_e32 vcc_lo, 16, v80
	v_cmp_ne_u32_e64 s10, 0, v80
	s_delay_alu instid0(VALU_DEP_3) | instskip(NEXT) | instid1(VALU_DEP_1)
	v_dual_cndmask_b32 v13, 0, v13 :: v_dual_cndmask_b32 v12, 7, v12
	v_cmp_ne_u64_e32 vcc_lo, 0, v[12:13]
                                        ; implicit-def: $vgpr13
	s_or_b32 s10, s10, vcc_lo
	s_delay_alu instid0(SALU_CYCLE_1) | instskip(NEXT) | instid1(SALU_CYCLE_1)
	s_and_saveexec_b32 s27, s10
	s_xor_b32 s10, exec_lo, s27
; %bb.10279:                            ;   in Loop: Header=BB4_9837 Depth=2
	v_min_i32_e32 v13, 15, v80
	s_delay_alu instid0(VALU_DEP_1) | instskip(NEXT) | instid1(VALU_DEP_1)
	v_lshl_or_b32 v13, v13, 3, v82
                                        ; implicit-def: $vgpr82
	v_and_or_b32 v13, v12, 7, v13
; %bb.10280:                            ;   in Loop: Header=BB4_9837 Depth=2
	s_and_not1_saveexec_b32 s10, s10
; %bb.10281:                            ;   in Loop: Header=BB4_9837 Depth=2
	v_mov_b32_e32 v13, v82
; %bb.10282:                            ;   in Loop: Header=BB4_9837 Depth=2
	s_or_b32 exec_lo, exec_lo, s10
.LBB4_10283:                            ;   in Loop: Header=BB4_9837 Depth=2
	s_delay_alu instid0(SALU_CYCLE_1)
	s_or_b32 exec_lo, exec_lo, s26
                                        ; implicit-def: $vgpr82
.LBB4_10284:                            ;   in Loop: Header=BB4_9837 Depth=2
	s_and_not1_saveexec_b32 s10, s25
; %bb.10285:                            ;   in Loop: Header=BB4_9837 Depth=2
	v_or_b32_e32 v13, 0x7e, v82
; %bb.10286:                            ;   in Loop: Header=BB4_9837 Depth=2
	s_or_b32 exec_lo, exec_lo, s10
                                        ; implicit-def: $vgpr80
.LBB4_10287:                            ;   in Loop: Header=BB4_9837 Depth=2
	s_and_not1_saveexec_b32 s10, s11
	s_cbranch_execz .LBB4_9836
; %bb.10288:                            ;   in Loop: Header=BB4_9837 Depth=2
	v_or_b32_e32 v13, 0x7f, v80
	s_branch .LBB4_9836
.LBB4_10289:                            ;   in Loop: Header=BB4_7855 Depth=1
	s_or_b32 exec_lo, exec_lo, s24
.LBB4_10290:                            ;   in Loop: Header=BB4_7855 Depth=1
	s_delay_alu instid0(SALU_CYCLE_1) | instskip(SKIP_1) | instid1(VALU_DEP_1)
	s_or_b32 exec_lo, exec_lo, s23
	v_and_b32_e32 v3, 0xfffffe00, v85
	v_cmp_ne_u32_e32 vcc_lo, v85, v3
	s_and_b32 exec_lo, exec_lo, vcc_lo
	s_cbranch_execz .LBB4_10326
; %bb.10291:                            ;   in Loop: Header=BB4_7855 Depth=1
	v_lshlrev_b32_e32 v2, 5, v67
	s_delay_alu instid0(VALU_DEP_1) | instskip(NEXT) | instid1(VALU_DEP_1)
	v_dual_lshlrev_b32 v10, 5, v87 :: v_dual_sub_nc_u32 v2, v86, v2
	v_sub_nc_u32_e32 v12, v2, v10
	v_and_b32_e32 v2, 0x1ff, v85
	s_delay_alu instid0(VALU_DEP_1) | instskip(NEXT) | instid1(VALU_DEP_1)
	v_sub_nc_u32_e32 v2, v2, v12
	v_cmp_lt_i32_e32 vcc_lo, 0, v2
	s_and_b32 exec_lo, exec_lo, vcc_lo
	s_cbranch_execz .LBB4_10326
; %bb.10292:                            ;   in Loop: Header=BB4_7855 Depth=1
	s_trap 2
	ds_load_b64 v[10:11], v0
	v_add3_u32 v12, v3, v84, v12
	s_mov_b32 s23, 0
	s_delay_alu instid0(VALU_DEP_1)
	v_ashrrev_i32_e32 v13, 31, v12
	s_branch .LBB4_10294
.LBB4_10293:                            ;   in Loop: Header=BB4_10294 Depth=2
	s_or_b32 exec_lo, exec_lo, s10
	v_sub_nc_u32_e32 v2, v2, v50
	v_add_nc_u64_e32 v[12:13], v[12:13], v[50:51]
	flat_store_b8 v[68:69], v14 th:TH_STORE_NT
	v_cmp_gt_i32_e32 vcc_lo, 1, v2
	s_or_b32 s23, vcc_lo, s23
	s_wait_xcnt 0x0
	s_and_not1_b32 exec_lo, exec_lo, s23
	s_cbranch_execz .LBB4_10326
.LBB4_10294:                            ;   Parent Loop BB4_7855 Depth=1
                                        ; =>  This Inner Loop Header: Depth=2
	s_trap 2
	ds_load_b64 v[20:21], v0
	s_mov_b32 s24, 0
	s_wait_dscnt 0x0
	v_and_b32_e32 v3, 0xff, v20
	v_readfirstlane_b32 s10, v20
	v_readfirstlane_b32 s11, v21
	s_delay_alu instid0(VALU_DEP_3)
	v_cmp_eq_u32_e32 vcc_lo, 0, v3
	s_cbranch_vccnz .LBB4_10298
; %bb.10295:                            ;   in Loop: Header=BB4_10294 Depth=2
	v_cmp_eq_u32_e32 vcc_lo, 0x80, v3
	s_brev_b32 s24, 1
	s_cbranch_vccnz .LBB4_10298
; %bb.10296:                            ;   in Loop: Header=BB4_10294 Depth=2
	s_and_b32 s25, s10, 0x7f
	s_mov_b32 s24, 0x7f800001
	s_cmp_eq_u32 s25, 0x7f
	s_cbranch_scc1 .LBB4_10298
; %bb.10297:                            ;   in Loop: Header=BB4_10294 Depth=2
	s_and_b32 s24, s10, 7
	s_lshr_b32 s26, s25, 3
	s_clz_i32_u32 s24, s24
	s_delay_alu instid0(SALU_CYCLE_1) | instskip(NEXT) | instid1(SALU_CYCLE_1)
	s_min_u32 s24, s24, 32
	s_sub_co_i32 s27, s24, 28
	s_sub_co_i32 s24, 29, s24
	s_cmp_lt_u32 s25, 8
	s_cselect_b32 s25, s27, 0
	s_cselect_b32 s26, s24, s26
	s_lshl_b64 s[24:25], s[10:11], s25
	s_lshl_b32 s10, s10, 24
	s_lshl_b32 s11, s24, 20
	;; [unrolled: 1-line block ×3, first 2 shown]
	s_and_b32 s11, s11, 0x700000
	s_and_b32 s10, s10, 0x80000000
	s_add_co_i32 s24, s24, 0x3c000000
	s_or_b32 s10, s11, s10
	s_delay_alu instid0(SALU_CYCLE_1)
	s_or_b32 s24, s24, s10
.LBB4_10298:                            ;   in Loop: Header=BB4_10294 Depth=2
	v_add_nc_u64_e32 v[68:69], v[10:11], v[12:13]
	v_mov_b32_e32 v14, 0
	s_mov_b32 s10, exec_lo
	flat_load_u8 v3, v[68:69] th:TH_LOAD_NT
	s_wait_loadcnt_dscnt 0x0
	v_cmpx_ne_u16_e32 0, v3
	s_cbranch_execz .LBB4_10306
; %bb.10299:                            ;   in Loop: Header=BB4_10294 Depth=2
	v_bfrev_b32_e32 v14, 1
	s_mov_b32 s11, exec_lo
	v_cmpx_ne_u16_e32 0x80, v3
	s_cbranch_execz .LBB4_10305
; %bb.10300:                            ;   in Loop: Header=BB4_10294 Depth=2
	v_and_b32_e32 v67, 0xffff, v3
	v_mov_b32_e32 v14, 0x7f800001
	s_mov_b32 s25, exec_lo
	s_delay_alu instid0(VALU_DEP_2) | instskip(NEXT) | instid1(VALU_DEP_1)
	v_and_b32_e32 v70, 0x7f, v67
	v_cmpx_ne_u32_e32 0x7f, v70
	s_cbranch_execz .LBB4_10304
; %bb.10301:                            ;   in Loop: Header=BB4_10294 Depth=2
	v_dual_lshrrev_b32 v67, 3, v70 :: v_dual_bitop2_b32 v14, 7, v67 bitop3:0x40
	s_mov_b32 s26, exec_lo
	v_cmpx_gt_u32_e32 8, v70
; %bb.10302:                            ;   in Loop: Header=BB4_10294 Depth=2
	s_delay_alu instid0(VALU_DEP_2) | instskip(NEXT) | instid1(VALU_DEP_1)
	v_clz_i32_u32_e32 v20, v14
	v_min_u32_e32 v67, 32, v20
	s_delay_alu instid0(VALU_DEP_1) | instskip(NEXT) | instid1(VALU_DEP_1)
	v_subrev_nc_u32_e32 v20, 28, v67
	v_lshlrev_b64_e32 v[20:21], v20, v[14:15]
	s_delay_alu instid0(VALU_DEP_1)
	v_dual_sub_nc_u32 v67, 29, v67 :: v_dual_bitop2_b32 v14, 7, v20 bitop3:0x40
; %bb.10303:                            ;   in Loop: Header=BB4_10294 Depth=2
	s_or_b32 exec_lo, exec_lo, s26
	s_delay_alu instid0(VALU_DEP_1) | instskip(NEXT) | instid1(VALU_DEP_2)
	v_dual_lshlrev_b32 v3, 24, v3 :: v_dual_lshlrev_b32 v14, 20, v14
	v_lshl_add_u32 v20, v67, 23, 0x3c000000
	s_delay_alu instid0(VALU_DEP_2) | instskip(NEXT) | instid1(VALU_DEP_1)
	v_and_b32_e32 v3, 0x80000000, v3
	v_or3_b32 v14, v14, v3, v20
.LBB4_10304:                            ;   in Loop: Header=BB4_10294 Depth=2
	s_or_b32 exec_lo, exec_lo, s25
.LBB4_10305:                            ;   in Loop: Header=BB4_10294 Depth=2
	s_delay_alu instid0(SALU_CYCLE_1)
	s_or_b32 exec_lo, exec_lo, s11
.LBB4_10306:                            ;   in Loop: Header=BB4_10294 Depth=2
	s_delay_alu instid0(SALU_CYCLE_1) | instskip(NEXT) | instid1(VALU_DEP_1)
	s_or_b32 exec_lo, exec_lo, s10
	v_mul_f32_e32 v67, s24, v14
	s_delay_alu instid0(VALU_DEP_1) | instskip(SKIP_1) | instid1(VALU_DEP_2)
	v_and_b32_e32 v14, 0x7f800000, v67
	v_lshrrev_b32_e32 v3, 24, v67
	v_cmp_ne_u64_e32 vcc_lo, 0x7f800000, v[14:15]
                                        ; implicit-def: $vgpr14
	s_and_saveexec_b32 s10, vcc_lo
	s_delay_alu instid0(SALU_CYCLE_1)
	s_xor_b32 s11, exec_lo, s10
	s_cbranch_execz .LBB4_10324
; %bb.10307:                            ;   in Loop: Header=BB4_10294 Depth=2
	v_and_b32_e32 v14, 0x7fffffff, v67
	v_and_b32_e32 v3, 0x80, v3
	s_delay_alu instid0(VALU_DEP_2) | instskip(SKIP_1) | instid1(SALU_CYCLE_1)
	v_cmp_gt_u64_e32 vcc_lo, 0x43e00001, v[14:15]
                                        ; implicit-def: $vgpr14
	s_and_saveexec_b32 s10, vcc_lo
	s_xor_b32 s24, exec_lo, s10
	s_cbranch_execz .LBB4_10321
; %bb.10308:                            ;   in Loop: Header=BB4_10294 Depth=2
	v_mov_b32_e32 v14, 0
	s_mov_b32 s25, exec_lo
	v_cmpx_ne_u32_e32 0, v67
	s_cbranch_execz .LBB4_10320
; %bb.10309:                            ;   in Loop: Header=BB4_10294 Depth=2
	v_bfe_u32 v82, v67, 23, 8
	s_delay_alu instid0(VALU_DEP_1) | instskip(SKIP_1) | instid1(VALU_DEP_2)
	v_sub_nc_u32_e32 v14, 0x79, v82
	v_cmp_gt_u32_e32 vcc_lo, 0x7a, v82
	v_cndmask_b32_e32 v14, 0, v14, vcc_lo
	v_cmp_eq_u32_e32 vcc_lo, 0, v82
	s_delay_alu instid0(VALU_DEP_2) | instskip(SKIP_1) | instid1(VALU_DEP_2)
	v_cndmask_b32_e64 v83, v14, 0x78, vcc_lo
	v_and_b32_e32 v14, 0x7fffff, v67
	v_add_nc_u32_e32 v20, 20, v83
	s_delay_alu instid0(VALU_DEP_2) | instskip(SKIP_1) | instid1(VALU_DEP_3)
	v_or_b32_e32 v67, 0x800000, v14
	v_add_nc_u32_e32 v70, 19, v83
	v_lshlrev_b64_e64 v[20:21], v20, -1
	s_delay_alu instid0(VALU_DEP_3) | instskip(NEXT) | instid1(VALU_DEP_3)
	v_cndmask_b32_e32 v14, v67, v14, vcc_lo
	v_lshlrev_b64_e64 v[80:81], v70, 1
	s_delay_alu instid0(VALU_DEP_2) | instskip(NEXT) | instid1(VALU_DEP_4)
	v_lshrrev_b64 v[70:71], v83, v[14:15]
	v_bfi_b32 v21, v21, 0, 0
	v_bfi_b32 v20, v20, 0, v14
	s_delay_alu instid0(VALU_DEP_1) | instskip(NEXT) | instid1(VALU_DEP_4)
	v_cmp_eq_u64_e64 s10, v[20:21], v[80:81]
	v_mov_b64_e32 v[80:81], v[70:71]
	s_and_saveexec_b32 s26, s10
; %bb.10310:                            ;   in Loop: Header=BB4_10294 Depth=2
	v_bfe_u32 v14, v70, 20, 1
	s_delay_alu instid0(VALU_DEP_1) | instskip(NEXT) | instid1(VALU_DEP_1)
	v_add_nc_u64_e32 v[20:21], v[70:71], v[14:15]
	v_add_nc_u64_e32 v[80:81], -1, v[20:21]
; %bb.10311:                            ;   in Loop: Header=BB4_10294 Depth=2
	s_or_b32 exec_lo, exec_lo, s26
	v_add_nc_u32_e32 v14, 0xffffff81, v82
	v_lshrrev_b32_e32 v20, 23, v70
	s_mov_b32 s10, exec_lo
                                        ; implicit-def: $vgpr67
	s_delay_alu instid0(VALU_DEP_2) | instskip(NEXT) | instid1(VALU_DEP_1)
	v_cndmask_b32_e64 v14, v14, 0xffffff82, vcc_lo
	v_add3_u32 v81, v83, v14, v20
	v_and_b32_e32 v14, 0xfffff, v80
	s_delay_alu instid0(VALU_DEP_1) | instskip(NEXT) | instid1(VALU_DEP_1)
	v_dual_add_nc_u32 v80, 6, v81 :: v_dual_add_nc_u32 v14, v14, v70
                                        ; implicit-def: $vgpr70_vgpr71
	v_cmpx_ne_u32_e32 0, v80
	s_xor_b32 s10, exec_lo, s10
; %bb.10312:                            ;   in Loop: Header=BB4_10294 Depth=2
	s_delay_alu instid0(VALU_DEP_2) | instskip(SKIP_1) | instid1(VALU_DEP_1)
	v_cmp_lt_u64_e32 vcc_lo, 0xffffff, v[14:15]
	v_add_nc_u32_e32 v20, 7, v81
	v_cndmask_b32_e32 v67, v80, v20, vcc_lo
	v_cndmask_b32_e64 v20, 0, 1, vcc_lo
	s_delay_alu instid0(VALU_DEP_1)
	v_lshrrev_b64 v[70:71], v20, v[14:15]
; %bb.10313:                            ;   in Loop: Header=BB4_10294 Depth=2
	s_and_not1_saveexec_b32 s10, s10
; %bb.10314:                            ;   in Loop: Header=BB4_10294 Depth=2
	v_mov_b64_e32 v[70:71], v[14:15]
	v_bfe_u32 v67, v14, 23, 1
; %bb.10315:                            ;   in Loop: Header=BB4_10294 Depth=2
	s_or_b32 exec_lo, exec_lo, s10
	s_delay_alu instid0(VALU_DEP_2) | instskip(NEXT) | instid1(VALU_DEP_2)
	v_lshrrev_b64 v[20:21], 20, v[70:71]
	v_cmp_gt_i32_e32 vcc_lo, 16, v67
	v_cmp_ne_u32_e64 s10, 0, v67
                                        ; implicit-def: $vgpr14
	s_delay_alu instid0(VALU_DEP_3) | instskip(NEXT) | instid1(VALU_DEP_1)
	v_dual_cndmask_b32 v71, 0, v21 :: v_dual_cndmask_b32 v70, 7, v20
	v_cmp_ne_u64_e32 vcc_lo, 0, v[70:71]
	s_or_b32 s10, s10, vcc_lo
	s_delay_alu instid0(SALU_CYCLE_1) | instskip(NEXT) | instid1(SALU_CYCLE_1)
	s_and_saveexec_b32 s26, s10
	s_xor_b32 s10, exec_lo, s26
; %bb.10316:                            ;   in Loop: Header=BB4_10294 Depth=2
	v_min_i32_e32 v14, 15, v67
	s_delay_alu instid0(VALU_DEP_1) | instskip(NEXT) | instid1(VALU_DEP_1)
	v_lshl_or_b32 v3, v14, 3, v3
	v_and_or_b32 v14, v70, 7, v3
                                        ; implicit-def: $vgpr3
; %bb.10317:                            ;   in Loop: Header=BB4_10294 Depth=2
	s_and_not1_saveexec_b32 s10, s10
; %bb.10318:                            ;   in Loop: Header=BB4_10294 Depth=2
	v_mov_b32_e32 v14, v3
; %bb.10319:                            ;   in Loop: Header=BB4_10294 Depth=2
	s_or_b32 exec_lo, exec_lo, s10
.LBB4_10320:                            ;   in Loop: Header=BB4_10294 Depth=2
	s_delay_alu instid0(SALU_CYCLE_1)
	s_or_b32 exec_lo, exec_lo, s25
                                        ; implicit-def: $vgpr3
.LBB4_10321:                            ;   in Loop: Header=BB4_10294 Depth=2
	s_and_not1_saveexec_b32 s10, s24
; %bb.10322:                            ;   in Loop: Header=BB4_10294 Depth=2
	v_or_b32_e32 v14, 0x7e, v3
; %bb.10323:                            ;   in Loop: Header=BB4_10294 Depth=2
	s_or_b32 exec_lo, exec_lo, s10
                                        ; implicit-def: $vgpr3
.LBB4_10324:                            ;   in Loop: Header=BB4_10294 Depth=2
	s_and_not1_saveexec_b32 s10, s11
	s_cbranch_execz .LBB4_10293
; %bb.10325:                            ;   in Loop: Header=BB4_10294 Depth=2
	v_or_b32_e32 v14, 0x7f, v3
	s_branch .LBB4_10293
.LBB4_10326:                            ;   in Loop: Header=BB4_7855 Depth=1
	s_or_b32 exec_lo, exec_lo, s22
	v_cmp_ne_u32_e64 s10, 0, v65
	s_and_saveexec_b32 s11, s2
	s_cbranch_execz .LBB4_10345
.LBB4_10327:                            ;   in Loop: Header=BB4_7855 Depth=1
	s_and_saveexec_b32 s22, s3
	s_delay_alu instid0(SALU_CYCLE_1)
	s_xor_b32 s22, exec_lo, s22
	s_cbranch_execz .LBB4_10342
; %bb.10328:                            ;   in Loop: Header=BB4_7855 Depth=1
	s_and_saveexec_b32 s23, s4
	s_cbranch_execz .LBB4_10341
; %bb.10329:                            ;   in Loop: Header=BB4_7855 Depth=1
	s_mov_b32 s25, exec_lo
	s_mov_b32 s24, exec_lo
	v_mbcnt_lo_u32_b32 v2, s25, 0
	global_wb scope:SCOPE_DEV
	s_wait_storecnt 0x0
	s_wait_loadcnt_dscnt 0x0
	global_inv scope:SCOPE_DEV
	v_cmpx_eq_u32_e32 0, v2
	s_cbranch_execz .LBB4_10331
; %bb.10330:                            ;   in Loop: Header=BB4_7855 Depth=1
	s_bcnt1_i32_b32 s25, s25
	s_delay_alu instid0(SALU_CYCLE_1)
	v_mov_b32_e32 v14, s25
	s_wait_loadcnt 0x0
	ds_add_u64 v0, v[14:15]
	s_trap 2
.LBB4_10331:                            ;   in Loop: Header=BB4_7855 Depth=1
	s_or_b32 exec_lo, exec_lo, s24
	s_trap 2
	ds_load_b64 v[2:3], v0
	s_wait_dscnt 0x0
	v_add_nc_u64_e32 v[28:29], v[28:29], v[16:17]
	s_mov_b32 s24, exec_lo
	s_delay_alu instid0(VALU_DEP_1)
	v_cmpx_lt_u64_e64 v[2:3], v[28:29]
	s_cbranch_execz .LBB4_10340
; %bb.10332:                            ;   in Loop: Header=BB4_7855 Depth=1
	s_mov_b32 s25, 0
	s_mov_b32 s28, 0
                                        ; implicit-def: $sgpr26
                                        ; implicit-def: $sgpr27
	s_branch .LBB4_10334
.LBB4_10333:                            ;   in Loop: Header=BB4_10334 Depth=2
	s_or_b32 exec_lo, exec_lo, s40
	s_delay_alu instid0(SALU_CYCLE_1) | instskip(NEXT) | instid1(SALU_CYCLE_1)
	s_and_b32 s29, exec_lo, s41
	s_or_b32 s25, s29, s25
	s_and_not1_b32 s26, s26, exec_lo
	s_and_b32 s29, s27, exec_lo
	s_delay_alu instid0(SALU_CYCLE_1)
	s_or_b32 s26, s26, s29
	s_and_not1_b32 exec_lo, exec_lo, s25
	s_cbranch_execz .LBB4_10338
.LBB4_10334:                            ;   Parent Loop BB4_7855 Depth=1
                                        ; =>  This Inner Loop Header: Depth=2
	s_add_co_i32 s28, s28, 1
	s_delay_alu instid0(SALU_CYCLE_1) | instskip(SKIP_1) | instid1(SALU_CYCLE_1)
	s_cmp_lg_u32 s28, 0x2710
	s_cselect_b32 s29, -1, 0
	s_and_b32 vcc_lo, exec_lo, s29
	s_cbranch_vccz .LBB4_10336
; %bb.10335:                            ;   in Loop: Header=BB4_10334 Depth=2
	s_mov_b32 s41, -1
	s_or_b32 s27, s27, exec_lo
	s_and_saveexec_b32 s40, s29
	s_cbranch_execz .LBB4_10333
	s_branch .LBB4_10337
.LBB4_10336:                            ;   in Loop: Header=BB4_10334 Depth=2
	s_trap 2
	ds_load_b64 v[2:3], v0
	s_and_not1_b32 s29, s29, exec_lo
	s_mov_b32 s28, 0
	s_wait_loadcnt_dscnt 0x0
	flat_load_b32 v2, v[2:3] scope:SCOPE_SYS
	s_wait_loadcnt_dscnt 0x0
	global_inv scope:SCOPE_SYS
	v_cmp_eq_u32_e32 vcc_lo, 0, v2
	s_and_b32 s40, vcc_lo, exec_lo
	s_delay_alu instid0(SALU_CYCLE_1)
	s_or_b32 s29, s29, s40
	s_mov_b32 s41, -1
	s_or_b32 s27, s27, exec_lo
	s_and_saveexec_b32 s40, s29
	s_cbranch_execz .LBB4_10333
.LBB4_10337:                            ;   in Loop: Header=BB4_10334 Depth=2
	s_sleep 1
	s_trap 2
	ds_load_b64 v[2:3], v0
	s_wait_dscnt 0x0
	s_and_not1_b32 s27, s27, exec_lo
	v_cmp_ge_u64_e32 vcc_lo, v[2:3], v[28:29]
	s_or_not1_b32 s41, vcc_lo, exec_lo
	s_branch .LBB4_10333
.LBB4_10338:                            ;   in Loop: Header=BB4_7855 Depth=1
	s_or_b32 exec_lo, exec_lo, s25
	s_and_saveexec_b32 s25, s26
	s_delay_alu instid0(SALU_CYCLE_1)
	s_xor_b32 s25, exec_lo, s25
	s_cbranch_execz .LBB4_10340
; %bb.10339:                            ;   in Loop: Header=BB4_7855 Depth=1
	ds_store_b32 v0, v99
	s_trap 2
.LBB4_10340:                            ;   in Loop: Header=BB4_7855 Depth=1
	s_or_b32 exec_lo, exec_lo, s24
	;;#ASMSTART
	s_wakeup
	;;#ASMEND
.LBB4_10341:                            ;   in Loop: Header=BB4_7855 Depth=1
	s_or_b32 exec_lo, exec_lo, s23
.LBB4_10342:                            ;   in Loop: Header=BB4_7855 Depth=1
	s_and_not1_saveexec_b32 s22, s22
	s_cbranch_execz .LBB4_10344
; %bb.10343:                            ;   in Loop: Header=BB4_7855 Depth=1
	global_wb scope:SCOPE_DEV
	s_wait_storecnt 0x0
	s_wait_loadcnt_dscnt 0x0
	global_inv scope:SCOPE_DEV
	s_barrier_signal -1
	s_barrier_wait -1
.LBB4_10344:                            ;   in Loop: Header=BB4_7855 Depth=1
	s_or_b32 exec_lo, exec_lo, s22
.LBB4_10345:                            ;   in Loop: Header=BB4_7855 Depth=1
	s_delay_alu instid0(SALU_CYCLE_1) | instskip(SKIP_1) | instid1(VALU_DEP_1)
	s_or_b32 exec_lo, exec_lo, s11
	v_and_b32_e32 v2, 16, v112
	v_cmp_ne_u32_e32 vcc_lo, 0, v2
	s_and_b32 s11, vcc_lo, s10
	s_delay_alu instid0(SALU_CYCLE_1)
	s_and_saveexec_b32 s10, s11
	s_cbranch_execz .LBB4_10347
; %bb.10346:                            ;   in Loop: Header=BB4_7855 Depth=1
	global_wb scope:SCOPE_SYS
	s_wait_storecnt 0x0
	s_wait_loadcnt_dscnt 0x0
	global_inv scope:SCOPE_SYS
.LBB4_10347:                            ;   in Loop: Header=BB4_7855 Depth=1
	s_or_b32 exec_lo, exec_lo, s10
	s_delay_alu instid0(SALU_CYCLE_1)
	s_mov_b32 s10, exec_lo
	v_cmpx_ne_u32_e32 0, v2
	s_cbranch_execz .LBB4_10351
; %bb.10348:                            ;   in Loop: Header=BB4_7855 Depth=1
	s_and_saveexec_b32 s11, s7
	s_cbranch_execz .LBB4_10350
; %bb.10349:                            ;   in Loop: Header=BB4_7855 Depth=1
	global_wb scope:SCOPE_SYS
	s_wait_storecnt 0x0
	s_wait_loadcnt_dscnt 0x0
	flat_store_b32 v[36:37], v99 scope:SCOPE_SYS
.LBB4_10350:                            ;   in Loop: Header=BB4_7855 Depth=1
	s_wait_xcnt 0x0
	s_or_b32 exec_lo, exec_lo, s11
	v_add_nc_u64_e32 v[8:9], 1, v[8:9]
	global_wb scope:SCOPE_SYS
	s_wait_storecnt 0x0
	s_wait_loadcnt_dscnt 0x0
	flat_store_b64 v[22:23], v[8:9] scope:SCOPE_SYS
.LBB4_10351:                            ;   in Loop: Header=BB4_7855 Depth=1
	s_wait_xcnt 0x0
	s_or_b32 exec_lo, exec_lo, s10
	v_mov_b32_e32 v2, v66
.LBB4_10352:                            ;   in Loop: Header=BB4_7855 Depth=1
	s_or_b32 exec_lo, exec_lo, s21
	s_and_saveexec_b32 s11, s20
	s_cbranch_execz .LBB4_7854
; %bb.10353:                            ;   in Loop: Header=BB4_7855 Depth=1
	s_delay_alu instid0(VALU_DEP_1) | instskip(SKIP_1) | instid1(VALU_DEP_1)
	v_dual_sub_nc_u32 v2, v64, v2 :: v_dual_bitop2_b32 v3, 8, v112 bitop3:0x40
	s_mov_b32 s20, exec_lo
	v_min_i32_e32 v10, v66, v2
	s_delay_alu instid0(VALU_DEP_2)
	v_cmpx_ne_u32_e32 0, v3
	s_cbranch_execz .LBB4_10375
; %bb.10354:                            ;   in Loop: Header=BB4_7855 Depth=1
	s_wait_loadcnt 0x0
	v_add_nc_u64_e32 v[2:3], 8, v[32:33]
	v_add_nc_u64_e32 v[12:13], 1, v[8:9]
	s_mov_b32 s21, exec_lo
	s_delay_alu instid0(VALU_DEP_1)
	v_cmpx_lt_u64_e64 v[2:3], v[12:13]
	s_cbranch_execz .LBB4_10366
; %bb.10355:                            ;   in Loop: Header=BB4_7855 Depth=1
	v_and_b32_e32 v2, 64, v112
	s_mov_b32 s22, 0
	s_mov_b32 s26, 0
                                        ; implicit-def: $sgpr23
                                        ; implicit-def: $sgpr24
                                        ; implicit-def: $sgpr25
	s_delay_alu instid0(VALU_DEP_1)
	v_cmp_eq_u32_e32 vcc_lo, 0, v2
	s_branch .LBB4_10358
.LBB4_10356:                            ;   in Loop: Header=BB4_10358 Depth=2
	s_or_b32 exec_lo, exec_lo, s41
	s_delay_alu instid0(SALU_CYCLE_1)
	s_and_not1_b32 s10, s25, exec_lo
	s_and_b32 s25, s29, exec_lo
	s_and_not1_b32 s24, s24, exec_lo
	s_and_b32 s28, s28, exec_lo
	s_or_b32 s25, s10, s25
	s_or_b32 s24, s24, s28
.LBB4_10357:                            ;   in Loop: Header=BB4_10358 Depth=2
	s_or_b32 exec_lo, exec_lo, s27
	s_delay_alu instid0(SALU_CYCLE_1) | instskip(NEXT) | instid1(SALU_CYCLE_1)
	s_and_b32 s10, exec_lo, s24
	s_or_b32 s22, s10, s22
	s_and_not1_b32 s10, s23, exec_lo
	s_and_b32 s23, s25, exec_lo
	s_delay_alu instid0(SALU_CYCLE_1)
	s_or_b32 s23, s10, s23
	s_and_not1_b32 exec_lo, exec_lo, s22
	s_cbranch_execz .LBB4_10363
.LBB4_10358:                            ;   Parent Loop BB4_7855 Depth=1
                                        ; =>  This Inner Loop Header: Depth=2
	s_sleep 1
	s_wait_loadcnt_dscnt 0x0
	flat_load_b64 v[32:33], v[22:23] scope:SCOPE_SYS
	s_or_b32 s25, s25, exec_lo
	s_or_b32 s24, s24, exec_lo
                                        ; implicit-def: $vgpr2
	s_wait_xcnt 0x0
	s_and_saveexec_b32 s27, vcc_lo
	s_cbranch_execz .LBB4_10357
; %bb.10359:                            ;   in Loop: Header=BB4_10358 Depth=2
	s_cmp_lt_i32 s26, 0x270f
	s_mov_b32 s28, -1
	s_cselect_b32 s40, -1, 0
	s_cmp_gt_i32 s26, 0x270e
	s_cbranch_scc0 .LBB4_10361
; %bb.10360:                            ;   in Loop: Header=BB4_10358 Depth=2
	s_trap 2
	ds_load_b64 v[2:3], v0
	s_and_not1_b32 s26, s40, exec_lo
	s_mov_b32 s29, 0
	s_wait_storecnt 0x0
	s_wait_loadcnt_dscnt 0x0
	flat_load_b32 v2, v[2:3] scope:SCOPE_SYS
	s_wait_loadcnt_dscnt 0x0
	global_inv scope:SCOPE_SYS
	v_cmp_eq_u32_e64 s10, 0, v2
	s_and_b32 s10, s10, exec_lo
	s_delay_alu instid0(SALU_CYCLE_1)
	s_or_b32 s40, s26, s10
	s_mov_b32 s26, 0
	s_and_saveexec_b32 s41, s40
	s_cbranch_execz .LBB4_10356
	s_branch .LBB4_10362
.LBB4_10361:                            ;   in Loop: Header=BB4_10358 Depth=2
	s_add_co_i32 s26, s26, 1
	s_mov_b32 s29, -1
                                        ; implicit-def: $vgpr2
	s_and_saveexec_b32 s41, s40
	s_cbranch_execz .LBB4_10356
.LBB4_10362:                            ;   in Loop: Header=BB4_10358 Depth=2
	s_wait_loadcnt_dscnt 0x0
	v_add_nc_u64_e32 v[20:21], 8, v[32:33]
	s_or_b32 s29, s29, exec_lo
	s_delay_alu instid0(VALU_DEP_1)
	v_cmp_ge_u64_e64 s10, v[20:21], v[12:13]
	s_or_not1_b32 s28, s10, exec_lo
	s_branch .LBB4_10356
.LBB4_10363:                            ;   in Loop: Header=BB4_7855 Depth=1
	s_or_b32 exec_lo, exec_lo, s22
	s_xor_b32 s10, s23, -1
	s_delay_alu instid0(SALU_CYCLE_1) | instskip(NEXT) | instid1(SALU_CYCLE_1)
	s_and_saveexec_b32 s22, s10
	s_xor_b32 s10, exec_lo, s22
	s_cbranch_execz .LBB4_10365
; %bb.10364:                            ;   in Loop: Header=BB4_7855 Depth=1
	v_or_b32_e32 v112, 64, v112
	s_wait_storecnt 0x0
	s_wait_loadcnt_dscnt 0x0
	ds_store_b32 v0, v2
	s_trap 2
.LBB4_10365:                            ;   in Loop: Header=BB4_7855 Depth=1
	s_or_b32 exec_lo, exec_lo, s10
.LBB4_10366:                            ;   in Loop: Header=BB4_7855 Depth=1
	s_delay_alu instid0(SALU_CYCLE_1)
	s_or_b32 exec_lo, exec_lo, s21
	v_and_b32_e32 v2, 0x100, v112
	v_and_b32_e32 v14, 7, v8
	s_mov_b32 s10, -1
	s_mov_b32 s21, exec_lo
	;;#ASMSTART
	s_wakeup
	;;#ASMEND
                                        ; implicit-def: $vgpr8_vgpr9
	v_cmpx_ne_u32_e32 0, v2
	s_cbranch_execz .LBB4_10370
; %bb.10367:                            ;   in Loop: Header=BB4_7855 Depth=1
	v_mad_nc_u64_u32 v[64:65], v14, 24, v[6:7]
	v_ashrrev_i32_e32 v11, 31, v10
	s_mov_b32 s22, exec_lo
                                        ; implicit-def: $vgpr8_vgpr9
	s_clause 0x1
	flat_load_b32 v2, v[64:65]
	flat_store_b64 v[64:65], v[10:11] offset:8
	s_wait_loadcnt_dscnt 0x1
	v_cmp_ne_u32_e32 vcc_lo, 1, v2
	s_wait_xcnt 0x0
	v_cmpx_eq_u32_e32 1, v2
	s_cbranch_execz .LBB4_10369
; %bb.10368:                            ;   in Loop: Header=BB4_7855 Depth=1
	flat_load_b32 v8, v[64:65] offset:4 scope:SCOPE_SYS
	s_wait_loadcnt_dscnt 0x0
	v_ashrrev_i32_e32 v9, 31, v8
.LBB4_10369:                            ;   in Loop: Header=BB4_7855 Depth=1
	s_wait_xcnt 0x0
	s_or_b32 exec_lo, exec_lo, s22
	s_delay_alu instid0(SALU_CYCLE_1)
	s_or_not1_b32 s10, vcc_lo, exec_lo
.LBB4_10370:                            ;   in Loop: Header=BB4_7855 Depth=1
	s_or_b32 exec_lo, exec_lo, s21
	s_and_saveexec_b32 s21, s10
; %bb.10371:                            ;   in Loop: Header=BB4_7855 Depth=1
	v_mul_u64_e32 v[8:9], v[14:15], v[24:25]
; %bb.10372:                            ;   in Loop: Header=BB4_7855 Depth=1
	s_or_b32 exec_lo, exec_lo, s21
	s_delay_alu instid0(VALU_DEP_1)
	v_add_nc_u64_e32 v[2:3], v[26:27], v[8:9]
	v_and_b32_e32 v11, 0x2000, v112
	s_mov_b32 s10, exec_lo
	ds_store_b64 v0, v[2:3] offset:784
	v_cmpx_ne_u32_e32 0, v11
	s_cbranch_execz .LBB4_10374
; %bb.10373:                            ;   in Loop: Header=BB4_7855 Depth=1
	ds_load_b64 v[2:3], v0 offset:872
	s_wait_dscnt 0x0
	v_add_nc_u64_e32 v[2:3], 1, v[2:3]
	ds_store_b64 v0, v[2:3] offset:872
.LBB4_10374:                            ;   in Loop: Header=BB4_7855 Depth=1
	s_or_b32 exec_lo, exec_lo, s10
	v_mov_b64_e32 v[8:9], v[12:13]
.LBB4_10375:                            ;   in Loop: Header=BB4_7855 Depth=1
	s_or_b32 exec_lo, exec_lo, s20
	s_and_saveexec_b32 s10, s2
	s_cbranch_execz .LBB4_10394
; %bb.10376:                            ;   in Loop: Header=BB4_7855 Depth=1
	s_and_saveexec_b32 s20, s3
	s_delay_alu instid0(SALU_CYCLE_1)
	s_xor_b32 s20, exec_lo, s20
	s_cbranch_execz .LBB4_10391
; %bb.10377:                            ;   in Loop: Header=BB4_7855 Depth=1
	s_and_saveexec_b32 s21, s4
	s_cbranch_execz .LBB4_10390
; %bb.10378:                            ;   in Loop: Header=BB4_7855 Depth=1
	s_mov_b32 s23, exec_lo
	s_mov_b32 s22, exec_lo
	v_mbcnt_lo_u32_b32 v2, s23, 0
	global_wb scope:SCOPE_DEV
	s_wait_storecnt 0x0
	s_wait_loadcnt_dscnt 0x0
	global_inv scope:SCOPE_DEV
	v_cmpx_eq_u32_e32 0, v2
	s_cbranch_execz .LBB4_10380
; %bb.10379:                            ;   in Loop: Header=BB4_7855 Depth=1
	s_bcnt1_i32_b32 s23, s23
	s_delay_alu instid0(SALU_CYCLE_1)
	v_mov_b32_e32 v14, s23
	s_wait_loadcnt 0x0
	ds_add_u64 v0, v[14:15]
	s_trap 2
.LBB4_10380:                            ;   in Loop: Header=BB4_7855 Depth=1
	s_or_b32 exec_lo, exec_lo, s22
	s_trap 2
	ds_load_b64 v[2:3], v0
	s_wait_dscnt 0x0
	v_add_nc_u64_e32 v[28:29], v[28:29], v[16:17]
	s_mov_b32 s22, exec_lo
	s_delay_alu instid0(VALU_DEP_1)
	v_cmpx_lt_u64_e64 v[2:3], v[28:29]
	s_cbranch_execz .LBB4_10389
; %bb.10381:                            ;   in Loop: Header=BB4_7855 Depth=1
	s_mov_b32 s23, 0
	s_mov_b32 s26, 0
                                        ; implicit-def: $sgpr24
                                        ; implicit-def: $sgpr25
	s_branch .LBB4_10383
.LBB4_10382:                            ;   in Loop: Header=BB4_10383 Depth=2
	s_or_b32 exec_lo, exec_lo, s28
	s_delay_alu instid0(SALU_CYCLE_1) | instskip(NEXT) | instid1(SALU_CYCLE_1)
	s_and_b32 s27, exec_lo, s29
	s_or_b32 s23, s27, s23
	s_and_not1_b32 s24, s24, exec_lo
	s_and_b32 s27, s25, exec_lo
	s_delay_alu instid0(SALU_CYCLE_1)
	s_or_b32 s24, s24, s27
	s_and_not1_b32 exec_lo, exec_lo, s23
	s_cbranch_execz .LBB4_10387
.LBB4_10383:                            ;   Parent Loop BB4_7855 Depth=1
                                        ; =>  This Inner Loop Header: Depth=2
	s_add_co_i32 s26, s26, 1
	s_delay_alu instid0(SALU_CYCLE_1) | instskip(SKIP_1) | instid1(SALU_CYCLE_1)
	s_cmp_lg_u32 s26, 0x2710
	s_cselect_b32 s27, -1, 0
	s_and_b32 vcc_lo, exec_lo, s27
	s_cbranch_vccz .LBB4_10385
; %bb.10384:                            ;   in Loop: Header=BB4_10383 Depth=2
	s_mov_b32 s29, -1
	s_or_b32 s25, s25, exec_lo
	s_and_saveexec_b32 s28, s27
	s_cbranch_execz .LBB4_10382
	s_branch .LBB4_10386
.LBB4_10385:                            ;   in Loop: Header=BB4_10383 Depth=2
	s_trap 2
	ds_load_b64 v[2:3], v0
	s_and_not1_b32 s27, s27, exec_lo
	s_mov_b32 s26, 0
	s_wait_loadcnt_dscnt 0x0
	flat_load_b32 v2, v[2:3] scope:SCOPE_SYS
	s_wait_loadcnt_dscnt 0x0
	global_inv scope:SCOPE_SYS
	v_cmp_eq_u32_e32 vcc_lo, 0, v2
	s_and_b32 s28, vcc_lo, exec_lo
	s_delay_alu instid0(SALU_CYCLE_1)
	s_or_b32 s27, s27, s28
	s_mov_b32 s29, -1
	s_or_b32 s25, s25, exec_lo
	s_and_saveexec_b32 s28, s27
	s_cbranch_execz .LBB4_10382
.LBB4_10386:                            ;   in Loop: Header=BB4_10383 Depth=2
	s_sleep 1
	s_trap 2
	ds_load_b64 v[2:3], v0
	s_wait_dscnt 0x0
	s_and_not1_b32 s25, s25, exec_lo
	v_cmp_ge_u64_e32 vcc_lo, v[2:3], v[28:29]
	s_or_not1_b32 s29, vcc_lo, exec_lo
	s_branch .LBB4_10382
.LBB4_10387:                            ;   in Loop: Header=BB4_7855 Depth=1
	s_or_b32 exec_lo, exec_lo, s23
	s_and_saveexec_b32 s23, s24
	s_delay_alu instid0(SALU_CYCLE_1)
	s_xor_b32 s23, exec_lo, s23
	s_cbranch_execz .LBB4_10389
; %bb.10388:                            ;   in Loop: Header=BB4_7855 Depth=1
	ds_store_b32 v0, v99
	s_trap 2
.LBB4_10389:                            ;   in Loop: Header=BB4_7855 Depth=1
	s_or_b32 exec_lo, exec_lo, s22
	;;#ASMSTART
	s_wakeup
	;;#ASMEND
.LBB4_10390:                            ;   in Loop: Header=BB4_7855 Depth=1
	s_or_b32 exec_lo, exec_lo, s21
.LBB4_10391:                            ;   in Loop: Header=BB4_7855 Depth=1
	s_and_not1_saveexec_b32 s20, s20
	s_cbranch_execz .LBB4_10393
; %bb.10392:                            ;   in Loop: Header=BB4_7855 Depth=1
	global_wb scope:SCOPE_DEV
	s_wait_storecnt 0x0
	s_wait_loadcnt_dscnt 0x0
	global_inv scope:SCOPE_DEV
	s_barrier_signal -1
	s_barrier_wait -1
.LBB4_10393:                            ;   in Loop: Header=BB4_7855 Depth=1
	s_or_b32 exec_lo, exec_lo, s20
.LBB4_10394:                            ;   in Loop: Header=BB4_7855 Depth=1
	s_delay_alu instid0(SALU_CYCLE_1)
	s_or_b32 exec_lo, exec_lo, s10
	s_trap 2
	ds_load_b32 v2, v0
	v_cmp_lt_i32_e32 vcc_lo, 0, v10
	s_wait_dscnt 0x0
	v_readfirstlane_b32 s10, v2
	v_and_b32_e32 v2, 16, v112
	s_cmp_eq_u32 s10, 0
	s_delay_alu instid0(VALU_DEP_1) | instskip(SKIP_1) | instid1(SALU_CYCLE_1)
	v_cmp_ne_u32_e64 s10, 0, v2
	s_cselect_b32 s20, -1, 0
	s_and_b32 s20, vcc_lo, s20
	s_delay_alu instid0(SALU_CYCLE_1) | instskip(NEXT) | instid1(SALU_CYCLE_1)
	s_and_b32 s20, s10, s20
	s_and_saveexec_b32 s10, s20
	s_cbranch_execz .LBB4_10396
; %bb.10395:                            ;   in Loop: Header=BB4_7855 Depth=1
	global_wb scope:SCOPE_SYS
	s_wait_loadcnt 0x0
	s_wait_storecnt 0x0
	global_inv scope:SCOPE_SYS
.LBB4_10396:                            ;   in Loop: Header=BB4_7855 Depth=1
	s_or_b32 exec_lo, exec_lo, s10
	s_delay_alu instid0(SALU_CYCLE_1)
	s_mov_b32 s10, exec_lo
	v_cmpx_ne_u32_e32 0, v2
	s_cbranch_execz .LBB4_7853
; %bb.10397:                            ;   in Loop: Header=BB4_7855 Depth=1
	s_and_saveexec_b32 s20, s7
	s_cbranch_execz .LBB4_7852
; %bb.10398:                            ;   in Loop: Header=BB4_7855 Depth=1
	global_wb scope:SCOPE_SYS
	s_wait_loadcnt 0x0
	s_wait_storecnt 0x0
	flat_store_b32 v[36:37], v99 scope:SCOPE_SYS
	s_branch .LBB4_7852
.LBB4_10399:
	s_or_b32 exec_lo, exec_lo, s16
	s_clause 0x1
	scratch_load_b64 v[94:95], off, s33 offset:196
	scratch_load_b32 v10, off, s33 offset:204
.LBB4_10400:
	s_wait_xcnt 0x0
	s_or_b32 exec_lo, exec_lo, s15
.LBB4_10401:
	s_delay_alu instid0(SALU_CYCLE_1) | instskip(SKIP_2) | instid1(VALU_DEP_1)
	s_or_b32 exec_lo, exec_lo, s14
	v_and_b32_e32 v0, 0x800, v112
	s_mov_b32 s1, exec_lo
	v_cmpx_eq_u32_e32 0, v0
	s_cbranch_execz .LBB4_10434
; %bb.10402:
	v_and_b32_e32 v0, 48, v112
	s_mov_b32 s0, exec_lo
	s_delay_alu instid0(VALU_DEP_1)
	v_cmpx_ne_u32_e32 0, v0
	s_cbranch_execz .LBB4_10404
; %bb.10403:
	s_wait_loadcnt 0x1
	flat_store_b64 v[94:95], v[8:9] offset:104
.LBB4_10404:
	s_wait_xcnt 0x0
	s_or_b32 exec_lo, exec_lo, s0
	v_and_b32_e32 v0, 0x88, v112
	s_mov_b32 s2, exec_lo
	s_delay_alu instid0(VALU_DEP_1)
	v_cmpx_eq_u32_e32 0x88, v0
	s_cbranch_execz .LBB4_10414
; %bb.10405:
	v_add_nc_u32_e32 v0, -1, v8
	s_mov_b32 s3, 0
	s_delay_alu instid0(VALU_DEP_1) | instskip(NEXT) | instid1(VALU_DEP_1)
	v_and_b32_e32 v0, 7, v0
	v_mad_nc_u64_u32 v[4:5], v0, 24, v[6:7]
	v_and_b32_e32 v0, 64, v112
	s_delay_alu instid0(VALU_DEP_1)
	v_cmp_eq_u32_e64 s0, 0, v0
	flat_load_b64 v[2:3], v[4:5] offset:8 scope:SCOPE_SYS
	s_wait_loadcnt_dscnt 0x0
	v_cmp_ne_u64_e32 vcc_lo, -1, v[2:3]
	s_and_b32 s0, vcc_lo, s0
	s_wait_xcnt 0x0
	s_and_b32 exec_lo, exec_lo, s0
	s_cbranch_execz .LBB4_10414
; %bb.10406:
	s_mov_b32 s5, 0
                                        ; implicit-def: $sgpr0
                                        ; implicit-def: $sgpr4
	s_branch .LBB4_10408
.LBB4_10407:                            ;   in Loop: Header=BB4_10408 Depth=1
	s_wait_xcnt 0x0
	s_or_b32 exec_lo, exec_lo, s10
	s_delay_alu instid0(SALU_CYCLE_1) | instskip(NEXT) | instid1(SALU_CYCLE_1)
	s_and_b32 s6, exec_lo, s7
	s_or_b32 s3, s6, s3
	s_and_not1_b32 s0, s0, exec_lo
	s_and_b32 s6, s4, exec_lo
	s_delay_alu instid0(SALU_CYCLE_1)
	s_or_b32 s0, s0, s6
	s_and_not1_b32 exec_lo, exec_lo, s3
	s_cbranch_execz .LBB4_10412
.LBB4_10408:                            ; =>This Inner Loop Header: Depth=1
	s_cmp_lt_i32 s5, 0x270f
	s_cselect_b32 s6, -1, 0
	s_delay_alu instid0(SALU_CYCLE_1)
	s_and_b32 vcc_lo, exec_lo, s6
	s_cbranch_vccnz .LBB4_10410
; %bb.10409:                            ;   in Loop: Header=BB4_10408 Depth=1
	s_trap 2
	ds_load_b64 v[2:3], v0
	s_and_not1_b32 s6, s6, exec_lo
	s_mov_b32 s5, 0
	s_wait_storecnt_dscnt 0x0
	flat_load_b32 v0, v[2:3] scope:SCOPE_SYS
	s_wait_loadcnt_dscnt 0x0
	global_inv scope:SCOPE_SYS
	v_cmp_eq_u32_e32 vcc_lo, 0, v0
	s_and_b32 s7, vcc_lo, exec_lo
	s_delay_alu instid0(SALU_CYCLE_1)
	s_or_b32 s6, s6, s7
	s_mov_b32 s7, -1
	s_or_b32 s4, s4, exec_lo
	s_wait_xcnt 0x0
	s_and_saveexec_b32 s10, s6
	s_cbranch_execz .LBB4_10407
	s_branch .LBB4_10411
.LBB4_10410:                            ;   in Loop: Header=BB4_10408 Depth=1
	s_add_co_i32 s5, s5, 1
                                        ; implicit-def: $vgpr0
	s_mov_b32 s7, -1
	s_or_b32 s4, s4, exec_lo
	s_and_saveexec_b32 s10, s6
	s_cbranch_execz .LBB4_10407
.LBB4_10411:                            ;   in Loop: Header=BB4_10408 Depth=1
	flat_load_b64 v[2:3], v[4:5] offset:8 scope:SCOPE_SYS
	s_wait_loadcnt 0x0
	s_and_not1_b32 s4, s4, exec_lo
	s_wait_dscnt 0x0
	v_cmp_eq_u64_e32 vcc_lo, -1, v[2:3]
	s_or_not1_b32 s7, vcc_lo, exec_lo
	s_branch .LBB4_10407
.LBB4_10412:
	s_or_b32 exec_lo, exec_lo, s3
	s_and_saveexec_b32 s3, s0
	s_delay_alu instid0(SALU_CYCLE_1)
	s_xor_b32 s3, exec_lo, s3
	s_cbranch_execz .LBB4_10414
; %bb.10413:
	s_wait_loadcnt 0x0
	s_wait_storecnt 0x0
	ds_store_b32 v0, v0
	s_trap 2
.LBB4_10414:
	s_or_b32 exec_lo, exec_lo, s2
	v_and_b32_e32 v0, 0x2000, v112
	s_mov_b32 s0, exec_lo
	s_delay_alu instid0(VALU_DEP_1)
	v_cmpx_ne_u32_e32 0, v0
	s_cbranch_execz .LBB4_10416
; %bb.10415:
	s_trap 2
	scratch_load_b64 v[4:5], off, s33 offset:188 th:TH_LOAD_LU ; 8-byte Folded Reload
	ds_load_b64 v[2:3], v0
	s_wait_loadcnt_dscnt 0x0
	flat_store_b64 v[4:5], v[2:3] offset:16
.LBB4_10416:
	s_wait_xcnt 0x0
	s_or_b32 exec_lo, exec_lo, s0
	v_cmp_ne_u32_e32 vcc_lo, 32, v1
	s_and_b32 exec_lo, exec_lo, vcc_lo
	s_cbranch_execz .LBB4_10434
; %bb.10417:
	s_mov_b32 s0, exec_lo
	s_wait_loadcnt 0x0
	v_cmpx_ne_u32_e64 v1, v10
	s_xor_b32 s0, exec_lo, s0
	s_cbranch_execz .LBB4_10432
; %bb.10418:
	v_and_b32_e32 v0, 31, v31
	s_mov_b32 s2, exec_lo
	s_delay_alu instid0(VALU_DEP_1)
	v_cmpx_eq_u32_e32 0, v0
	s_cbranch_execz .LBB4_10431
; %bb.10419:
	s_mov_b32 s4, exec_lo
	s_mov_b32 s3, exec_lo
	v_mbcnt_lo_u32_b32 v0, s4, 0
	global_wb scope:SCOPE_DEV
	s_wait_storecnt_dscnt 0x0
	global_inv scope:SCOPE_DEV
	v_cmpx_eq_u32_e32 0, v0
	s_cbranch_execz .LBB4_10421
; %bb.10420:
	s_bcnt1_i32_b32 s4, s4
	s_delay_alu instid0(SALU_CYCLE_1)
	v_dual_mov_b32 v3, 0 :: v_dual_mov_b32 v2, s4
	s_wait_loadcnt 0x0
	ds_add_u64 v0, v[2:3]
	s_trap 2
.LBB4_10421:
	s_or_b32 exec_lo, exec_lo, s3
	s_trap 2
	ds_load_b64 v[2:3], v0
	s_wait_dscnt 0x0
	v_dual_mov_b32 v1, 0 :: v_dual_lshrrev_b32 v0, 5, v1
	s_mov_b32 s3, exec_lo
	s_delay_alu instid0(VALU_DEP_1) | instskip(NEXT) | instid1(VALU_DEP_1)
	v_add_nc_u64_e32 v[0:1], v[28:29], v[0:1]
	v_cmpx_lt_u64_e64 v[2:3], v[0:1]
	s_cbranch_execz .LBB4_10430
; %bb.10422:
	s_mov_b32 s4, 0
	s_mov_b32 s7, 0
                                        ; implicit-def: $sgpr5
                                        ; implicit-def: $sgpr6
	s_branch .LBB4_10424
.LBB4_10423:                            ;   in Loop: Header=BB4_10424 Depth=1
	s_or_b32 exec_lo, exec_lo, s11
	s_delay_alu instid0(SALU_CYCLE_1) | instskip(NEXT) | instid1(SALU_CYCLE_1)
	s_and_b32 s10, exec_lo, s12
	s_or_b32 s4, s10, s4
	s_and_not1_b32 s5, s5, exec_lo
	s_and_b32 s10, s6, exec_lo
	s_delay_alu instid0(SALU_CYCLE_1)
	s_or_b32 s5, s5, s10
	s_and_not1_b32 exec_lo, exec_lo, s4
	s_cbranch_execz .LBB4_10428
.LBB4_10424:                            ; =>This Inner Loop Header: Depth=1
	s_add_co_i32 s7, s7, 1
	s_delay_alu instid0(SALU_CYCLE_1) | instskip(SKIP_1) | instid1(SALU_CYCLE_1)
	s_cmp_lg_u32 s7, 0x2710
	s_cselect_b32 s10, -1, 0
	s_and_b32 vcc_lo, exec_lo, s10
	s_cbranch_vccz .LBB4_10426
; %bb.10425:                            ;   in Loop: Header=BB4_10424 Depth=1
	s_mov_b32 s12, -1
	s_or_b32 s6, s6, exec_lo
	s_and_saveexec_b32 s11, s10
	s_cbranch_execz .LBB4_10423
	s_branch .LBB4_10427
.LBB4_10426:                            ;   in Loop: Header=BB4_10424 Depth=1
	s_trap 2
	ds_load_b64 v[2:3], v0
	s_and_not1_b32 s10, s10, exec_lo
	s_mov_b32 s7, 0
	s_wait_loadcnt_dscnt 0x0
	flat_load_b32 v2, v[2:3] scope:SCOPE_SYS
	s_wait_loadcnt_dscnt 0x0
	global_inv scope:SCOPE_SYS
	v_cmp_eq_u32_e32 vcc_lo, 0, v2
	s_and_b32 s11, vcc_lo, exec_lo
	s_delay_alu instid0(SALU_CYCLE_1)
	s_or_b32 s10, s10, s11
	s_mov_b32 s12, -1
	s_or_b32 s6, s6, exec_lo
	s_and_saveexec_b32 s11, s10
	s_cbranch_execz .LBB4_10423
.LBB4_10427:                            ;   in Loop: Header=BB4_10424 Depth=1
	s_sleep 1
	s_trap 2
	ds_load_b64 v[2:3], v0
	s_wait_dscnt 0x0
	s_and_not1_b32 s6, s6, exec_lo
	v_cmp_ge_u64_e32 vcc_lo, v[2:3], v[0:1]
	s_or_not1_b32 s12, vcc_lo, exec_lo
	s_branch .LBB4_10423
.LBB4_10428:
	s_or_b32 exec_lo, exec_lo, s4
	s_and_saveexec_b32 s4, s5
	s_delay_alu instid0(SALU_CYCLE_1)
	s_xor_b32 s4, exec_lo, s4
	s_cbranch_execz .LBB4_10430
; %bb.10429:
	v_mov_b32_e32 v0, 1
	ds_store_b32 v0, v0
	s_trap 2
.LBB4_10430:
	s_or_b32 exec_lo, exec_lo, s3
	;;#ASMSTART
	s_wakeup
	;;#ASMEND
.LBB4_10431:
	s_or_b32 exec_lo, exec_lo, s2
.LBB4_10432:
	s_and_not1_saveexec_b32 s0, s0
	s_cbranch_execz .LBB4_10434
; %bb.10433:
	global_wb scope:SCOPE_DEV
	s_wait_storecnt 0x0
	s_wait_loadcnt_dscnt 0x0
	global_inv scope:SCOPE_DEV
	s_barrier_signal -1
	s_barrier_wait -1
.LBB4_10434:
	s_or_b32 exec_lo, exec_lo, s1
.LBB4_10435:
	s_and_not1_saveexec_b32 s21, s18
	s_cbranch_execz .LBB4_10437
; %bb.10436:
	s_get_pc_i64 s[0:1]
	s_add_nc_u64 s[0:1], s[0:1], __PRETTY_FUNCTION__._ZN10PrimitivesI14__hip_fp8_e4m313FuncPreMulSumIS0_E12FanSymmetricILi1EELi0E11ProtoSimpleILi1ELi1ELi0ELi2ELi0ELi0EELi0ELb0ELi0ELi0ELi0EEC2EiiPKiS9_PKvPvmhhhP15ncclDevWorkCollP14ncclDevWorkP2pii@rel64+4
	s_get_pc_i64 s[2:3]
	s_add_nc_u64 s[2:3], s[2:3], __assert_fail@rel64+4
	v_dual_mov_b32 v0, s0 :: v_dual_mov_b32 v1, s1
	s_swap_pc_i64 s[30:31], s[2:3]
	; divergent unreachable
.LBB4_10437:
	s_or_b32 exec_lo, exec_lo, s21
	s_clause 0xe
	scratch_load_b32 v126, off, s33
	scratch_load_b32 v125, off, s33 offset:4
	scratch_load_b32 v124, off, s33 offset:8
	scratch_load_b32 v123, off, s33 offset:12
	scratch_load_b32 v122, off, s33 offset:16
	scratch_load_b32 v121, off, s33 offset:20
	scratch_load_b32 v120, off, s33 offset:24
	scratch_load_b32 v111, off, s33 offset:28
	scratch_load_b32 v110, off, s33 offset:32
	scratch_load_b32 v109, off, s33 offset:36
	scratch_load_b32 v108, off, s33 offset:40
	scratch_load_b32 v107, off, s33 offset:44
	scratch_load_b32 v106, off, s33 offset:48
	scratch_load_b32 v105, off, s33 offset:52
	scratch_load_b32 v104, off, s33 offset:56
	s_wait_loadcnt 0x10
	s_clause 0x1f
	scratch_load_b32 v95, off, s33 offset:60
	scratch_load_b32 v94, off, s33 offset:64
	;; [unrolled: 1-line block ×32, first 2 shown]
	v_readlane_b32 s30, v127, 0
	v_readlane_b32 s31, v127, 1
	s_mov_b32 s32, s33
	s_wait_xcnt 0x0
	s_or_saveexec_b32 s0, -1
	scratch_load_b32 v127, off, s33 offset:208 ; 4-byte Folded Reload
	s_wait_xcnt 0x0
	s_mov_b32 exec_lo, s0
	s_mov_b32 s33, s47
	s_wait_loadcnt_dscnt 0x0
	s_set_pc_i64 s[30:31]
.Lfunc_end4:
	.size	_ZN12_GLOBAL__N_17runRingI14__hip_fp8_e4m313FuncPreMulSumIS1_E11ProtoSimpleILi1ELi1ELi0ELi2ELi0ELi0EELi0ELi2ELi0EEEviiP15ncclDevWorkColl, .Lfunc_end4-_ZN12_GLOBAL__N_17runRingI14__hip_fp8_e4m313FuncPreMulSumIS1_E11ProtoSimpleILi1ELi1ELi0ELi2ELi0ELi0EELi0ELi2ELi0EEEviiP15ncclDevWorkColl
                                        ; -- End function
	.set .L_ZN12_GLOBAL__N_17runRingI14__hip_fp8_e4m313FuncPreMulSumIS1_E11ProtoSimpleILi1ELi1ELi0ELi2ELi0ELi0EELi0ELi2ELi0EEEviiP15ncclDevWorkColl.num_vgpr, max(128, .L__assert_fail.num_vgpr)
	.set .L_ZN12_GLOBAL__N_17runRingI14__hip_fp8_e4m313FuncPreMulSumIS1_E11ProtoSimpleILi1ELi1ELi0ELi2ELi0ELi0EELi0ELi2ELi0EEEviiP15ncclDevWorkColl.num_agpr, max(0, .L__assert_fail.num_agpr)
	.set .L_ZN12_GLOBAL__N_17runRingI14__hip_fp8_e4m313FuncPreMulSumIS1_E11ProtoSimpleILi1ELi1ELi0ELi2ELi0ELi0EELi0ELi2ELi0EEEviiP15ncclDevWorkColl.numbered_sgpr, max(48, .L__assert_fail.numbered_sgpr)
	.set .L_ZN12_GLOBAL__N_17runRingI14__hip_fp8_e4m313FuncPreMulSumIS1_E11ProtoSimpleILi1ELi1ELi0ELi2ELi0ELi0EELi0ELi2ELi0EEEviiP15ncclDevWorkColl.num_named_barrier, max(0, .L__assert_fail.num_named_barrier)
	.set .L_ZN12_GLOBAL__N_17runRingI14__hip_fp8_e4m313FuncPreMulSumIS1_E11ProtoSimpleILi1ELi1ELi0ELi2ELi0ELi0EELi0ELi2ELi0EEEviiP15ncclDevWorkColl.private_seg_size, 224+max(.L__assert_fail.private_seg_size)
	.set .L_ZN12_GLOBAL__N_17runRingI14__hip_fp8_e4m313FuncPreMulSumIS1_E11ProtoSimpleILi1ELi1ELi0ELi2ELi0ELi0EELi0ELi2ELi0EEEviiP15ncclDevWorkColl.uses_vcc, or(1, .L__assert_fail.uses_vcc)
	.set .L_ZN12_GLOBAL__N_17runRingI14__hip_fp8_e4m313FuncPreMulSumIS1_E11ProtoSimpleILi1ELi1ELi0ELi2ELi0ELi0EELi0ELi2ELi0EEEviiP15ncclDevWorkColl.uses_flat_scratch, or(1, .L__assert_fail.uses_flat_scratch)
	.set .L_ZN12_GLOBAL__N_17runRingI14__hip_fp8_e4m313FuncPreMulSumIS1_E11ProtoSimpleILi1ELi1ELi0ELi2ELi0ELi0EELi0ELi2ELi0EEEviiP15ncclDevWorkColl.has_dyn_sized_stack, or(0, .L__assert_fail.has_dyn_sized_stack)
	.set .L_ZN12_GLOBAL__N_17runRingI14__hip_fp8_e4m313FuncPreMulSumIS1_E11ProtoSimpleILi1ELi1ELi0ELi2ELi0ELi0EELi0ELi2ELi0EEEviiP15ncclDevWorkColl.has_recursion, or(1, .L__assert_fail.has_recursion)
	.set .L_ZN12_GLOBAL__N_17runRingI14__hip_fp8_e4m313FuncPreMulSumIS1_E11ProtoSimpleILi1ELi1ELi0ELi2ELi0ELi0EELi0ELi2ELi0EEEviiP15ncclDevWorkColl.has_indirect_call, or(0, .L__assert_fail.has_indirect_call)
	.section	.AMDGPU.csdata,"",@progbits
; Function info:
; codeLenInByte = 328900
; TotalNumSgprs: 50
; NumVgprs: 128
; ScratchSize: 288
; MemoryBound: 1
	.text
	.p2align	2                               ; -- Begin function _Z53ncclDevFunc_Reduce_RING_SIMPLE_PreMulSum_f8e4m3_0_0_2v
	.type	_Z53ncclDevFunc_Reduce_RING_SIMPLE_PreMulSum_f8e4m3_0_0_2v,@function
_Z53ncclDevFunc_Reduce_RING_SIMPLE_PreMulSum_f8e4m3_0_0_2v: ; @_Z53ncclDevFunc_Reduce_RING_SIMPLE_PreMulSum_f8e4m3_0_0_2v
; %bb.0:
	s_wait_loadcnt_dscnt 0x0
	s_wait_kmcnt 0x0
	s_mov_b32 s63, s33
	s_mov_b32 s33, s32
	s_or_saveexec_b32 s0, -1
	scratch_store_b32 off, v42, s33 offset:12 ; 4-byte Folded Spill
	s_wait_xcnt 0x0
	s_mov_b32 exec_lo, s0
	s_add_co_i32 s32, s32, 32
	s_clause 0x2
	scratch_store_b32 off, v40, s33 offset:8
	; meta instruction
	scratch_store_b32 off, v41, s33 offset:4
	; meta instruction
	scratch_store_b32 off, v127, s33
	v_writelane_b32 v42, s30, 0
	v_writelane_b32 v42, s31, 1
	s_trap 2
	ds_load_b32 v0, v0
	s_wait_xcnt 0x2
	v_mov_b32_e32 v40, v31
	s_mov_b32 s58, s12
	s_mov_b64 s[56:57], s[8:9]
	s_mov_b32 s2, exec_lo
	s_wait_xcnt 0x1
	v_and_b32_e32 v41, 0x3ff, v40
	s_wait_dscnt 0x0
	s_wait_xcnt 0x0
	s_delay_alu instid0(VALU_DEP_1)
	v_cmpx_lt_i32_e64 v41, v0
	s_cbranch_execz .LBB5_5
; %bb.1:
	s_load_b32 s0, s[56:57], 0x0
	s_bfe_u32 s1, ttmp6, 0x4000c
	s_and_b32 s3, ttmp6, 15
	s_add_co_i32 s1, s1, 1
	s_getreg_b32 s4, hwreg(HW_REG_IB_STS2, 6, 4)
	s_mul_i32 s1, ttmp9, s1
	v_mov_b32_e32 v2, v41
	s_add_co_i32 s3, s3, s1
	s_cmp_eq_u32 s4, 0
                                        ; implicit-def: $vgpr3
	s_cselect_b32 s1, ttmp9, s3
	s_mov_b32 s3, 0
	s_wait_kmcnt 0x0
	s_cmp_lt_u32 s1, s0
	s_mov_b32 s1, 0
	s_cselect_b32 s0, 12, 18
	s_delay_alu instid0(SALU_CYCLE_1)
	s_add_nc_u64 s[4:5], s[56:57], s[0:1]
	s_load_u16 s0, s[4:5], 0x0
	s_trap 2
	ds_load_b32 v1, v0
	s_wait_dscnt 0x0
	s_wait_kmcnt 0x0
	v_mul_lo_u32 v1, v1, s0
	s_branch .LBB5_3
.LBB5_2:                                ;   in Loop: Header=BB5_3 Depth=1
	s_or_b32 exec_lo, exec_lo, s4
	v_dual_add_nc_u32 v2, s0, v2 :: v_dual_add_nc_u32 v3, v3, v1
	s_delay_alu instid0(VALU_DEP_1) | instskip(SKIP_1) | instid1(SALU_CYCLE_1)
	v_cmp_ge_i32_e32 vcc_lo, v2, v0
	s_or_b32 s3, vcc_lo, s3
	s_and_not1_b32 exec_lo, exec_lo, s3
	s_cbranch_execz .LBB5_5
.LBB5_3:                                ; =>This Inner Loop Header: Depth=1
	ds_load_b32 v4, v3
	s_mov_b32 s4, exec_lo
	s_wait_dscnt 0x0
	v_and_b32_e32 v4, 0x1000000, v4
	s_delay_alu instid0(VALU_DEP_1)
	v_cmpx_ne_u32_e32 0, v4
	s_cbranch_execz .LBB5_2
; %bb.4:                                ;   in Loop: Header=BB5_3 Depth=1
	ds_load_b64 v[4:5], v3 offset:104
	s_wait_dscnt 0x0
	flat_load_u8 v4, v[4:5]
	s_wait_xcnt 0x0
	v_mov_b32_e32 v5, s1
	s_wait_loadcnt_dscnt 0x0
	v_and_b32_e32 v4, 0xffff, v4
	ds_store_b64 v3, v[4:5] offset:104
	s_branch .LBB5_2
.LBB5_5:
	s_or_b32 exec_lo, exec_lo, s2
	s_wait_storecnt_dscnt 0x0
	s_barrier_signal -1
	s_barrier_wait -1
	s_trap 2
	ds_load_b32 v0, v0
	s_wait_dscnt 0x0
	v_cmp_gt_i32_e32 vcc_lo, 1, v0
	s_cbranch_vccnz .LBB5_13
; %bb.6:
	s_mov_b32 s59, 0
	s_get_pc_i64 s[60:61]
	s_add_nc_u64 s[60:61], s[60:61], _ZN12_GLOBAL__N_17runRingI14__hip_fp8_e4m313FuncPreMulSumIS1_E11ProtoSimpleILi1ELi1ELi0ELi2ELi0ELi0EELi0ELi2ELi0EEEviiP15ncclDevWorkColl@rel64+4
	s_branch .LBB5_8
.LBB5_7:                                ;   in Loop: Header=BB5_8 Depth=1
	s_or_b32 exec_lo, exec_lo, s62
	s_trap 2
	ds_load_b32 v0, v0
	s_add_co_i32 s59, s59, 1
	s_wait_dscnt 0x0
	v_cmp_lt_i32_e32 vcc_lo, s59, v0
	s_cbranch_vccz .LBB5_13
.LBB5_8:                                ; =>This Inner Loop Header: Depth=1
	s_trap 2
	ds_load_b32 v0, v0
	s_cmp_eq_u32 s59, 0
	s_cbranch_scc1 .LBB5_11
; %bb.9:                                ;   in Loop: Header=BB5_8 Depth=1
	s_trap 2
	s_wait_dscnt 0x0
	ds_load_b32 v1, v0
	s_wait_dscnt 0x0
	v_xor_b32_e32 v1, v1, v0
	s_delay_alu instid0(VALU_DEP_1) | instskip(NEXT) | instid1(VALU_DEP_1)
	v_and_b32_e32 v1, 0xff0000, v1
	v_cmp_eq_u32_e32 vcc_lo, 0, v1
	s_cbranch_vccnz .LBB5_11
; %bb.10:                               ;   in Loop: Header=BB5_8 Depth=1
	s_barrier_signal -1
	s_barrier_wait -1
	ds_load_b32 v0, v0
.LBB5_11:                               ;   in Loop: Header=BB5_8 Depth=1
	s_wait_dscnt 0x0
	v_lshrrev_b32_e32 v0, 11, v0
	s_mov_b32 s62, exec_lo
	s_delay_alu instid0(VALU_DEP_1) | instskip(NEXT) | instid1(VALU_DEP_1)
	v_and_b32_e32 v1, 0x1fe0, v0
	v_cmpx_lt_u32_e64 v41, v1
	s_cbranch_execz .LBB5_7
; %bb.12:                               ;   in Loop: Header=BB5_8 Depth=1
	s_mov_b64 s[0:1], src_shared_base
	v_dual_mov_b32 v31, v40 :: v_dual_mov_b32 v0, v41
	v_mov_b32_e32 v3, s1
	s_mov_b64 s[8:9], s[56:57]
	s_mov_b32 s12, s58
	s_swap_pc_i64 s[30:31], s[60:61]
	s_branch .LBB5_7
.LBB5_13:
	s_clause 0x2
	scratch_load_b32 v127, off, s33
	scratch_load_b32 v41, off, s33 offset:4
	scratch_load_b32 v40, off, s33 offset:8
	v_readlane_b32 s30, v42, 0
	v_readlane_b32 s31, v42, 1
	s_mov_b32 s32, s33
	s_wait_xcnt 0x0
	s_or_saveexec_b32 s0, -1
	scratch_load_b32 v42, off, s33 offset:12 ; 4-byte Folded Reload
	s_wait_xcnt 0x0
	s_mov_b32 exec_lo, s0
	s_mov_b32 s33, s63
	s_wait_loadcnt 0x0
	s_set_pc_i64 s[30:31]
.Lfunc_end5:
	.size	_Z53ncclDevFunc_Reduce_RING_SIMPLE_PreMulSum_f8e4m3_0_0_2v, .Lfunc_end5-_Z53ncclDevFunc_Reduce_RING_SIMPLE_PreMulSum_f8e4m3_0_0_2v
                                        ; -- End function
	.set .L_Z53ncclDevFunc_Reduce_RING_SIMPLE_PreMulSum_f8e4m3_0_0_2v.num_vgpr, max(128, .L_ZN12_GLOBAL__N_17runRingI14__hip_fp8_e4m313FuncPreMulSumIS1_E11ProtoSimpleILi1ELi1ELi0ELi2ELi0ELi0EELi0ELi2ELi0EEEviiP15ncclDevWorkColl.num_vgpr)
	.set .L_Z53ncclDevFunc_Reduce_RING_SIMPLE_PreMulSum_f8e4m3_0_0_2v.num_agpr, max(0, .L_ZN12_GLOBAL__N_17runRingI14__hip_fp8_e4m313FuncPreMulSumIS1_E11ProtoSimpleILi1ELi1ELi0ELi2ELi0ELi0EELi0ELi2ELi0EEEviiP15ncclDevWorkColl.num_agpr)
	.set .L_Z53ncclDevFunc_Reduce_RING_SIMPLE_PreMulSum_f8e4m3_0_0_2v.numbered_sgpr, max(64, .L_ZN12_GLOBAL__N_17runRingI14__hip_fp8_e4m313FuncPreMulSumIS1_E11ProtoSimpleILi1ELi1ELi0ELi2ELi0ELi0EELi0ELi2ELi0EEEviiP15ncclDevWorkColl.numbered_sgpr)
	.set .L_Z53ncclDevFunc_Reduce_RING_SIMPLE_PreMulSum_f8e4m3_0_0_2v.num_named_barrier, max(0, .L_ZN12_GLOBAL__N_17runRingI14__hip_fp8_e4m313FuncPreMulSumIS1_E11ProtoSimpleILi1ELi1ELi0ELi2ELi0ELi0EELi0ELi2ELi0EEEviiP15ncclDevWorkColl.num_named_barrier)
	.set .L_Z53ncclDevFunc_Reduce_RING_SIMPLE_PreMulSum_f8e4m3_0_0_2v.private_seg_size, 32+max(.L_ZN12_GLOBAL__N_17runRingI14__hip_fp8_e4m313FuncPreMulSumIS1_E11ProtoSimpleILi1ELi1ELi0ELi2ELi0ELi0EELi0ELi2ELi0EEEviiP15ncclDevWorkColl.private_seg_size)
	.set .L_Z53ncclDevFunc_Reduce_RING_SIMPLE_PreMulSum_f8e4m3_0_0_2v.uses_vcc, or(1, .L_ZN12_GLOBAL__N_17runRingI14__hip_fp8_e4m313FuncPreMulSumIS1_E11ProtoSimpleILi1ELi1ELi0ELi2ELi0ELi0EELi0ELi2ELi0EEEviiP15ncclDevWorkColl.uses_vcc)
	.set .L_Z53ncclDevFunc_Reduce_RING_SIMPLE_PreMulSum_f8e4m3_0_0_2v.uses_flat_scratch, or(1, .L_ZN12_GLOBAL__N_17runRingI14__hip_fp8_e4m313FuncPreMulSumIS1_E11ProtoSimpleILi1ELi1ELi0ELi2ELi0ELi0EELi0ELi2ELi0EEEviiP15ncclDevWorkColl.uses_flat_scratch)
	.set .L_Z53ncclDevFunc_Reduce_RING_SIMPLE_PreMulSum_f8e4m3_0_0_2v.has_dyn_sized_stack, or(0, .L_ZN12_GLOBAL__N_17runRingI14__hip_fp8_e4m313FuncPreMulSumIS1_E11ProtoSimpleILi1ELi1ELi0ELi2ELi0ELi0EELi0ELi2ELi0EEEviiP15ncclDevWorkColl.has_dyn_sized_stack)
	.set .L_Z53ncclDevFunc_Reduce_RING_SIMPLE_PreMulSum_f8e4m3_0_0_2v.has_recursion, or(1, .L_ZN12_GLOBAL__N_17runRingI14__hip_fp8_e4m313FuncPreMulSumIS1_E11ProtoSimpleILi1ELi1ELi0ELi2ELi0ELi0EELi0ELi2ELi0EEEviiP15ncclDevWorkColl.has_recursion)
	.set .L_Z53ncclDevFunc_Reduce_RING_SIMPLE_PreMulSum_f8e4m3_0_0_2v.has_indirect_call, or(0, .L_ZN12_GLOBAL__N_17runRingI14__hip_fp8_e4m313FuncPreMulSumIS1_E11ProtoSimpleILi1ELi1ELi0ELi2ELi0ELi0EELi0ELi2ELi0EEEviiP15ncclDevWorkColl.has_indirect_call)
	.section	.AMDGPU.csdata,"",@progbits
; Function info:
; codeLenInByte = 756
; TotalNumSgprs: 66
; NumVgprs: 128
; ScratchSize: 320
; MemoryBound: 0
	.text
	.p2align	2                               ; -- Begin function _ZN12_GLOBAL__N_17runRingI14__hip_fp8_e4m313FuncPreMulSumIS1_E11ProtoSimpleILi1ELi1ELi0ELi4ELi0ELi0EELi0ELi4ELi0EEEviiP15ncclDevWorkColl
	.type	_ZN12_GLOBAL__N_17runRingI14__hip_fp8_e4m313FuncPreMulSumIS1_E11ProtoSimpleILi1ELi1ELi0ELi4ELi0ELi0EELi0ELi4ELi0EEEviiP15ncclDevWorkColl,@function
_ZN12_GLOBAL__N_17runRingI14__hip_fp8_e4m313FuncPreMulSumIS1_E11ProtoSimpleILi1ELi1ELi0ELi4ELi0ELi0EELi0ELi4ELi0EEEviiP15ncclDevWorkColl: ; @_ZN12_GLOBAL__N_17runRingI14__hip_fp8_e4m313FuncPreMulSumIS1_E11ProtoSimpleILi1ELi1ELi0ELi4ELi0ELi0EELi0ELi4ELi0EEEviiP15ncclDevWorkColl
; %bb.0:
	s_wait_loadcnt_dscnt 0x0
	s_wait_kmcnt 0x0
	s_mov_b32 s47, s33
	s_mov_b32 s33, s32
	s_or_saveexec_b32 s0, -1
	scratch_store_b32 off, v127, s33 offset:496 ; 4-byte Folded Spill
	s_wait_xcnt 0x0
	s_mov_b32 exec_lo, s0
	s_addk_co_i32 s32, 0x200
	s_clause 0x2e
	scratch_store_b32 off, v40, s33 offset:184
	; meta instruction
	scratch_store_b32 off, v41, s33 offset:180
	; meta instruction
	;; [unrolled: 2-line block ×46, first 2 shown]
	scratch_store_b32 off, v126, s33
	v_writelane_b32 v127, s30, 0
	v_writelane_b32 v127, s31, 1
	s_trap 2
	ds_load_b64 v[14:15], v0
	ds_load_b32 v4, v0
	flat_load_b64 v[6:7], v[2:3]
	v_mov_b32_e32 v24, v1
                                        ; implicit-def: $vgpr18_vgpr19
                                        ; implicit-def: $vgpr26_vgpr27
                                        ; implicit-def: $vgpr96_vgpr97
	s_wait_dscnt 0x2
	v_readfirstlane_b32 s0, v14
	v_readfirstlane_b32 s1, v15
	flat_load_u16 v17, v[2:3] offset:8
	flat_load_b32 v1, v15, s[0:1] offset:-4 scale_offset
	s_wait_xcnt 0x0
	s_mov_b32 s0, exec_lo
	s_wait_loadcnt_dscnt 0x202
	v_and_b32_e32 v8, 0xff, v6
	v_mov_b32_e32 v16, v7
	s_delay_alu instid0(VALU_DEP_2)
	v_cmpx_ne_u32_e64 v4, v8
	s_xor_b32 s0, exec_lo, s0
	s_cbranch_execz .LBB6_6
; %bb.1:
	v_bfe_u32 v5, v6, 8, 8
	v_not_b32_e32 v12, v8
	s_mov_b32 s1, exec_lo
                                        ; implicit-def: $vgpr18_vgpr19
                                        ; implicit-def: $vgpr26_vgpr27
                                        ; implicit-def: $vgpr96_vgpr97
	s_delay_alu instid0(VALU_DEP_2)
	v_cmpx_ne_u32_e64 v4, v5
	s_xor_b32 s1, exec_lo, s1
	s_cbranch_execz .LBB6_3
; %bb.2:
	s_clause 0x1
	flat_load_b128 v[6:9], v[2:3] offset:72
	flat_load_b64 v[10:11], v[2:3] offset:96
	v_add_nc_u32_e32 v5, v4, v12
                                        ; implicit-def: $vgpr12
	s_wait_loadcnt_dscnt 0x101
	s_delay_alu instid0(VALU_DEP_1) | instskip(SKIP_3) | instid1(VALU_DEP_3)
	v_mad_nc_u64_u32 v[96:97], v8, v5, v[6:7]
	s_wait_loadcnt_dscnt 0x0
	v_lshrrev_b64 v[18:19], 12, v[10:11]
	v_mov_b64_e32 v[26:27], v[8:9]
	v_mad_u32 v4, v9, v5, v97
	v_ashrrev_i32_e32 v5, 31, v5
	s_delay_alu instid0(VALU_DEP_1)
	v_mad_u32 v97, v8, v5, v4
                                        ; implicit-def: $vgpr5
.LBB6_3:
	s_wait_xcnt 0x0
	s_and_not1_saveexec_b32 s1, s1
	s_cbranch_execz .LBB6_5
; %bb.4:
	s_clause 0x1
	flat_load_b128 v[6:9], v[2:3] offset:72
	flat_load_b128 v[26:29], v[2:3] offset:88
	s_wait_loadcnt_dscnt 0x0
	v_dual_add_nc_u32 v5, v5, v12 :: v_dual_lshrrev_b32 v18, 1, v29
	s_delay_alu instid0(VALU_DEP_1) | instskip(NEXT) | instid1(VALU_DEP_1)
	v_mad_nc_u64_u32 v[96:97], v8, v5, v[6:7]
	v_mad_u32 v4, v9, v5, v97
	v_ashrrev_i32_e32 v5, 31, v5
	s_delay_alu instid0(VALU_DEP_1)
	v_mad_u32 v97, v8, v5, v4
.LBB6_5:
	s_wait_xcnt 0x0
	s_or_b32 exec_lo, exec_lo, s1
.LBB6_6:
	s_and_not1_saveexec_b32 s0, s0
	s_cbranch_execz .LBB6_8
; %bb.7:
	s_clause 0x1
	flat_load_b64 v[4:5], v[2:3] offset:96
	flat_load_b64 v[26:27], v[2:3] offset:72
	v_mov_b64_e32 v[96:97], 0
	s_wait_loadcnt_dscnt 0x101
	v_lshlrev_b64_e32 v[18:19], 9, v[4:5]
.LBB6_8:
	s_wait_xcnt 0x0
	s_or_b32 exec_lo, exec_lo, s0
	s_trap 2
	ds_load_b64 v[4:5], v0
	s_mov_b32 s1, 0
	s_mov_b32 s2, exec_lo
	s_wait_dscnt 0x0
	v_cmp_ne_u32_e32 vcc_lo, -1, v4
	v_cndmask_b32_e64 v15, 0, 1, vcc_lo
	v_cmp_ne_u32_e32 vcc_lo, -1, v5
	s_delay_alu instid0(VALU_DEP_2) | instskip(NEXT) | instid1(VALU_DEP_1)
	v_add_co_ci_u32_e64 v4, null, 0, v15, vcc_lo
	v_lshlrev_b32_e32 v5, 1, v4
	s_delay_alu instid0(VALU_DEP_1)
	v_cmpx_le_u32_e64 v5, v24
	s_xor_b32 s18, exec_lo, s2
	s_cbranch_execnz .LBB6_9
; %bb.17947:
	s_add_pc_i64 .LBB6_17924-.Lpost_addpc14
.Lpost_addpc14:
.LBB6_9:
	s_clause 0x1
	flat_load_b128 v[10:13], v[2:3] offset:16
	flat_load_b64 v[20:21], v[2:3] offset:104
	s_trap 2
	s_load_b32 s0, s[8:9], 0x0
	s_bfe_u32 s2, ttmp6, 0x4000c
	s_and_b32 s3, ttmp6, 15
	s_add_co_i32 s2, s2, 1
	s_getreg_b32 s4, hwreg(HW_REG_IB_STS2, 6, 4)
	s_mul_i32 s2, ttmp9, s2
	v_dual_mov_b32 v2, 0 :: v_dual_mov_b32 v5, 4
	s_add_co_i32 s3, s3, s2
	s_cmp_eq_u32 s4, 0
	ds_load_b32 v3, v0
	s_cselect_b32 s2, ttmp9, s3
	s_wait_kmcnt 0x0
	s_cmp_lt_u32 s2, s0
	s_cselect_b32 s0, 12, 18
	s_delay_alu instid0(SALU_CYCLE_1)
	s_add_nc_u64 s[0:1], s[8:9], s[0:1]
	global_load_u16 v2, v2, s[0:1]
	s_wait_xcnt 0x0
	s_mov_b32 s1, exec_lo
	s_wait_dscnt 0x0
	v_readfirstlane_b32 s19, v3
	v_cmpx_ge_u32_e64 v0, v15
	s_cbranch_execz .LBB6_19
; %bb.10:
	v_cmp_ge_u32_e64 s0, v0, v4
                                        ; implicit-def: $vgpr3
	s_and_saveexec_b32 s2, s0
	s_delay_alu instid0(SALU_CYCLE_1)
	s_xor_b32 s0, exec_lo, s2
	s_cbranch_execz .LBB6_16
; %bb.11:
	v_cndmask_b32_e64 v3, 0, 1, vcc_lo
	s_mov_b32 s2, exec_lo
	s_delay_alu instid0(VALU_DEP_1) | instskip(NEXT) | instid1(VALU_DEP_1)
	v_sub_nc_u32_e32 v3, v24, v3
	v_cmpx_ge_u32_e64 v0, v3
	s_xor_b32 s2, exec_lo, s2
; %bb.12:
                                        ; implicit-def: $vgpr4
; %bb.13:
	s_delay_alu instid0(SALU_CYCLE_1)
	s_or_saveexec_b32 s2, s2
	v_mov_b32_e32 v3, 16
	s_xor_b32 exec_lo, exec_lo, s2
; %bb.14:
	v_sub_nc_u32_e32 v3, v24, v4
	s_delay_alu instid0(VALU_DEP_1)
	v_cmp_lt_i32_e32 vcc_lo, v0, v3
	v_cndmask_b32_e64 v3, 32, 0, vcc_lo
; %bb.15:
	s_or_b32 exec_lo, exec_lo, s2
.LBB6_16:
	s_and_not1_saveexec_b32 s0, s0
; %bb.17:
	v_mov_b32_e32 v3, 8
; %bb.18:
	s_or_b32 exec_lo, exec_lo, s0
	s_delay_alu instid0(VALU_DEP_1)
	v_mov_b32_e32 v5, v3
.LBB6_19:
	s_or_b32 exec_lo, exec_lo, s1
	s_delay_alu instid0(VALU_DEP_1) | instskip(NEXT) | instid1(VALU_DEP_1)
	v_and_b32_e32 v3, 36, v5
	v_cmp_ne_u32_e32 vcc_lo, 0, v3
	v_mov_b32_e32 v3, -1
	s_and_saveexec_b32 s0, vcc_lo
	s_cbranch_execz .LBB6_21
; %bb.20:
	s_trap 2
	ds_load_b32 v3, v0
.LBB6_21:
	s_or_b32 exec_lo, exec_lo, s0
	v_dual_mov_b32 v19, v5 :: v_dual_bitop2_b32 v4, 24, v5 bitop3:0x40
	s_mov_b32 s1, exec_lo
	s_delay_alu instid0(VALU_DEP_1)
	v_cmpx_ne_u32_e32 0, v4
	s_cbranch_execz .LBB6_23
; %bb.22:
	s_trap 2
	s_wait_dscnt 0x0
	ds_load_b32 v3, v0
.LBB6_23:
	s_or_b32 exec_lo, exec_lo, s1
	s_wait_loadcnt 0x4
	v_lshrrev_b64 v[4:5], 31, v[16:17]
	v_mov_b64_e32 v[28:29], 0
	v_mov_b64_e32 v[34:35], 0
                                        ; implicit-def: $vgpr6_vgpr7
                                        ; kill: killed $vgpr6_vgpr7
                                        ; implicit-def: $vgpr6
	scratch_store_b64 off, v[6:7], s33 offset:388 ; 8-byte Folded Spill
                                        ; implicit-def: $vgpr48_vgpr49
                                        ; implicit-def: $vgpr6_vgpr7
                                        ; kill: killed $vgpr6_vgpr7
                                        ; implicit-def: $vgpr32_vgpr33
	v_and_b32_e32 v4, 3, v4
	s_delay_alu instid0(VALU_DEP_1)
	v_and_b32_e32 v4, 0xffff, v4
	s_wait_xcnt 0x0
	s_and_saveexec_b32 s0, vcc_lo
	s_cbranch_execz .LBB6_33
; %bb.24:
	s_trap 2
	ds_load_b64 v[6:7], v0
	s_mov_b32 s1, exec_lo
	s_wait_dscnt 0x0
	v_readfirstlane_b32 s2, v6
	v_readfirstlane_b32 s3, v7
	flat_load_b64 v[6:7], v3, s[2:3] scale_offset
	s_wait_loadcnt_dscnt 0x0
	v_mad_nc_u64_u32 v[22:23], 0xa8, v4, v[6:7]
                                        ; implicit-def: $vgpr6_vgpr7
                                        ; kill: killed $vgpr6_vgpr7
	flat_load_b32 v5, v[22:23] offset:640
	s_wait_loadcnt_dscnt 0x0
	v_cmpx_eq_u32_e32 1, v5
	s_cbranch_execz .LBB6_26
; %bb.25:
	flat_load_b64 v[8:9], v[22:23] offset:648
	v_or_b32_e32 v19, 0x2000, v19
	s_wait_loadcnt_dscnt 0x0
	flat_load_b64 v[6:7], v[8:9]
	s_trap 2
	scratch_store_b64 off, v[8:9], s33 offset:480 ; 8-byte Folded Spill
	s_wait_loadcnt_dscnt 0x0
	ds_store_b64 v0, v[6:7]
	flat_load_b64 v[6:7], v[8:9] offset:8
	s_wait_loadcnt_dscnt 0x0
	ds_store_b64 v0, v[6:7]
	flat_load_b64 v[6:7], v[8:9] offset:16
	s_wait_loadcnt_dscnt 0x0
	ds_store_b64 v0, v[6:7]
.LBB6_26:
	s_wait_xcnt 0x0
	s_or_b32 exec_lo, exec_lo, s1
	flat_load_b64 v[36:37], v[22:23] offset:608
	v_and_b32_e32 v5, 32, v19
	s_mov_b32 s1, exec_lo
                                        ; implicit-def: $vgpr32_vgpr33
	s_wait_xcnt 0x0
	s_delay_alu instid0(VALU_DEP_1)
	v_cmpx_ne_u32_e32 0, v5
	s_cbranch_execz .LBB6_28
; %bb.27:
	flat_load_b64 v[32:33], v[22:23] offset:560
	global_wb scope:SCOPE_SYS
	s_wait_storecnt 0x0
	s_wait_xcnt 0x0
	s_wait_loadcnt_dscnt 0x0
	flat_store_b64 v[32:33], v[36:37] scope:SCOPE_SYS
.LBB6_28:
	s_wait_xcnt 0x0
	s_or_b32 exec_lo, exec_lo, s1
	v_add_nc_u64_e32 v[28:29], 0x1f8, v[22:23]
	v_mov_b64_e32 v[34:35], 0
	v_and_b32_e32 v5, 4, v19
	s_mov_b32 s1, exec_lo
                                        ; implicit-def: $vgpr6
	scratch_store_b64 off, v[6:7], s33 offset:388 ; 8-byte Folded Spill
                                        ; implicit-def: $vgpr48_vgpr49
                                        ; implicit-def: $vgpr6_vgpr7
                                        ; kill: killed $vgpr6_vgpr7
	s_wait_xcnt 0x0
	v_cmpx_ne_u32_e32 0, v5
	s_cbranch_execz .LBB6_32
; %bb.29:
	v_and_b32_e32 v5, 0x800, v19
	s_mov_b32 s2, exec_lo
	s_delay_alu instid0(VALU_DEP_1)
	v_cmpx_eq_u32_e32 0, v5
	s_cbranch_execz .LBB6_31
; %bb.30:
	s_trap 2
	ds_store_b64 v0, v[28:29]
.LBB6_31:
	s_or_b32 exec_lo, exec_lo, s2
	flat_load_b64 v[32:33], v[22:23] offset:552
	v_or_b32_e32 v5, 0x100, v19
                                        ; kill: killed $vgpr22_vgpr23
	s_wait_loadcnt_dscnt 0x0
	flat_load_b64 v[48:49], v[32:33] scope:SCOPE_SYS
	s_clause 0x1
	flat_load_b64 v[34:35], v[22:23] offset:600
	flat_load_b32 v6, v[22:23] offset:576
	s_wait_loadcnt_dscnt 0x101
	v_cmp_eq_u64_e32 vcc_lo, 0, v[34:35]
	s_wait_loadcnt_dscnt 0x0
	scratch_store_b64 off, v[6:7], s33 offset:388 ; 8-byte Folded Spill
	flat_load_b64 v[6:7], v[22:23] offset:520
	v_cndmask_b32_e32 v19, v5, v19, vcc_lo
	s_wait_loadcnt_dscnt 0x0
	scratch_store_b64 off, v[6:7], s33 offset:380 ; 8-byte Folded Spill
.LBB6_32:
	s_wait_xcnt 0x0
	s_or_b32 exec_lo, exec_lo, s1
.LBB6_33:
	s_delay_alu instid0(SALU_CYCLE_1) | instskip(SKIP_2) | instid1(VALU_DEP_1)
	s_or_b32 exec_lo, exec_lo, s0
	v_and_b32_e32 v5, 24, v19
	s_mov_b32 s0, exec_lo
                                        ; implicit-def: $vgpr6_vgpr7
                                        ; kill: killed $vgpr6_vgpr7
	v_cmpx_ne_u32_e32 0, v5
	s_cbranch_execz .LBB6_41
; %bb.34:
	s_trap 2
	ds_load_b64 v[6:7], v0
	s_mov_b32 s1, exec_lo
	s_wait_dscnt 0x0
	v_readfirstlane_b32 s2, v6
	v_readfirstlane_b32 s3, v7
	flat_load_b64 v[6:7], v3, s[2:3] scale_offset
	s_wait_xcnt 0x0
	v_or_b32_e32 v3, 0x100, v19
	s_wait_loadcnt_dscnt 0x0
	v_mad_nc_u64_u32 v[28:29], 0xa8, v4, v[6:7]
                                        ; implicit-def: $vgpr4_vgpr5
                                        ; kill: killed $vgpr4_vgpr5
	flat_load_b128 v[34:37], v[28:29] offset:96
	s_wait_loadcnt_dscnt 0x0
	v_cmp_eq_u64_e32 vcc_lo, 0, v[34:35]
	v_cndmask_b32_e32 v19, v3, v19, vcc_lo
	s_delay_alu instid0(VALU_DEP_1) | instskip(SKIP_1) | instid1(VALU_DEP_1)
	v_and_b32_e32 v3, 16, v19
	s_wait_xcnt 0x0
	v_cmpx_ne_u32_e32 0, v3
	s_cbranch_execz .LBB6_36
; %bb.35:
	s_clause 0x1
	flat_load_b64 v[32:33], v[28:29] offset:48
	flat_load_b64 v[4:5], v[28:29] offset:120
	s_wait_loadcnt_dscnt 0x0
	scratch_store_b64 off, v[4:5], s33 offset:400 ; 8-byte Folded Spill
	flat_load_b64 v[4:5], v[28:29] offset:16
	s_wait_loadcnt_dscnt 0x0
	scratch_store_b64 off, v[4:5], s33 offset:380 ; 8-byte Folded Spill
.LBB6_36:
	s_wait_xcnt 0x0
	s_or_b32 exec_lo, exec_lo, s1
	v_and_b32_e32 v3, 8, v19
	s_mov_b32 s1, exec_lo
	s_delay_alu instid0(VALU_DEP_1)
	v_cmpx_ne_u32_e32 0, v3
	s_cbranch_execz .LBB6_40
; %bb.37:
	v_and_b32_e32 v3, 0x800, v19
	s_mov_b32 s2, exec_lo
	s_delay_alu instid0(VALU_DEP_1)
	v_cmpx_eq_u32_e32 0, v3
	s_cbranch_execz .LBB6_39
; %bb.38:
	s_trap 2
	ds_store_b64 v0, v[28:29]
.LBB6_39:
	s_or_b32 exec_lo, exec_lo, s2
	flat_load_b64 v[32:33], v[28:29] offset:56
	s_wait_loadcnt_dscnt 0x0
	flat_load_b64 v[48:49], v[32:33] scope:SCOPE_SYS
	flat_load_b32 v4, v[28:29] offset:72
	s_wait_loadcnt_dscnt 0x0
	scratch_store_b64 off, v[4:5], s33 offset:388 ; 8-byte Folded Spill
	flat_load_b64 v[4:5], v[28:29] offset:16
	s_wait_loadcnt_dscnt 0x0
	scratch_store_b64 off, v[4:5], s33 offset:380 ; 8-byte Folded Spill
.LBB6_40:
	s_wait_xcnt 0x0
	s_or_b32 exec_lo, exec_lo, s1
.LBB6_41:
	s_delay_alu instid0(SALU_CYCLE_1)
	s_or_b32 exec_lo, exec_lo, s0
	v_cmp_eq_u32_e64 s0, 0, v0
	s_and_saveexec_b32 s1, s0
	s_cbranch_execz .LBB6_43
; %bb.42:
	v_mov_b64_e32 v[8:9], 0
	s_wait_loadcnt 0x2
	v_dual_mov_b32 v4, v12 :: v_dual_mov_b32 v5, v13
	v_dual_mov_b32 v6, v10 :: v_dual_mov_b32 v7, v11
	ds_store_2addr_b64 v0, v[4:5], v[6:7] offset1:1
	s_trap 2
	ds_store_b64 v0, v[8:9]
	s_wait_loadcnt 0x1
	ds_store_b64 v0, v[20:21]
.LBB6_43:
	s_or_b32 exec_lo, exec_lo, s1
	s_wait_dscnt 0x0
	v_bfe_u32 v3, v16, 1, 30
	v_and_b32_e32 v8, 0x3ffffe00, v18
	v_mov_b32_e32 v9, 0
	s_wait_loadcnt 0x0
	v_and_b32_e32 v7, 0xffff, v2
                                        ; implicit-def: $vgpr4_vgpr5
                                        ; kill: killed $vgpr4_vgpr5
	v_cmp_ne_u32_e32 vcc_lo, v1, v3
	s_mov_b32 s1, exec_lo
	v_mov_b32_e32 v4, v19
	s_and_b32 s2, s1, vcc_lo
	s_delay_alu instid0(SALU_CYCLE_1)
	s_xor_b32 s20, s2, s1
	s_mov_b32 exec_lo, s2
	s_cbranch_execnz .LBB6_44
; %bb.17949:
	s_add_pc_i64 .LBB6_13386-.Lpost_addpc15
.Lpost_addpc15:
.LBB6_44:
	v_cmp_ne_u32_e32 vcc_lo, v14, v3
                                        ; implicit-def: $vgpr2_vgpr3
                                        ; kill: killed $vgpr2_vgpr3
	s_and_saveexec_b32 s1, vcc_lo
	s_delay_alu instid0(SALU_CYCLE_1)
	s_xor_b32 s13, exec_lo, s1
	s_cbranch_execnz .LBB6_45
; %bb.17951:
	s_add_pc_i64 .LBB6_6720-.Lpost_addpc16
.Lpost_addpc16:
.LBB6_45:
	v_mov_b64_e32 v[2:3], 0
	s_mov_b32 s21, exec_lo
	scratch_store_b64 off, v[2:3], s33 offset:204 ; 8-byte Folded Spill
	s_wait_xcnt 0x0
	v_cmpx_ne_u64_e32 0, v[26:27]
	s_cbranch_execnz .LBB6_46
; %bb.17953:
	s_add_pc_i64 .LBB6_6719-.Lpost_addpc17
.Lpost_addpc17:
.LBB6_46:
	s_clause 0x3
	scratch_store_b64 off, v[28:29], s33 offset:428
	scratch_store_b128 off, v[34:37], s33 offset:188
	scratch_store_b64 off, v[96:97], s33 offset:412
	scratch_load_b64 v[2:3], off, s33 offset:388
	v_cmp_ge_u32_e64 s1, v0, v24
	s_ashr_i32 s2, s19, 31
	v_cmp_eq_u32_e32 vcc_lo, 32, v24
	s_lshr_b32 s2, s2, 24
	v_mov_b64_e32 v[84:85], 0
	s_add_co_i32 s10, s19, s2
	v_cmp_ne_u32_e64 s2, 32, v24
	v_cmp_ne_u32_e64 s3, v24, v7
	v_and_b32_e32 v82, 0x1fe0, v24
	v_mov_b32_e32 v5, 1
	v_bfrev_b32_e32 v45, 1
	s_mov_b64 s[14:15], 0xffffffffffffff
	s_mov_b64 s[16:17], 0x100000000000000
	s_ashr_i32 s23, s10, 8
	s_mov_b32 s22, 0
	s_xor_b32 s24, vcc_lo, -1
	v_dual_mov_b32 v55, 0 :: v_dual_bitop2_b32 v1, 31, v31 bitop3:0x40
	scratch_store_b32 off, v0, s33 offset:408 ; 4-byte Folded Spill
	v_lshrrev_b32_e32 v64, 5, v24
	scratch_store_b32 off, v24, s33 offset:420 ; 4-byte Folded Spill
	v_cmp_eq_u32_e64 s4, 0, v1
	v_dual_mov_b32 v65, v55 :: v_dual_mov_b32 v69, v55
	v_dual_lshlrev_b32 v70, 9, v64 :: v_dual_lshlrev_b32 v68, 11, v64
	v_dual_mov_b32 v71, v55 :: v_dual_lshlrev_b32 v80, 10, v64
	v_dual_mov_b32 v81, v55 :: v_dual_mov_b32 v83, v55
	s_wait_loadcnt 0x0
	v_ashrrev_i32_e32 v3, 31, v2
	scratch_store_b64 off, v[2:3], s33 offset:388 ; 8-byte Folded Spill
	s_wait_xcnt 0x0
	v_dual_lshrrev_b32 v2, 5, v0 :: v_dual_bitop2_b32 v0, 31, v0 bitop3:0x40
	s_delay_alu instid0(VALU_DEP_1)
	v_lshlrev_b32_e32 v1, 11, v2
	s_clause 0x1
	scratch_store_b32 off, v31, s33 offset:424
	scratch_store_b32 off, v0, s33 offset:224
	v_cmp_le_u32_e64 s5, v0, v15
	v_cmp_lt_u32_e64 s6, v0, v15
	s_wait_xcnt 0x0
	v_lshl_or_b32 v0, v0, 4, v1
	v_mov_b32_e32 v1, v55
	s_clause 0x2
	scratch_store_b32 off, v7, s33 offset:436
	scratch_store_b64 off, v[0:1], s33 offset:232
	scratch_load_b64 v[0:1], off, s33 offset:400
	s_wait_loadcnt 0x0
	v_cmp_eq_u64_e64 s7, 0, v[0:1]
	v_mov_b64_e32 v[0:1], 0
	s_clause 0x1
	scratch_store_b32 off, v2, s33 offset:212
	scratch_store_b64 off, v[0:1], s33 offset:204
	s_trap 2
	s_clause 0x1
	scratch_store_b128 off, v[26:29], s33 offset:340
	scratch_store_b64 off, v[8:9], s33 offset:356
	s_branch .LBB6_49
.LBB6_47:                               ;   in Loop: Header=BB6_49 Depth=1
	s_wait_xcnt 0x0
	s_or_b32 exec_lo, exec_lo, s10
.LBB6_48:                               ;   in Loop: Header=BB6_49 Depth=1
	s_delay_alu instid0(SALU_CYCLE_1)
	s_or_b32 exec_lo, exec_lo, s11
	s_clause 0x1
	scratch_load_b64 v[8:9], off, s33 offset:356
	scratch_load_b128 v[26:29], off, s33 offset:340
	s_wait_loadcnt 0x1
	v_add_nc_u64_e32 v[84:85], v[84:85], v[8:9]
	s_wait_loadcnt 0x0
	s_delay_alu instid0(VALU_DEP_1)
	v_cmp_ge_u64_e32 vcc_lo, v[84:85], v[26:27]
	s_or_b32 s22, vcc_lo, s22
	s_wait_xcnt 0x0
	s_and_not1_b32 exec_lo, exec_lo, s22
	s_cbranch_execnz .LBB6_49
; %bb.17955:
	s_add_pc_i64 .LBB6_6718-.Lpost_addpc18
.Lpost_addpc18:
.LBB6_49:                               ; =>This Loop Header: Depth=1
                                        ;     Child Loop BB6_57 Depth 2
                                        ;     Child Loop BB6_86 Depth 2
	;; [unrolled: 1-line block ×10, first 2 shown]
	s_wait_xcnt 0x2
	v_sub_nc_u64_e32 v[0:1], v[26:27], v[84:85]
	s_delay_alu instid0(VALU_DEP_1) | instskip(NEXT) | instid1(VALU_DEP_1)
	v_min_u64 v[86:87], v[8:9], v[0:1]
	v_add_nc_u32_e32 v0, 15, v86
	s_delay_alu instid0(VALU_DEP_2) | instskip(NEXT) | instid1(VALU_DEP_2)
	v_cmp_eq_u64_e32 vcc_lo, 0, v[86:87]
	v_and_b32_e32 v0, 0x7ffffff0, v0
	s_or_b32 s25, s1, vcc_lo
	s_delay_alu instid0(SALU_CYCLE_1) | instskip(NEXT) | instid1(VALU_DEP_1)
	s_xor_b32 s10, s25, -1
	v_dual_mov_b32 v0, v55 :: v_dual_max_i32 v96, s23, v0
	s_wait_xcnt 0x0
	s_and_saveexec_b32 s26, s10
	s_cbranch_execnz .LBB6_50
; %bb.17957:                            ;   in Loop: Header=BB6_49 Depth=1
	s_add_pc_i64 .LBB6_6666-.Lpost_addpc19
.Lpost_addpc19:
.LBB6_50:                               ;   in Loop: Header=BB6_49 Depth=1
	s_and_saveexec_b32 s10, s0
	s_cbranch_execz .LBB6_52
; %bb.51:                               ;   in Loop: Header=BB6_49 Depth=1
	s_trap 2
	scratch_load_b64 v[2:3], off, s33 offset:412 ; 8-byte Folded Reload
	ds_load_b64 v[0:1], v0
	s_wait_loadcnt_dscnt 0x0
	v_add_nc_u64_e32 v[0:1], v[0:1], v[2:3]
	v_mov_b64_e32 v[2:3], 0
	s_delay_alu instid0(VALU_DEP_2)
	v_add_nc_u64_e32 v[0:1], v[0:1], v[84:85]
	ds_store_b64 v0, v[0:1]
	ds_store_b64 v0, v[2:3]
.LBB6_52:                               ;   in Loop: Header=BB6_49 Depth=1
	s_wait_xcnt 0x0
	s_or_b32 exec_lo, exec_lo, s10
	v_and_b32_e32 v0, 12, v4
	v_min_u32_e32 v96, v96, v86
	s_mov_b32 s11, exec_lo
	s_delay_alu instid0(VALU_DEP_2)
	v_cmpx_ne_u32_e32 0, v0
	s_cbranch_execz .LBB6_78
; %bb.53:                               ;   in Loop: Header=BB6_49 Depth=1
	scratch_load_b128 v[6:9], off, s33 offset:188 ; 16-byte Folded Reload
	v_and_b32_e32 v54, 8, v4
	s_mov_b32 s12, exec_lo
	s_delay_alu instid0(VALU_DEP_1) | instskip(SKIP_3) | instid1(VALU_DEP_1)
	v_add_nc_u64_e32 v[0:1], v[48:49], v[54:55]
	s_wait_loadcnt 0x0
	v_add_nc_u64_e32 v[10:11], 1, v[8:9]
	s_wait_xcnt 0x0
	v_cmpx_lt_u64_e64 v[0:1], v[10:11]
	s_cbranch_execz .LBB6_65
; %bb.54:                               ;   in Loop: Header=BB6_49 Depth=1
	v_and_b32_e32 v0, 64, v4
	s_mov_b32 s27, 0
	s_mov_b32 s41, 0
                                        ; implicit-def: $sgpr28
                                        ; implicit-def: $sgpr29
                                        ; implicit-def: $sgpr40
	s_delay_alu instid0(VALU_DEP_1)
	v_cmp_eq_u32_e32 vcc_lo, 0, v0
	s_branch .LBB6_57
.LBB6_55:                               ;   in Loop: Header=BB6_57 Depth=2
	s_or_b32 exec_lo, exec_lo, s46
	s_delay_alu instid0(SALU_CYCLE_1)
	s_and_not1_b32 s10, s40, exec_lo
	s_and_b32 s40, s44, exec_lo
	s_and_not1_b32 s29, s29, exec_lo
	s_and_b32 s43, s43, exec_lo
	s_or_b32 s40, s10, s40
	s_or_b32 s29, s29, s43
.LBB6_56:                               ;   in Loop: Header=BB6_57 Depth=2
	s_or_b32 exec_lo, exec_lo, s42
	s_delay_alu instid0(SALU_CYCLE_1) | instskip(NEXT) | instid1(SALU_CYCLE_1)
	s_and_b32 s10, exec_lo, s29
	s_or_b32 s27, s10, s27
	s_and_not1_b32 s10, s28, exec_lo
	s_and_b32 s28, s40, exec_lo
	s_delay_alu instid0(SALU_CYCLE_1)
	s_or_b32 s28, s10, s28
	s_and_not1_b32 exec_lo, exec_lo, s27
	s_cbranch_execz .LBB6_62
.LBB6_57:                               ;   Parent Loop BB6_49 Depth=1
                                        ; =>  This Inner Loop Header: Depth=2
	s_sleep 1
	s_wait_loadcnt_dscnt 0x0
	flat_load_b64 v[48:49], v[32:33] scope:SCOPE_SYS
	s_or_b32 s40, s40, exec_lo
	s_or_b32 s29, s29, exec_lo
                                        ; implicit-def: $vgpr0
	s_wait_xcnt 0x0
	s_and_saveexec_b32 s42, vcc_lo
	s_cbranch_execz .LBB6_56
; %bb.58:                               ;   in Loop: Header=BB6_57 Depth=2
	s_cmp_lt_i32 s41, 0x270f
	s_mov_b32 s43, -1
	s_cselect_b32 s45, -1, 0
	s_cmp_gt_i32 s41, 0x270e
	s_cbranch_scc0 .LBB6_60
; %bb.59:                               ;   in Loop: Header=BB6_57 Depth=2
	s_trap 2
	ds_load_b64 v[0:1], v0
	s_and_not1_b32 s41, s45, exec_lo
	s_mov_b32 s44, 0
	s_wait_storecnt 0x0
	s_wait_loadcnt_dscnt 0x0
	flat_load_b32 v0, v[0:1] scope:SCOPE_SYS
	s_wait_loadcnt_dscnt 0x0
	global_inv scope:SCOPE_SYS
	v_cmp_eq_u32_e64 s10, 0, v0
	s_and_b32 s10, s10, exec_lo
	s_delay_alu instid0(SALU_CYCLE_1)
	s_or_b32 s45, s41, s10
	s_mov_b32 s41, 0
	s_wait_xcnt 0x0
	s_and_saveexec_b32 s46, s45
	s_cbranch_execz .LBB6_55
	s_branch .LBB6_61
.LBB6_60:                               ;   in Loop: Header=BB6_57 Depth=2
	s_add_co_i32 s41, s41, 1
	s_mov_b32 s44, -1
                                        ; implicit-def: $vgpr0
	s_and_saveexec_b32 s46, s45
	s_cbranch_execz .LBB6_55
.LBB6_61:                               ;   in Loop: Header=BB6_57 Depth=2
	s_wait_loadcnt_dscnt 0x0
	v_add_nc_u64_e32 v[2:3], v[48:49], v[54:55]
	s_or_b32 s44, s44, exec_lo
	s_delay_alu instid0(VALU_DEP_1)
	v_cmp_ge_u64_e64 s10, v[2:3], v[10:11]
	s_or_not1_b32 s43, s10, exec_lo
	s_branch .LBB6_55
.LBB6_62:                               ;   in Loop: Header=BB6_49 Depth=1
	s_or_b32 exec_lo, exec_lo, s27
	s_xor_b32 s10, s28, -1
	s_delay_alu instid0(SALU_CYCLE_1) | instskip(NEXT) | instid1(SALU_CYCLE_1)
	s_and_saveexec_b32 s27, s10
	s_xor_b32 s10, exec_lo, s27
	s_cbranch_execz .LBB6_64
; %bb.63:                               ;   in Loop: Header=BB6_49 Depth=1
	v_or_b32_e32 v4, 64, v4
	s_wait_storecnt 0x0
	s_wait_loadcnt_dscnt 0x0
	ds_store_b32 v0, v0
	s_trap 2
.LBB6_64:                               ;   in Loop: Header=BB6_49 Depth=1
	s_or_b32 exec_lo, exec_lo, s10
.LBB6_65:                               ;   in Loop: Header=BB6_49 Depth=1
	s_delay_alu instid0(SALU_CYCLE_1) | instskip(SKIP_1) | instid1(VALU_DEP_1)
	s_or_b32 exec_lo, exec_lo, s12
	v_and_b32_e32 v0, 0x108, v4
	v_cmp_ne_u32_e32 vcc_lo, 0x108, v0
	scratch_load_b128 v[0:3], off, s33 offset:188 ; 16-byte Folded Reload
	;;#ASMSTART
	s_wakeup
	;;#ASMEND
	s_wait_loadcnt 0x0
	v_and_b32_e32 v8, 7, v2
	s_wait_xcnt 0x0
	s_and_saveexec_b32 s10, vcc_lo
	s_delay_alu instid0(SALU_CYCLE_1)
	s_xor_b32 s10, exec_lo, s10
; %bb.66:                               ;   in Loop: Header=BB6_49 Depth=1
	v_mov_b32_e32 v9, v55
; %bb.67:                               ;   in Loop: Header=BB6_49 Depth=1
	s_and_not1_saveexec_b32 s10, s10
	s_cbranch_execz .LBB6_69
; %bb.68:                               ;   in Loop: Header=BB6_49 Depth=1
	scratch_load_b128 v[0:3], off, s33 offset:188 ; 16-byte Folded Reload
	v_dual_mov_b32 v97, v55 :: v_dual_mov_b32 v9, v55
	s_wait_loadcnt 0x0
	v_mad_nc_u64_u32 v[0:1], v8, 24, v[0:1]
	flat_store_b64 v[0:1], v[96:97] offset:8
.LBB6_69:                               ;   in Loop: Header=BB6_49 Depth=1
	s_wait_xcnt 0x0
	s_or_b32 exec_lo, exec_lo, s10
	v_and_b32_e32 v0, 0x100, v4
	s_mov_b32 s10, -1
	s_mov_b32 s12, exec_lo
                                        ; implicit-def: $vgpr12_vgpr13
	s_delay_alu instid0(VALU_DEP_1)
	v_cmpx_ne_u32_e32 0, v0
	s_cbranch_execz .LBB6_73
; %bb.70:                               ;   in Loop: Header=BB6_49 Depth=1
	scratch_load_b128 v[0:3], off, s33 offset:188 ; 16-byte Folded Reload
	s_mov_b32 s27, exec_lo
                                        ; implicit-def: $vgpr12_vgpr13
	s_wait_loadcnt 0x0
	v_mad_nc_u64_u32 v[14:15], v8, 24, v[0:1]
	s_delay_alu instid0(VALU_DEP_1)
	v_mad_u32 v15, v9, 24, v15
	flat_load_b32 v0, v[14:15]
	s_wait_loadcnt_dscnt 0x0
	v_cmp_ne_u32_e32 vcc_lo, 1, v0
	s_wait_xcnt 0x0
	v_cmpx_eq_u32_e32 1, v0
	s_cbranch_execz .LBB6_72
; %bb.71:                               ;   in Loop: Header=BB6_49 Depth=1
	flat_load_b32 v12, v[14:15] offset:4 scope:SCOPE_SYS
	s_wait_loadcnt_dscnt 0x0
	v_ashrrev_i32_e32 v13, 31, v12
.LBB6_72:                               ;   in Loop: Header=BB6_49 Depth=1
	s_wait_xcnt 0x0
	s_or_b32 exec_lo, exec_lo, s27
	s_delay_alu instid0(SALU_CYCLE_1)
	s_or_not1_b32 s10, vcc_lo, exec_lo
.LBB6_73:                               ;   in Loop: Header=BB6_49 Depth=1
	s_or_b32 exec_lo, exec_lo, s12
	s_and_saveexec_b32 s12, s10
	s_cbranch_execz .LBB6_75
; %bb.74:                               ;   in Loop: Header=BB6_49 Depth=1
	scratch_load_b64 v[0:1], off, s33 offset:388 ; 8-byte Folded Reload
	s_wait_loadcnt 0x0
	v_mul_u64_e32 v[12:13], v[8:9], v[0:1]
.LBB6_75:                               ;   in Loop: Header=BB6_49 Depth=1
	s_wait_xcnt 0x0
	s_or_b32 exec_lo, exec_lo, s12
	v_cmp_eq_u32_e32 vcc_lo, 0, v54
	v_mov_b32_e32 v0, 0x90
	v_and_b32_e32 v3, 0x2000, v4
	s_mov_b32 s10, exec_lo
	s_delay_alu instid0(VALU_DEP_2) | instskip(SKIP_3) | instid1(VALU_DEP_1)
	v_cndmask_b32_e32 v2, 0xc8, v0, vcc_lo
	scratch_load_b64 v[0:1], off, s33 offset:380 ; 8-byte Folded Reload
	s_wait_loadcnt 0x0
	v_add_nc_u64_e32 v[0:1], v[0:1], v[12:13]
	v_add_nc_u32_e32 v2, v0, v2
	ds_store_b64 v2, v[0:1] offset:584
	s_wait_xcnt 0x0
	v_cmpx_ne_u32_e32 0, v3
	s_cbranch_execz .LBB6_77
; %bb.76:                               ;   in Loop: Header=BB6_49 Depth=1
	ds_load_b64 v[0:1], v0 offset:872
	s_wait_dscnt 0x0
	v_add_nc_u64_e32 v[0:1], 1, v[0:1]
	ds_store_b64 v0, v[0:1] offset:872
.LBB6_77:                               ;   in Loop: Header=BB6_49 Depth=1
	s_or_b32 exec_lo, exec_lo, s10
	scratch_load_b128 v[0:3], off, s33 offset:188 ; 16-byte Folded Reload
	s_wait_loadcnt 0x0
	v_mov_b64_e32 v[2:3], v[10:11]
	scratch_store_b128 off, v[0:3], s33 offset:188 ; 16-byte Folded Spill
.LBB6_78:                               ;   in Loop: Header=BB6_49 Depth=1
	s_wait_xcnt 0x0
	s_or_b32 exec_lo, exec_lo, s11
	s_and_saveexec_b32 s10, s2
	s_cbranch_execz .LBB6_97
; %bb.79:                               ;   in Loop: Header=BB6_49 Depth=1
	s_and_saveexec_b32 s11, s3
	s_delay_alu instid0(SALU_CYCLE_1)
	s_xor_b32 s11, exec_lo, s11
	s_cbranch_execz .LBB6_94
; %bb.80:                               ;   in Loop: Header=BB6_49 Depth=1
	s_and_saveexec_b32 s12, s4
	s_cbranch_execz .LBB6_93
; %bb.81:                               ;   in Loop: Header=BB6_49 Depth=1
	s_mov_b32 s28, exec_lo
	s_mov_b32 s27, exec_lo
	v_mbcnt_lo_u32_b32 v0, s28, 0
	global_wb scope:SCOPE_DEV
	s_wait_storecnt_dscnt 0x0
	global_inv scope:SCOPE_DEV
	v_cmpx_eq_u32_e32 0, v0
	s_cbranch_execz .LBB6_83
; %bb.82:                               ;   in Loop: Header=BB6_49 Depth=1
	s_bcnt1_i32_b32 s28, s28
	s_delay_alu instid0(SALU_CYCLE_1)
	v_mov_b32_e32 v54, s28
	s_wait_loadcnt 0x0
	ds_add_u64 v0, v[54:55]
	s_trap 2
.LBB6_83:                               ;   in Loop: Header=BB6_49 Depth=1
	s_or_b32 exec_lo, exec_lo, s27
	s_trap 2
	ds_load_b64 v[0:1], v0
	s_wait_dscnt 0x0
	scratch_load_b64 v[2:3], off, s33 offset:204 th:TH_LOAD_LU ; 8-byte Folded Reload
	s_mov_b32 s27, exec_lo
	s_wait_loadcnt 0x0
	v_add_nc_u64_e32 v[2:3], v[2:3], v[64:65]
	scratch_store_b64 off, v[2:3], s33 offset:204 ; 8-byte Folded Spill
	s_wait_xcnt 0x0
	v_cmpx_lt_u64_e64 v[0:1], v[2:3]
	s_cbranch_execz .LBB6_92
; %bb.84:                               ;   in Loop: Header=BB6_49 Depth=1
	s_mov_b32 s28, 0
	s_mov_b32 s41, 0
                                        ; implicit-def: $sgpr29
                                        ; implicit-def: $sgpr40
	s_branch .LBB6_86
.LBB6_85:                               ;   in Loop: Header=BB6_86 Depth=2
	s_wait_xcnt 0x0
	s_or_b32 exec_lo, exec_lo, s43
	s_delay_alu instid0(SALU_CYCLE_1) | instskip(NEXT) | instid1(SALU_CYCLE_1)
	s_and_b32 s42, exec_lo, s44
	s_or_b32 s28, s42, s28
	s_and_not1_b32 s29, s29, exec_lo
	s_and_b32 s42, s40, exec_lo
	s_delay_alu instid0(SALU_CYCLE_1)
	s_or_b32 s29, s29, s42
	s_and_not1_b32 exec_lo, exec_lo, s28
	s_cbranch_execz .LBB6_90
.LBB6_86:                               ;   Parent Loop BB6_49 Depth=1
                                        ; =>  This Inner Loop Header: Depth=2
	s_add_co_i32 s41, s41, 1
	s_delay_alu instid0(SALU_CYCLE_1) | instskip(SKIP_1) | instid1(SALU_CYCLE_1)
	s_cmp_lg_u32 s41, 0x2710
	s_cselect_b32 s42, -1, 0
	s_and_b32 vcc_lo, exec_lo, s42
	s_cbranch_vccz .LBB6_88
; %bb.87:                               ;   in Loop: Header=BB6_86 Depth=2
	s_mov_b32 s44, -1
	s_or_b32 s40, s40, exec_lo
	s_and_saveexec_b32 s43, s42
	s_cbranch_execz .LBB6_85
	s_branch .LBB6_89
.LBB6_88:                               ;   in Loop: Header=BB6_86 Depth=2
	s_trap 2
	ds_load_b64 v[0:1], v0
	s_and_not1_b32 s42, s42, exec_lo
	s_mov_b32 s41, 0
	s_wait_storecnt_dscnt 0x0
	flat_load_b32 v0, v[0:1] scope:SCOPE_SYS
	s_wait_loadcnt_dscnt 0x0
	global_inv scope:SCOPE_SYS
	v_cmp_eq_u32_e32 vcc_lo, 0, v0
	s_and_b32 s43, vcc_lo, exec_lo
	s_delay_alu instid0(SALU_CYCLE_1)
	s_or_b32 s42, s42, s43
	s_mov_b32 s44, -1
	s_or_b32 s40, s40, exec_lo
	s_wait_xcnt 0x0
	s_and_saveexec_b32 s43, s42
	s_cbranch_execz .LBB6_85
.LBB6_89:                               ;   in Loop: Header=BB6_86 Depth=2
	s_sleep 1
	s_trap 2
	ds_load_b64 v[0:1], v0
	s_wait_dscnt 0x0
	scratch_load_b64 v[2:3], off, s33 offset:204 ; 8-byte Folded Reload
	s_and_not1_b32 s40, s40, exec_lo
	s_wait_loadcnt 0x0
	v_cmp_ge_u64_e32 vcc_lo, v[0:1], v[2:3]
	s_or_not1_b32 s44, vcc_lo, exec_lo
	s_branch .LBB6_85
.LBB6_90:                               ;   in Loop: Header=BB6_49 Depth=1
	s_or_b32 exec_lo, exec_lo, s28
	s_and_saveexec_b32 s28, s29
	s_delay_alu instid0(SALU_CYCLE_1)
	s_xor_b32 s28, exec_lo, s28
	s_cbranch_execz .LBB6_92
; %bb.91:                               ;   in Loop: Header=BB6_49 Depth=1
	ds_store_b32 v0, v5
	s_trap 2
.LBB6_92:                               ;   in Loop: Header=BB6_49 Depth=1
	s_or_b32 exec_lo, exec_lo, s27
	;;#ASMSTART
	s_wakeup
	;;#ASMEND
.LBB6_93:                               ;   in Loop: Header=BB6_49 Depth=1
	s_or_b32 exec_lo, exec_lo, s12
.LBB6_94:                               ;   in Loop: Header=BB6_49 Depth=1
	s_and_not1_saveexec_b32 s11, s11
	s_cbranch_execz .LBB6_96
; %bb.95:                               ;   in Loop: Header=BB6_49 Depth=1
	global_wb scope:SCOPE_DEV
	s_wait_storecnt 0x0
	s_wait_loadcnt_dscnt 0x0
	global_inv scope:SCOPE_DEV
	s_barrier_signal -1
	s_barrier_wait -1
.LBB6_96:                               ;   in Loop: Header=BB6_49 Depth=1
	s_or_b32 exec_lo, exec_lo, s11
.LBB6_97:                               ;   in Loop: Header=BB6_49 Depth=1
	s_delay_alu instid0(SALU_CYCLE_1) | instskip(SKIP_3) | instid1(VALU_DEP_1)
	s_or_b32 exec_lo, exec_lo, s10
	s_trap 2
	ds_load_b32 v0, v0
	v_and_b32_e32 v1, 0x4000, v4
	v_cmp_ne_u32_e32 vcc_lo, 0, v1
	s_and_b32 s11, s24, vcc_lo
	s_delay_alu instid0(SALU_CYCLE_1)
	s_and_saveexec_b32 s10, s11
	s_cbranch_execz .LBB6_116
; %bb.98:                               ;   in Loop: Header=BB6_49 Depth=1
	s_and_saveexec_b32 s11, s3
	s_delay_alu instid0(SALU_CYCLE_1)
	s_xor_b32 s11, exec_lo, s11
	s_cbranch_execz .LBB6_113
; %bb.99:                               ;   in Loop: Header=BB6_49 Depth=1
	s_and_saveexec_b32 s12, s4
	s_cbranch_execz .LBB6_112
; %bb.100:                              ;   in Loop: Header=BB6_49 Depth=1
	s_mov_b32 s28, exec_lo
	s_mov_b32 s27, exec_lo
	v_mbcnt_lo_u32_b32 v1, s28, 0
	global_wb scope:SCOPE_DEV
	s_wait_storecnt 0x0
	s_wait_loadcnt_dscnt 0x0
	global_inv scope:SCOPE_DEV
	v_cmpx_eq_u32_e32 0, v1
	s_cbranch_execz .LBB6_102
; %bb.101:                              ;   in Loop: Header=BB6_49 Depth=1
	s_bcnt1_i32_b32 s28, s28
	s_delay_alu instid0(SALU_CYCLE_1)
	v_mov_b32_e32 v54, s28
	s_wait_loadcnt 0x0
	ds_add_u64 v0, v[54:55]
	s_trap 2
.LBB6_102:                              ;   in Loop: Header=BB6_49 Depth=1
	s_or_b32 exec_lo, exec_lo, s27
	s_trap 2
	ds_load_b64 v[2:3], v0
	s_wait_dscnt 0x0
	scratch_load_b64 v[6:7], off, s33 offset:204 th:TH_LOAD_LU ; 8-byte Folded Reload
	s_mov_b32 s27, exec_lo
	s_wait_loadcnt 0x0
	v_add_nc_u64_e32 v[6:7], v[6:7], v[64:65]
	scratch_store_b64 off, v[6:7], s33 offset:204 ; 8-byte Folded Spill
	s_wait_xcnt 0x0
	v_cmpx_lt_u64_e64 v[2:3], v[6:7]
	s_cbranch_execz .LBB6_111
; %bb.103:                              ;   in Loop: Header=BB6_49 Depth=1
	s_mov_b32 s28, 0
	s_mov_b32 s41, 0
                                        ; implicit-def: $sgpr29
                                        ; implicit-def: $sgpr40
	s_branch .LBB6_105
.LBB6_104:                              ;   in Loop: Header=BB6_105 Depth=2
	s_wait_xcnt 0x0
	s_or_b32 exec_lo, exec_lo, s43
	s_delay_alu instid0(SALU_CYCLE_1) | instskip(NEXT) | instid1(SALU_CYCLE_1)
	s_and_b32 s42, exec_lo, s44
	s_or_b32 s28, s42, s28
	s_and_not1_b32 s29, s29, exec_lo
	s_and_b32 s42, s40, exec_lo
	s_delay_alu instid0(SALU_CYCLE_1)
	s_or_b32 s29, s29, s42
	s_and_not1_b32 exec_lo, exec_lo, s28
	s_cbranch_execz .LBB6_109
.LBB6_105:                              ;   Parent Loop BB6_49 Depth=1
                                        ; =>  This Inner Loop Header: Depth=2
	s_add_co_i32 s41, s41, 1
	s_delay_alu instid0(SALU_CYCLE_1) | instskip(SKIP_1) | instid1(SALU_CYCLE_1)
	s_cmp_lg_u32 s41, 0x2710
	s_cselect_b32 s42, -1, 0
	s_and_b32 vcc_lo, exec_lo, s42
	s_cbranch_vccz .LBB6_107
; %bb.106:                              ;   in Loop: Header=BB6_105 Depth=2
	s_mov_b32 s44, -1
	s_or_b32 s40, s40, exec_lo
	s_and_saveexec_b32 s43, s42
	s_cbranch_execz .LBB6_104
	s_branch .LBB6_108
.LBB6_107:                              ;   in Loop: Header=BB6_105 Depth=2
	s_trap 2
	ds_load_b64 v[2:3], v0
	s_and_not1_b32 s42, s42, exec_lo
	s_mov_b32 s41, 0
	s_wait_storecnt_dscnt 0x0
	flat_load_b32 v1, v[2:3] scope:SCOPE_SYS
	s_wait_loadcnt_dscnt 0x0
	global_inv scope:SCOPE_SYS
	v_cmp_eq_u32_e32 vcc_lo, 0, v1
	s_and_b32 s43, vcc_lo, exec_lo
	s_delay_alu instid0(SALU_CYCLE_1)
	s_or_b32 s42, s42, s43
	s_mov_b32 s44, -1
	s_or_b32 s40, s40, exec_lo
	s_wait_xcnt 0x0
	s_and_saveexec_b32 s43, s42
	s_cbranch_execz .LBB6_104
.LBB6_108:                              ;   in Loop: Header=BB6_105 Depth=2
	s_sleep 1
	s_trap 2
	ds_load_b64 v[2:3], v0
	s_wait_dscnt 0x0
	scratch_load_b64 v[6:7], off, s33 offset:204 ; 8-byte Folded Reload
	s_and_not1_b32 s40, s40, exec_lo
	s_wait_loadcnt 0x0
	v_cmp_ge_u64_e32 vcc_lo, v[2:3], v[6:7]
	s_or_not1_b32 s44, vcc_lo, exec_lo
	s_branch .LBB6_104
.LBB6_109:                              ;   in Loop: Header=BB6_49 Depth=1
	s_or_b32 exec_lo, exec_lo, s28
	s_and_saveexec_b32 s28, s29
	s_delay_alu instid0(SALU_CYCLE_1)
	s_xor_b32 s28, exec_lo, s28
	s_cbranch_execz .LBB6_111
; %bb.110:                              ;   in Loop: Header=BB6_49 Depth=1
	ds_store_b32 v0, v5
	s_trap 2
.LBB6_111:                              ;   in Loop: Header=BB6_49 Depth=1
	s_or_b32 exec_lo, exec_lo, s27
	;;#ASMSTART
	s_wakeup
	;;#ASMEND
.LBB6_112:                              ;   in Loop: Header=BB6_49 Depth=1
	s_or_b32 exec_lo, exec_lo, s12
.LBB6_113:                              ;   in Loop: Header=BB6_49 Depth=1
	s_and_not1_saveexec_b32 s11, s11
	s_cbranch_execz .LBB6_115
; %bb.114:                              ;   in Loop: Header=BB6_49 Depth=1
	global_wb scope:SCOPE_DEV
	s_wait_storecnt 0x0
	s_wait_loadcnt_dscnt 0x0
	global_inv scope:SCOPE_DEV
	s_barrier_signal -1
	s_barrier_wait -1
.LBB6_115:                              ;   in Loop: Header=BB6_49 Depth=1
	s_or_b32 exec_lo, exec_lo, s11
.LBB6_116:                              ;   in Loop: Header=BB6_49 Depth=1
	s_delay_alu instid0(SALU_CYCLE_1)
	s_or_b32 exec_lo, exec_lo, s10
	s_trap 2
	s_wait_dscnt 0x0
	ds_load_b64 v[98:99], v0
	s_wait_dscnt 0x0
	v_cmp_eq_u64_e32 vcc_lo, 0, v[98:99]
	s_cbranch_vccnz .LBB6_124
; %bb.117:                              ;   in Loop: Header=BB6_49 Depth=1
	s_trap 2
	ds_load_b64 v[52:53], v0
	s_wait_dscnt 0x0
	v_cmp_eq_u64_e32 vcc_lo, 0, v[52:53]
	s_cbranch_vccnz .LBB6_124
; %bb.118:                              ;   in Loop: Header=BB6_49 Depth=1
	s_mov_b32 s10, -1
	s_and_saveexec_b32 s11, s5
	s_cbranch_execz .LBB6_120
; %bb.119:                              ;   in Loop: Header=BB6_49 Depth=1
	ds_load_b32 v1, v0 offset:720
	s_wait_dscnt 0x0
	v_and_b32_e32 v1, 15, v1
	s_delay_alu instid0(VALU_DEP_1)
	v_cmp_eq_u32_e32 vcc_lo, 0, v1
	s_or_not1_b32 s10, vcc_lo, exec_lo
.LBB6_120:                              ;   in Loop: Header=BB6_49 Depth=1
	s_or_b32 exec_lo, exec_lo, s11
	s_and_saveexec_b32 s11, s6
	s_cbranch_execz .LBB6_122
; %bb.121:                              ;   in Loop: Header=BB6_49 Depth=1
	ds_load_b32 v1, v0 offset:784
	s_wait_dscnt 0x0
	v_and_b32_e32 v1, 15, v1
	s_delay_alu instid0(VALU_DEP_1) | instskip(SKIP_3) | instid1(SALU_CYCLE_1)
	v_cmp_eq_u32_e32 vcc_lo, 0, v1
	s_and_b32 s12, s10, vcc_lo
	s_and_not1_b32 s10, s10, exec_lo
	s_and_b32 s12, s12, exec_lo
	s_or_b32 s10, s10, s12
.LBB6_122:                              ;   in Loop: Header=BB6_49 Depth=1
	s_or_b32 exec_lo, exec_lo, s11
	scratch_load_b32 v20, off, s33 offset:408 ; 4-byte Folded Reload
	v_cmp_eq_u32_e32 vcc_lo, 0, v0
	s_xor_b32 s10, s10, -1
	scratch_store_b32 off, v4, s33 offset:396 ; 4-byte Folded Spill
	v_cndmask_b32_e64 v1, 0, 1, s10
	v_dual_mov_b32 v2, 0 :: v_dual_cndmask_b32 v87, 0, v96
	s_mov_b32 s10, -1
	s_delay_alu instid0(VALU_DEP_2) | instskip(NEXT) | instid1(VALU_DEP_2)
	v_cmp_ne_u32_e32 vcc_lo, 0, v1
	v_mov_b32_e32 v3, v87
	s_cbranch_vccz .LBB6_125
; %bb.123:                              ;   in Loop: Header=BB6_49 Depth=1
	s_wait_xcnt 0x0
	s_and_saveexec_b32 s12, s10
	s_cbranch_execz .LBB6_17927
; %bb.17959:                            ;   in Loop: Header=BB6_49 Depth=1
	s_add_pc_i64 .LBB6_4512-.Lpost_addpc20
.Lpost_addpc20:
.LBB6_17927:                            ;   in Loop: Header=BB6_49 Depth=1
	s_add_pc_i64 .LBB6_6640-.Lpost_addpc4
.Lpost_addpc4:
.LBB6_124:                              ;   in Loop: Header=BB6_49 Depth=1
	s_mov_b32 s10, 0
	s_and_saveexec_b32 s11, s2
	s_cbranch_execz .LBB6_17929
; %bb.17961:                            ;   in Loop: Header=BB6_49 Depth=1
	s_add_pc_i64 .LBB6_6641-.Lpost_addpc21
.Lpost_addpc21:
.LBB6_17929:                            ;   in Loop: Header=BB6_49 Depth=1
	s_add_pc_i64 .LBB6_6659-.Lpost_addpc5
.Lpost_addpc5:
.LBB6_125:                              ;   in Loop: Header=BB6_49 Depth=1
	scratch_load_b32 v1, off, s33 offset:212 ; 4-byte Folded Reload
	v_lshrrev_b32_e32 v0, 11, v87
	s_mov_b32 s11, exec_lo
	s_wait_loadcnt 0x0
	s_delay_alu instid0(VALU_DEP_1) | instskip(SKIP_1) | instid1(VALU_DEP_1)
	v_sub_nc_u32_e32 v97, v0, v1
	s_wait_xcnt 0x0
	v_cmpx_lt_i32_e32 0, v97
	s_cbranch_execz .LBB6_3625
; %bb.126:                              ;   in Loop: Header=BB6_49 Depth=1
	s_trap 2
	scratch_load_b64 v[2:3], off, s33 offset:232 ; 8-byte Folded Reload
	ds_load_b64 v[0:1], v0
	scratch_store_b64 off, v[52:53], s33 offset:216 ; 8-byte Folded Spill
	s_wait_dscnt 0x0
	v_readfirstlane_b32 s28, v0
	v_readfirstlane_b32 s29, v1
	s_and_b32 s10, s28, 7
	s_and_b32 s12, s28, 0x7f
	s_clz_i32_u32 s10, s10
	s_bfe_u32 s27, s28, 0x40003
	s_min_u32 s10, s10, 32
	s_delay_alu instid0(SALU_CYCLE_1)
	s_sub_co_i32 s40, s10, 28
	s_sub_co_i32 s10, 29, s10
	s_cmp_lt_u32 s12, 8
	s_cselect_b32 s10, s10, s27
	s_cselect_b32 s27, s40, 0
	s_lshl_b32 s42, s28, 24
	s_lshl_b64 s[40:41], s[28:29], s27
	s_and_b32 s27, s42, 0x80000000
	s_lshl_b32 s29, s40, 20
	s_lshl_b32 s10, s10, 23
	s_and_b32 s29, s29, 0x700000
	s_add_co_i32 s10, s10, 0x3c000000
	s_or_b32 s27, s29, s27
	s_delay_alu instid0(SALU_CYCLE_1) | instskip(SKIP_4) | instid1(SALU_CYCLE_1)
	s_or_b32 s10, s10, s27
	s_cmp_lg_u32 s12, 0x7f
	s_mov_b32 s27, 0
	s_cselect_b32 s12, s10, 0x7f800001
	s_and_b32 s28, s28, 0xff
	s_and_b32 s29, 0xffff, s28
	s_wait_loadcnt 0x0
	v_add_nc_u64_e32 v[102:103], v[98:99], v[2:3]
	v_add_nc_u64_e32 v[112:113], v[52:53], v[2:3]
	;; [unrolled: 1-line block ×3, first 2 shown]
	s_branch .LBB6_128
.LBB6_127:                              ;   in Loop: Header=BB6_128 Depth=2
	s_or_b32 exec_lo, exec_lo, s10
	v_lshl_or_b32 v11, v30, 8, v28
	v_dual_lshlrev_b32 v12, 16, v20 :: v_dual_lshlrev_b32 v13, 24, v21
	v_lshl_or_b32 v0, v0, 8, v52
	v_dual_lshlrev_b32 v1, 16, v1 :: v_dual_lshlrev_b32 v24, 24, v24
	v_lshl_or_b32 v8, v9, 8, v8
	v_lshlrev_b32_e32 v9, 16, v22
	v_or3_b32 v21, v11, v12, v13
	v_lshlrev_b32_e32 v11, 24, v23
	v_lshl_or_b32 v12, v39, 8, v31
	v_dual_lshlrev_b32 v13, 16, v50 :: v_dual_lshlrev_b32 v15, 24, v51
	v_dual_lshlrev_b32 v19, 24, v19 :: v_dual_lshlrev_b32 v18, 16, v18
	v_lshl_or_b32 v2, v53, 8, v2
	v_dual_lshlrev_b32 v28, 16, v27 :: v_dual_lshlrev_b32 v30, 24, v37
	v_or3_b32 v27, v0, v1, v24
	v_lshl_or_b32 v0, v5, 8, v4
	v_dual_lshlrev_b32 v4, 24, v7 :: v_dual_lshlrev_b32 v5, 16, v6
	v_lshl_or_b32 v6, v38, 8, v34
	v_lshl_or_b32 v26, v26, 8, v36
	v_or3_b32 v20, v8, v9, v11
	v_or3_b32 v22, v12, v13, v15
	;; [unrolled: 1-line block ×3, first 2 shown]
	v_dual_lshlrev_b32 v1, 16, v25 :: v_dual_lshlrev_b32 v2, 24, v35
	v_lshl_or_b32 v7, v89, 8, v79
	v_dual_lshlrev_b32 v8, 16, v118 :: v_dual_lshlrev_b32 v9, 24, v119
	v_lshl_or_b32 v11, v56, 8, v46
	v_lshlrev_b32_e32 v12, 16, v59
	v_lshlrev_b32_e32 v13, 24, v63
	v_lshl_or_b32 v15, v108, 8, v29
	v_lshlrev_b32_e32 v18, 16, v111
	v_lshlrev_b32_e32 v19, 24, v123
	v_or3_b32 v29, v6, v5, v4
	v_dual_lshlrev_b32 v4, 24, v117 :: v_dual_lshlrev_b32 v5, 16, v116
	v_lshl_or_b32 v6, v66, 8, v124
	v_or3_b32 v26, v26, v28, v30
	v_or3_b32 v28, v0, v1, v2
	v_or3_b32 v1, v7, v8, v9
	v_or3_b32 v0, v11, v12, v13
	v_lshl_or_b32 v7, v41, 8, v3
	v_dual_lshlrev_b32 v8, 16, v16 :: v_dual_lshlrev_b32 v9, 24, v17
	v_or3_b32 v2, v15, v18, v19
	v_lshl_or_b32 v11, v100, 8, v67
	v_dual_lshlrev_b32 v12, 16, v101 :: v_dual_lshlrev_b32 v13, 24, v40
	v_lshl_or_b32 v15, v43, 8, v42
	v_dual_lshlrev_b32 v16, 16, v44 :: v_dual_lshlrev_b32 v17, 24, v57
	v_dual_lshlrev_b32 v10, 24, v10 :: v_dual_sub_nc_u32 v97, v97, v64
	v_lshlrev_b32_e32 v14, 16, v14
	v_lshl_or_b32 v18, v58, 8, v47
	v_or3_b32 v3, v6, v5, v4
	v_or3_b32 v5, v7, v8, v9
	;; [unrolled: 1-line block ×5, first 2 shown]
	s_clause 0x3
	global_store_b128 v[112:113], v[0:3], off th:TH_STORE_NT
	global_store_b128 v[112:113], v[26:29], off offset:512 th:TH_STORE_NT
	global_store_b128 v[112:113], v[20:23], off offset:1024 th:TH_STORE_NT
	;; [unrolled: 1-line block ×3, first 2 shown]
	v_add_nc_u64_e32 v[102:103], v[102:103], v[68:69]
	v_add_nc_u64_e32 v[114:115], v[114:115], v[68:69]
	v_cmp_gt_i32_e32 vcc_lo, 1, v97
	s_wait_xcnt 0x0
	v_add_nc_u64_e32 v[112:113], v[112:113], v[68:69]
	s_or_b32 s27, vcc_lo, s27
	s_delay_alu instid0(SALU_CYCLE_1)
	s_and_not1_b32 exec_lo, exec_lo, s27
	s_cbranch_execz .LBB6_3624
.LBB6_128:                              ;   Parent Loop BB6_49 Depth=1
                                        ; =>  This Inner Loop Header: Depth=2
	s_cmp_lt_i32 s28, 0x80
	s_cbranch_scc1 .LBB6_132
; %bb.129:                              ;   in Loop: Header=BB6_128 Depth=2
	s_cmp_eq_u32 s29, 0x80
	s_mov_b32 s10, -1
	s_cbranch_scc0 .LBB6_131
; %bb.130:                              ;   in Loop: Header=BB6_128 Depth=2
	s_mov_b32 s10, 0
.LBB6_131:                              ;   in Loop: Header=BB6_128 Depth=2
	s_brev_b32 s40, 1
	s_branch .LBB6_134
.LBB6_132:                              ;   in Loop: Header=BB6_128 Depth=2
	s_mov_b32 s10, 0
	s_brev_b32 s40, 1
	s_cbranch_execz .LBB6_134
; %bb.133:                              ;   in Loop: Header=BB6_128 Depth=2
	s_cmp_lg_u32 s29, 0
	s_mov_b32 s40, 0
	s_cselect_b32 s10, -1, 0
.LBB6_134:                              ;   in Loop: Header=BB6_128 Depth=2
	s_delay_alu instid0(SALU_CYCLE_1)
	s_and_not1_b32 vcc_lo, exec_lo, s10
	s_cbranch_vccnz .LBB6_136
; %bb.135:                              ;   in Loop: Header=BB6_128 Depth=2
	s_mov_b32 s40, s12
.LBB6_136:                              ;   in Loop: Header=BB6_128 Depth=2
	global_load_b128 v[10:13], v[102:103], off th:TH_LOAD_NT
	v_mov_b32_e32 v0, 0
	s_mov_b32 s10, exec_lo
	s_wait_loadcnt 0x0
	v_and_b32_e32 v1, 0xff, v10
	s_wait_xcnt 0x0
	s_delay_alu instid0(VALU_DEP_1)
	v_cmpx_ne_u16_e32 0, v1
	s_cbranch_execz .LBB6_142
; %bb.137:                              ;   in Loop: Header=BB6_128 Depth=2
	v_bfrev_b32_e32 v0, 1
	s_mov_b32 s41, exec_lo
	v_cmpx_ne_u16_e32 0x80, v1
	s_cbranch_execz .LBB6_141
; %bb.138:                              ;   in Loop: Header=BB6_128 Depth=2
	v_and_b32_e32 v1, 0x7f, v10
	v_mov_b32_e32 v0, 0x7f800001
	s_mov_b32 s42, exec_lo
	s_delay_alu instid0(VALU_DEP_2)
	v_cmpx_ne_u32_e32 0x7f, v1
	s_cbranch_execz .LBB6_140
; %bb.139:                              ;   in Loop: Header=BB6_128 Depth=2
	v_dual_lshrrev_b32 v2, 3, v1 :: v_dual_bitop2_b32 v0, 7, v10 bitop3:0x40
	v_cmp_gt_u32_e32 vcc_lo, 8, v1
	s_delay_alu instid0(VALU_DEP_2) | instskip(NEXT) | instid1(VALU_DEP_1)
	v_clz_i32_u32_e32 v0, v0
	v_min_u32_e32 v0, 32, v0
	s_delay_alu instid0(VALU_DEP_1) | instskip(SKIP_1) | instid1(VALU_DEP_1)
	v_subrev_nc_u32_e32 v3, 28, v0
	v_sub_nc_u32_e32 v0, 29, v0
	v_dual_cndmask_b32 v2, v2, v0, vcc_lo :: v_dual_cndmask_b32 v0, 0, v3, vcc_lo
	s_delay_alu instid0(VALU_DEP_1) | instskip(NEXT) | instid1(VALU_DEP_2)
	v_lshl_add_u32 v2, v2, 23, 0x3c000000
	v_lshlrev_b64_e32 v[0:1], v0, v[10:11]
	v_lshlrev_b32_e32 v1, 24, v10
	s_delay_alu instid0(VALU_DEP_1) | instskip(NEXT) | instid1(VALU_DEP_3)
	v_and_b32_e32 v1, 0x80000000, v1
	v_lshlrev_b32_e32 v0, 20, v0
	s_delay_alu instid0(VALU_DEP_1) | instskip(NEXT) | instid1(VALU_DEP_1)
	v_and_b32_e32 v0, 0x700000, v0
	v_or3_b32 v0, v0, v1, v2
.LBB6_140:                              ;   in Loop: Header=BB6_128 Depth=2
	s_or_b32 exec_lo, exec_lo, s42
.LBB6_141:                              ;   in Loop: Header=BB6_128 Depth=2
	s_delay_alu instid0(SALU_CYCLE_1)
	s_or_b32 exec_lo, exec_lo, s41
.LBB6_142:                              ;   in Loop: Header=BB6_128 Depth=2
	s_delay_alu instid0(SALU_CYCLE_1) | instskip(NEXT) | instid1(VALU_DEP_1)
	s_or_b32 exec_lo, exec_lo, s10
	v_mul_f32_e32 v1, s40, v0
                                        ; implicit-def: $vgpr116
	s_mov_b32 s10, exec_lo
	s_delay_alu instid0(VALU_DEP_1) | instskip(SKIP_1) | instid1(VALU_DEP_2)
	v_and_b32_e32 v54, 0x7f800000, v1
	v_lshrrev_b32_e32 v0, 24, v1
	v_cmpx_ne_u64_e32 0x7f800000, v[54:55]
	s_xor_b32 s41, exec_lo, s10
	s_cbranch_execz .LBB6_156
; %bb.143:                              ;   in Loop: Header=BB6_128 Depth=2
	v_and_b32_e32 v54, 0x7fffffff, v1
	v_and_b32_e32 v0, 0x80, v0
                                        ; implicit-def: $vgpr116
	s_mov_b32 s10, exec_lo
	s_delay_alu instid0(VALU_DEP_2)
	v_cmpx_gt_u64_e32 0x43e00001, v[54:55]
	s_xor_b32 s42, exec_lo, s10
	s_cbranch_execz .LBB6_153
; %bb.144:                              ;   in Loop: Header=BB6_128 Depth=2
	v_mov_b32_e32 v116, 0
	s_mov_b32 s43, exec_lo
	v_cmpx_ne_u32_e32 0, v1
	s_cbranch_execz .LBB6_152
; %bb.145:                              ;   in Loop: Header=BB6_128 Depth=2
	v_bfe_u32 v2, v1, 23, 8
	v_and_b32_e32 v1, 0x7fffff, v1
	s_mov_b32 s44, exec_lo
	s_delay_alu instid0(VALU_DEP_2) | instskip(NEXT) | instid1(VALU_DEP_2)
	v_cmp_gt_u32_e32 vcc_lo, 0x7a, v2
	v_or_b32_e32 v6, 0x800000, v1
	v_sub_nc_u32_e32 v3, 0x79, v2
	s_delay_alu instid0(VALU_DEP_1) | instskip(SKIP_1) | instid1(VALU_DEP_2)
	v_cndmask_b32_e32 v3, 0, v3, vcc_lo
	v_cmp_eq_u32_e32 vcc_lo, 0, v2
	v_cndmask_b32_e64 v3, v3, 0x78, vcc_lo
	s_delay_alu instid0(VALU_DEP_1) | instskip(SKIP_1) | instid1(VALU_DEP_2)
	v_dual_cndmask_b32 v54, v6, v1, vcc_lo :: v_dual_add_nc_u32 v4, 20, v3
	v_add_nc_u32_e32 v7, 19, v3
	v_lshrrev_b64 v[14:15], v3, v[54:55]
	s_delay_alu instid0(VALU_DEP_3) | instskip(NEXT) | instid1(VALU_DEP_3)
	v_lshlrev_b64_e64 v[4:5], v4, -1
	v_lshlrev_b64_e64 v[6:7], v7, 1
	s_delay_alu instid0(VALU_DEP_3) | instskip(NEXT) | instid1(VALU_DEP_3)
	v_mov_b64_e32 v[16:17], v[14:15]
	v_bfi_b32 v5, v5, 0, 0
	s_delay_alu instid0(VALU_DEP_4) | instskip(NEXT) | instid1(VALU_DEP_1)
	v_bfi_b32 v4, v4, 0, v54
	v_cmpx_eq_u64_e64 v[4:5], v[6:7]
; %bb.146:                              ;   in Loop: Header=BB6_128 Depth=2
	v_bfe_u32 v54, v14, 20, 1
	s_delay_alu instid0(VALU_DEP_1) | instskip(NEXT) | instid1(VALU_DEP_1)
	v_add_nc_u64_e32 v[4:5], v[14:15], v[54:55]
	v_add_nc_u64_e32 v[16:17], -1, v[4:5]
; %bb.147:                              ;   in Loop: Header=BB6_128 Depth=2
	s_or_b32 exec_lo, exec_lo, s44
	v_add_nc_u32_e32 v1, 0xffffff81, v2
	v_lshrrev_b32_e32 v2, 23, v14
	s_mov_b32 s10, exec_lo
	s_delay_alu instid0(VALU_DEP_2) | instskip(NEXT) | instid1(VALU_DEP_1)
	v_cndmask_b32_e64 v1, v1, 0xffffff82, vcc_lo
	v_add3_u32 v2, v3, v1, v2
	v_and_b32_e32 v1, 0xfffff, v16
	s_delay_alu instid0(VALU_DEP_2) | instskip(NEXT) | instid1(VALU_DEP_2)
	v_add_nc_u32_e32 v3, 6, v2
	v_add_nc_u32_e32 v54, v1, v14
                                        ; implicit-def: $vgpr14_vgpr15
                                        ; implicit-def: $vgpr1
	s_delay_alu instid0(VALU_DEP_2)
	v_cmpx_ne_u32_e32 0, v3
	s_xor_b32 s10, exec_lo, s10
; %bb.148:                              ;   in Loop: Header=BB6_128 Depth=2
	s_delay_alu instid0(VALU_DEP_2) | instskip(SKIP_2) | instid1(VALU_DEP_2)
	v_cmp_lt_u64_e32 vcc_lo, 0xffffff, v[54:55]
	v_add_nc_u32_e32 v1, 7, v2
	v_cndmask_b32_e64 v2, 0, 1, vcc_lo
	v_cndmask_b32_e32 v1, v3, v1, vcc_lo
	s_delay_alu instid0(VALU_DEP_2)
	v_lshrrev_b64 v[14:15], v2, v[54:55]
; %bb.149:                              ;   in Loop: Header=BB6_128 Depth=2
	s_and_not1_saveexec_b32 s10, s10
; %bb.150:                              ;   in Loop: Header=BB6_128 Depth=2
	v_mov_b64_e32 v[14:15], v[54:55]
	v_bfe_u32 v1, v54, 23, 1
; %bb.151:                              ;   in Loop: Header=BB6_128 Depth=2
	s_or_b32 exec_lo, exec_lo, s10
	s_delay_alu instid0(VALU_DEP_2) | instskip(NEXT) | instid1(VALU_DEP_2)
	v_lshrrev_b64 v[2:3], 20, v[14:15]
	v_cmp_gt_i32_e32 vcc_lo, 16, v1
	v_min_i32_e32 v4, 15, v1
	v_cmp_eq_u32_e64 s10, 0, v1
	s_delay_alu instid0(VALU_DEP_2) | instskip(SKIP_1) | instid1(VALU_DEP_2)
	v_dual_cndmask_b32 v3, 0, v3 :: v_dual_lshlrev_b32 v4, 3, v4
	v_cndmask_b32_e32 v2, 7, v2, vcc_lo
	v_and_b32_e32 v4, 0xf8, v4
	s_delay_alu instid0(VALU_DEP_2) | instskip(NEXT) | instid1(VALU_DEP_2)
	v_cmp_eq_u64_e32 vcc_lo, 0, v[2:3]
	v_and_or_b32 v1, v2, 7, v4
	s_and_b32 s10, s10, vcc_lo
	s_delay_alu instid0(VALU_DEP_1) | instid1(SALU_CYCLE_1)
	v_cndmask_b32_e64 v1, v1, 0, s10
	s_delay_alu instid0(VALU_DEP_1)
	v_or_b32_e32 v116, v1, v0
.LBB6_152:                              ;   in Loop: Header=BB6_128 Depth=2
	s_or_b32 exec_lo, exec_lo, s43
                                        ; implicit-def: $vgpr0
.LBB6_153:                              ;   in Loop: Header=BB6_128 Depth=2
	s_and_not1_saveexec_b32 s10, s42
; %bb.154:                              ;   in Loop: Header=BB6_128 Depth=2
	v_or_b32_e32 v116, 0x7e, v0
; %bb.155:                              ;   in Loop: Header=BB6_128 Depth=2
	s_or_b32 exec_lo, exec_lo, s10
                                        ; implicit-def: $vgpr0
.LBB6_156:                              ;   in Loop: Header=BB6_128 Depth=2
	s_and_not1_saveexec_b32 s10, s41
; %bb.157:                              ;   in Loop: Header=BB6_128 Depth=2
	v_or_b32_e32 v116, 0x7f, v0
; %bb.158:                              ;   in Loop: Header=BB6_128 Depth=2
	s_or_b32 exec_lo, exec_lo, s10
	v_lshrrev_b16 v1, 8, v10
	v_mov_b32_e32 v0, 0
	s_mov_b32 s10, exec_lo
	s_delay_alu instid0(VALU_DEP_2)
	v_cmpx_ne_u16_e32 0, v1
	s_cbranch_execz .LBB6_166
; %bb.159:                              ;   in Loop: Header=BB6_128 Depth=2
	v_bfrev_b32_e32 v0, 1
	s_mov_b32 s41, exec_lo
	v_cmpx_ne_u16_e32 0x80, v1
	s_cbranch_execz .LBB6_165
; %bb.160:                              ;   in Loop: Header=BB6_128 Depth=2
	v_and_b32_e32 v2, 0xffff, v1
	v_mov_b32_e32 v0, 0x7f800001
	s_mov_b32 s42, exec_lo
	s_delay_alu instid0(VALU_DEP_2) | instskip(NEXT) | instid1(VALU_DEP_1)
	v_and_b32_e32 v1, 0x7f, v2
	v_cmpx_ne_u32_e32 0x7f, v1
	s_cbranch_execz .LBB6_164
; %bb.161:                              ;   in Loop: Header=BB6_128 Depth=2
	v_dual_lshrrev_b32 v0, 3, v1 :: v_dual_bitop2_b32 v54, 7, v2 bitop3:0x40
	s_mov_b32 s43, exec_lo
	v_cmpx_gt_u32_e32 8, v1
; %bb.162:                              ;   in Loop: Header=BB6_128 Depth=2
	s_delay_alu instid0(VALU_DEP_2) | instskip(NEXT) | instid1(VALU_DEP_1)
	v_clz_i32_u32_e32 v0, v54
	v_min_u32_e32 v0, 32, v0
	s_delay_alu instid0(VALU_DEP_1) | instskip(NEXT) | instid1(VALU_DEP_1)
	v_subrev_nc_u32_e32 v1, 28, v0
	v_lshlrev_b64_e32 v[2:3], v1, v[54:55]
	s_delay_alu instid0(VALU_DEP_1)
	v_dual_sub_nc_u32 v0, 29, v0 :: v_dual_bitop2_b32 v54, 7, v2 bitop3:0x40
; %bb.163:                              ;   in Loop: Header=BB6_128 Depth=2
	s_or_b32 exec_lo, exec_lo, s43
	v_lshlrev_b32_e32 v1, 16, v10
	s_delay_alu instid0(VALU_DEP_2) | instskip(NEXT) | instid1(VALU_DEP_3)
	v_lshlrev_b32_e32 v2, 20, v54
	v_lshl_add_u32 v0, v0, 23, 0x3c000000
	s_delay_alu instid0(VALU_DEP_3) | instskip(NEXT) | instid1(VALU_DEP_1)
	v_and_b32_e32 v1, 0x80000000, v1
	v_or3_b32 v0, v2, v1, v0
.LBB6_164:                              ;   in Loop: Header=BB6_128 Depth=2
	s_or_b32 exec_lo, exec_lo, s42
.LBB6_165:                              ;   in Loop: Header=BB6_128 Depth=2
	s_delay_alu instid0(SALU_CYCLE_1)
	s_or_b32 exec_lo, exec_lo, s41
.LBB6_166:                              ;   in Loop: Header=BB6_128 Depth=2
	s_delay_alu instid0(SALU_CYCLE_1) | instskip(NEXT) | instid1(VALU_DEP_1)
	s_or_b32 exec_lo, exec_lo, s10
	v_mul_f32_e32 v2, s40, v0
                                        ; implicit-def: $vgpr1
	s_mov_b32 s10, exec_lo
	s_delay_alu instid0(VALU_DEP_1) | instskip(SKIP_1) | instid1(VALU_DEP_2)
	v_and_b32_e32 v54, 0x7f800000, v2
	v_lshrrev_b32_e32 v0, 24, v2
	v_cmpx_ne_u64_e32 0x7f800000, v[54:55]
	s_xor_b32 s41, exec_lo, s10
	s_cbranch_execz .LBB6_180
; %bb.167:                              ;   in Loop: Header=BB6_128 Depth=2
	v_and_b32_e32 v54, 0x7fffffff, v2
	v_and_b32_e32 v0, 0x80, v0
                                        ; implicit-def: $vgpr1
	s_mov_b32 s10, exec_lo
	s_delay_alu instid0(VALU_DEP_2)
	v_cmpx_gt_u64_e32 0x43e00001, v[54:55]
	s_xor_b32 s42, exec_lo, s10
	s_cbranch_execz .LBB6_177
; %bb.168:                              ;   in Loop: Header=BB6_128 Depth=2
	v_mov_b32_e32 v1, 0
	s_mov_b32 s43, exec_lo
	v_cmpx_ne_u32_e32 0, v2
	s_cbranch_execz .LBB6_176
; %bb.169:                              ;   in Loop: Header=BB6_128 Depth=2
	v_bfe_u32 v1, v2, 23, 8
	v_and_b32_e32 v2, 0x7fffff, v2
	s_mov_b32 s44, exec_lo
	s_delay_alu instid0(VALU_DEP_2) | instskip(NEXT) | instid1(VALU_DEP_2)
	v_cmp_gt_u32_e32 vcc_lo, 0x7a, v1
	v_or_b32_e32 v6, 0x800000, v2
	v_sub_nc_u32_e32 v3, 0x79, v1
	s_delay_alu instid0(VALU_DEP_1) | instskip(SKIP_1) | instid1(VALU_DEP_2)
	v_cndmask_b32_e32 v3, 0, v3, vcc_lo
	v_cmp_eq_u32_e32 vcc_lo, 0, v1
	v_cndmask_b32_e64 v3, v3, 0x78, vcc_lo
	s_delay_alu instid0(VALU_DEP_1) | instskip(SKIP_1) | instid1(VALU_DEP_2)
	v_dual_cndmask_b32 v54, v6, v2, vcc_lo :: v_dual_add_nc_u32 v4, 20, v3
	v_add_nc_u32_e32 v7, 19, v3
	v_lshrrev_b64 v[14:15], v3, v[54:55]
	s_delay_alu instid0(VALU_DEP_3) | instskip(NEXT) | instid1(VALU_DEP_3)
	v_lshlrev_b64_e64 v[4:5], v4, -1
	v_lshlrev_b64_e64 v[6:7], v7, 1
	s_delay_alu instid0(VALU_DEP_3) | instskip(NEXT) | instid1(VALU_DEP_3)
	v_mov_b64_e32 v[16:17], v[14:15]
	v_bfi_b32 v5, v5, 0, 0
	s_delay_alu instid0(VALU_DEP_4) | instskip(NEXT) | instid1(VALU_DEP_1)
	v_bfi_b32 v4, v4, 0, v54
	v_cmpx_eq_u64_e64 v[4:5], v[6:7]
; %bb.170:                              ;   in Loop: Header=BB6_128 Depth=2
	v_bfe_u32 v54, v14, 20, 1
	s_delay_alu instid0(VALU_DEP_1) | instskip(NEXT) | instid1(VALU_DEP_1)
	v_add_nc_u64_e32 v[4:5], v[14:15], v[54:55]
	v_add_nc_u64_e32 v[16:17], -1, v[4:5]
; %bb.171:                              ;   in Loop: Header=BB6_128 Depth=2
	s_or_b32 exec_lo, exec_lo, s44
	v_add_nc_u32_e32 v1, 0xffffff81, v1
	v_lshrrev_b32_e32 v2, 23, v14
	s_mov_b32 s10, exec_lo
	s_delay_alu instid0(VALU_DEP_2) | instskip(NEXT) | instid1(VALU_DEP_1)
	v_cndmask_b32_e64 v1, v1, 0xffffff82, vcc_lo
	v_add3_u32 v2, v3, v1, v2
	v_and_b32_e32 v1, 0xfffff, v16
	s_delay_alu instid0(VALU_DEP_2) | instskip(NEXT) | instid1(VALU_DEP_2)
	v_add_nc_u32_e32 v3, 6, v2
	v_add_nc_u32_e32 v54, v1, v14
                                        ; implicit-def: $vgpr14_vgpr15
                                        ; implicit-def: $vgpr1
	s_delay_alu instid0(VALU_DEP_2)
	v_cmpx_ne_u32_e32 0, v3
	s_xor_b32 s10, exec_lo, s10
; %bb.172:                              ;   in Loop: Header=BB6_128 Depth=2
	s_delay_alu instid0(VALU_DEP_2) | instskip(SKIP_2) | instid1(VALU_DEP_2)
	v_cmp_lt_u64_e32 vcc_lo, 0xffffff, v[54:55]
	v_add_nc_u32_e32 v1, 7, v2
	v_cndmask_b32_e64 v2, 0, 1, vcc_lo
	v_cndmask_b32_e32 v1, v3, v1, vcc_lo
	s_delay_alu instid0(VALU_DEP_2)
	v_lshrrev_b64 v[14:15], v2, v[54:55]
; %bb.173:                              ;   in Loop: Header=BB6_128 Depth=2
	s_and_not1_saveexec_b32 s10, s10
; %bb.174:                              ;   in Loop: Header=BB6_128 Depth=2
	v_mov_b64_e32 v[14:15], v[54:55]
	v_bfe_u32 v1, v54, 23, 1
; %bb.175:                              ;   in Loop: Header=BB6_128 Depth=2
	s_or_b32 exec_lo, exec_lo, s10
	s_delay_alu instid0(VALU_DEP_2) | instskip(NEXT) | instid1(VALU_DEP_2)
	v_lshrrev_b64 v[2:3], 20, v[14:15]
	v_cmp_gt_i32_e32 vcc_lo, 16, v1
	v_min_i32_e32 v4, 15, v1
	v_cmp_eq_u32_e64 s10, 0, v1
	s_delay_alu instid0(VALU_DEP_2) | instskip(SKIP_1) | instid1(VALU_DEP_2)
	v_dual_cndmask_b32 v3, 0, v3 :: v_dual_lshlrev_b32 v4, 3, v4
	v_cndmask_b32_e32 v2, 7, v2, vcc_lo
	v_and_b32_e32 v4, 0xf8, v4
	s_delay_alu instid0(VALU_DEP_2) | instskip(NEXT) | instid1(VALU_DEP_2)
	v_cmp_eq_u64_e32 vcc_lo, 0, v[2:3]
	v_and_or_b32 v1, v2, 7, v4
	s_and_b32 s10, s10, vcc_lo
	s_delay_alu instid0(VALU_DEP_1) | instid1(SALU_CYCLE_1)
	v_cndmask_b32_e64 v1, v1, 0, s10
	s_delay_alu instid0(VALU_DEP_1)
	v_or_b32_e32 v1, v1, v0
.LBB6_176:                              ;   in Loop: Header=BB6_128 Depth=2
	s_or_b32 exec_lo, exec_lo, s43
                                        ; implicit-def: $vgpr0
.LBB6_177:                              ;   in Loop: Header=BB6_128 Depth=2
	s_and_not1_saveexec_b32 s10, s42
; %bb.178:                              ;   in Loop: Header=BB6_128 Depth=2
	v_or_b32_e32 v1, 0x7e, v0
; %bb.179:                              ;   in Loop: Header=BB6_128 Depth=2
	s_or_b32 exec_lo, exec_lo, s10
                                        ; implicit-def: $vgpr0
.LBB6_180:                              ;   in Loop: Header=BB6_128 Depth=2
	s_and_not1_saveexec_b32 s10, s41
; %bb.181:                              ;   in Loop: Header=BB6_128 Depth=2
	v_or_b32_e32 v1, 0x7f, v0
; %bb.182:                              ;   in Loop: Header=BB6_128 Depth=2
	s_or_b32 exec_lo, exec_lo, s10
	v_dual_lshrrev_b32 v0, 16, v10 :: v_dual_mov_b32 v2, 0
	s_mov_b32 s10, exec_lo
	s_delay_alu instid0(VALU_DEP_1) | instskip(NEXT) | instid1(VALU_DEP_1)
	v_and_b32_e32 v3, 0xff, v0
	v_cmpx_ne_u16_e32 0, v3
	s_cbranch_execz .LBB6_190
; %bb.183:                              ;   in Loop: Header=BB6_128 Depth=2
	v_bfrev_b32_e32 v2, 1
	s_mov_b32 s41, exec_lo
	v_cmpx_ne_u16_e32 0x80, v3
	s_cbranch_execz .LBB6_189
; %bb.184:                              ;   in Loop: Header=BB6_128 Depth=2
	v_bfe_u32 v3, v10, 16, 7
	v_mov_b32_e32 v2, 0x7f800001
	s_mov_b32 s42, exec_lo
	s_delay_alu instid0(VALU_DEP_2)
	v_cmpx_ne_u32_e32 0x7f, v3
	s_cbranch_execz .LBB6_188
; %bb.185:                              ;   in Loop: Header=BB6_128 Depth=2
	v_dual_lshrrev_b32 v2, 3, v3 :: v_dual_bitop2_b32 v54, 7, v0 bitop3:0x40
	s_mov_b32 s43, exec_lo
	v_cmpx_gt_u32_e32 8, v3
; %bb.186:                              ;   in Loop: Header=BB6_128 Depth=2
	s_delay_alu instid0(VALU_DEP_2) | instskip(NEXT) | instid1(VALU_DEP_1)
	v_clz_i32_u32_e32 v2, v54
	v_min_u32_e32 v2, 32, v2
	s_delay_alu instid0(VALU_DEP_1) | instskip(NEXT) | instid1(VALU_DEP_1)
	v_subrev_nc_u32_e32 v3, 28, v2
	v_lshlrev_b64_e32 v[4:5], v3, v[54:55]
	s_delay_alu instid0(VALU_DEP_1)
	v_dual_sub_nc_u32 v2, 29, v2 :: v_dual_bitop2_b32 v54, 7, v4 bitop3:0x40
; %bb.187:                              ;   in Loop: Header=BB6_128 Depth=2
	s_or_b32 exec_lo, exec_lo, s43
	s_delay_alu instid0(VALU_DEP_1) | instskip(NEXT) | instid1(VALU_DEP_2)
	v_dual_lshlrev_b32 v0, 24, v0 :: v_dual_lshlrev_b32 v3, 20, v54
	v_lshl_add_u32 v2, v2, 23, 0x3c000000
	s_delay_alu instid0(VALU_DEP_2) | instskip(NEXT) | instid1(VALU_DEP_1)
	v_and_b32_e32 v0, 0x80000000, v0
	v_or3_b32 v2, v3, v0, v2
.LBB6_188:                              ;   in Loop: Header=BB6_128 Depth=2
	s_or_b32 exec_lo, exec_lo, s42
.LBB6_189:                              ;   in Loop: Header=BB6_128 Depth=2
	s_delay_alu instid0(SALU_CYCLE_1)
	s_or_b32 exec_lo, exec_lo, s41
.LBB6_190:                              ;   in Loop: Header=BB6_128 Depth=2
	s_delay_alu instid0(SALU_CYCLE_1) | instskip(NEXT) | instid1(VALU_DEP_1)
	s_or_b32 exec_lo, exec_lo, s10
	v_mul_f32_e32 v2, s40, v2
                                        ; implicit-def: $vgpr117
	s_mov_b32 s10, exec_lo
	s_delay_alu instid0(VALU_DEP_1) | instskip(SKIP_1) | instid1(VALU_DEP_2)
	v_and_b32_e32 v54, 0x7f800000, v2
	v_lshrrev_b32_e32 v0, 24, v2
	v_cmpx_ne_u64_e32 0x7f800000, v[54:55]
	s_xor_b32 s41, exec_lo, s10
	s_cbranch_execz .LBB6_204
; %bb.191:                              ;   in Loop: Header=BB6_128 Depth=2
	v_and_b32_e32 v54, 0x7fffffff, v2
	v_and_b32_e32 v0, 0x80, v0
                                        ; implicit-def: $vgpr117
	s_mov_b32 s10, exec_lo
	s_delay_alu instid0(VALU_DEP_2)
	v_cmpx_gt_u64_e32 0x43e00001, v[54:55]
	s_xor_b32 s42, exec_lo, s10
	s_cbranch_execz .LBB6_201
; %bb.192:                              ;   in Loop: Header=BB6_128 Depth=2
	v_mov_b32_e32 v117, 0
	s_mov_b32 s43, exec_lo
	v_cmpx_ne_u32_e32 0, v2
	s_cbranch_execz .LBB6_200
; %bb.193:                              ;   in Loop: Header=BB6_128 Depth=2
	v_bfe_u32 v3, v2, 23, 8
	v_and_b32_e32 v2, 0x7fffff, v2
	s_mov_b32 s44, exec_lo
	s_delay_alu instid0(VALU_DEP_2) | instskip(SKIP_1) | instid1(VALU_DEP_3)
	v_sub_nc_u32_e32 v4, 0x79, v3
	v_cmp_gt_u32_e32 vcc_lo, 0x7a, v3
	v_or_b32_e32 v8, 0x800000, v2
	s_delay_alu instid0(VALU_DEP_3) | instskip(SKIP_1) | instid1(VALU_DEP_3)
	v_cndmask_b32_e32 v4, 0, v4, vcc_lo
	v_cmp_eq_u32_e32 vcc_lo, 0, v3
	v_cndmask_b32_e32 v54, v8, v2, vcc_lo
	s_delay_alu instid0(VALU_DEP_3) | instskip(NEXT) | instid1(VALU_DEP_1)
	v_cndmask_b32_e64 v4, v4, 0x78, vcc_lo
	v_add_nc_u32_e32 v5, 20, v4
	s_delay_alu instid0(VALU_DEP_3) | instskip(NEXT) | instid1(VALU_DEP_2)
	v_lshrrev_b64 v[14:15], v4, v[54:55]
	v_lshlrev_b64_e64 v[6:7], v5, -1
	v_add_nc_u32_e32 v5, 19, v4
	s_delay_alu instid0(VALU_DEP_3) | instskip(NEXT) | instid1(VALU_DEP_2)
	v_mov_b64_e32 v[16:17], v[14:15]
	v_lshlrev_b64_e64 v[8:9], v5, 1
	s_delay_alu instid0(VALU_DEP_4) | instskip(SKIP_1) | instid1(VALU_DEP_1)
	v_bfi_b32 v7, v7, 0, 0
	v_bfi_b32 v6, v6, 0, v54
	v_cmpx_eq_u64_e64 v[6:7], v[8:9]
; %bb.194:                              ;   in Loop: Header=BB6_128 Depth=2
	v_bfe_u32 v54, v14, 20, 1
	s_delay_alu instid0(VALU_DEP_1) | instskip(NEXT) | instid1(VALU_DEP_1)
	v_add_nc_u64_e32 v[6:7], v[14:15], v[54:55]
	v_add_nc_u64_e32 v[16:17], -1, v[6:7]
; %bb.195:                              ;   in Loop: Header=BB6_128 Depth=2
	s_or_b32 exec_lo, exec_lo, s44
	v_add_nc_u32_e32 v2, 0xffffff81, v3
	v_lshrrev_b32_e32 v3, 23, v14
	s_mov_b32 s10, exec_lo
	s_delay_alu instid0(VALU_DEP_2) | instskip(NEXT) | instid1(VALU_DEP_1)
	v_cndmask_b32_e64 v2, v2, 0xffffff82, vcc_lo
	v_add3_u32 v3, v4, v2, v3
	v_and_b32_e32 v2, 0xfffff, v16
	s_delay_alu instid0(VALU_DEP_1) | instskip(NEXT) | instid1(VALU_DEP_1)
	v_dual_add_nc_u32 v4, 6, v3 :: v_dual_add_nc_u32 v54, v2, v14
                                        ; implicit-def: $vgpr14_vgpr15
                                        ; implicit-def: $vgpr2
	v_cmpx_ne_u32_e32 0, v4
	s_xor_b32 s10, exec_lo, s10
; %bb.196:                              ;   in Loop: Header=BB6_128 Depth=2
	s_delay_alu instid0(VALU_DEP_2) | instskip(SKIP_2) | instid1(VALU_DEP_2)
	v_cmp_lt_u64_e32 vcc_lo, 0xffffff, v[54:55]
	v_add_nc_u32_e32 v2, 7, v3
	v_cndmask_b32_e64 v3, 0, 1, vcc_lo
	v_cndmask_b32_e32 v2, v4, v2, vcc_lo
	s_delay_alu instid0(VALU_DEP_2)
	v_lshrrev_b64 v[14:15], v3, v[54:55]
; %bb.197:                              ;   in Loop: Header=BB6_128 Depth=2
	s_and_not1_saveexec_b32 s10, s10
; %bb.198:                              ;   in Loop: Header=BB6_128 Depth=2
	v_mov_b64_e32 v[14:15], v[54:55]
	v_bfe_u32 v2, v54, 23, 1
; %bb.199:                              ;   in Loop: Header=BB6_128 Depth=2
	s_or_b32 exec_lo, exec_lo, s10
	s_delay_alu instid0(VALU_DEP_2) | instskip(NEXT) | instid1(VALU_DEP_2)
	v_lshrrev_b64 v[4:5], 20, v[14:15]
	v_cmp_gt_i32_e32 vcc_lo, 16, v2
	v_min_i32_e32 v3, 15, v2
	v_cmp_eq_u32_e64 s10, 0, v2
	s_delay_alu instid0(VALU_DEP_2) | instskip(SKIP_1) | instid1(VALU_DEP_2)
	v_dual_cndmask_b32 v5, 0, v5, vcc_lo :: v_dual_lshlrev_b32 v3, 3, v3
	v_cndmask_b32_e32 v4, 7, v4, vcc_lo
	v_and_b32_e32 v3, 0xf8, v3
	s_delay_alu instid0(VALU_DEP_2) | instskip(NEXT) | instid1(VALU_DEP_2)
	v_cmp_eq_u64_e32 vcc_lo, 0, v[4:5]
	v_and_or_b32 v2, v4, 7, v3
	s_and_b32 s10, s10, vcc_lo
	s_delay_alu instid0(VALU_DEP_1) | instid1(SALU_CYCLE_1)
	v_cndmask_b32_e64 v2, v2, 0, s10
	s_delay_alu instid0(VALU_DEP_1)
	v_or_b32_e32 v117, v2, v0
.LBB6_200:                              ;   in Loop: Header=BB6_128 Depth=2
	s_or_b32 exec_lo, exec_lo, s43
                                        ; implicit-def: $vgpr0
.LBB6_201:                              ;   in Loop: Header=BB6_128 Depth=2
	s_and_not1_saveexec_b32 s10, s42
; %bb.202:                              ;   in Loop: Header=BB6_128 Depth=2
	v_or_b32_e32 v117, 0x7e, v0
; %bb.203:                              ;   in Loop: Header=BB6_128 Depth=2
	s_or_b32 exec_lo, exec_lo, s10
                                        ; implicit-def: $vgpr0
.LBB6_204:                              ;   in Loop: Header=BB6_128 Depth=2
	s_and_not1_saveexec_b32 s10, s41
; %bb.205:                              ;   in Loop: Header=BB6_128 Depth=2
	v_or_b32_e32 v117, 0x7f, v0
; %bb.206:                              ;   in Loop: Header=BB6_128 Depth=2
	s_or_b32 exec_lo, exec_lo, s10
	v_mov_b32_e32 v2, 0
	s_mov_b32 s10, exec_lo
	v_cmpx_lt_u32_e32 0xffffff, v10
	s_cbranch_execz .LBB6_214
; %bb.207:                              ;   in Loop: Header=BB6_128 Depth=2
	v_lshrrev_b32_e32 v0, 24, v10
	v_bfrev_b32_e32 v2, 1
	s_mov_b32 s41, exec_lo
	s_delay_alu instid0(VALU_DEP_2)
	v_cmpx_ne_u32_e32 0x80, v0
	s_cbranch_execz .LBB6_213
; %bb.208:                              ;   in Loop: Header=BB6_128 Depth=2
	v_bfe_u32 v3, v10, 24, 7
	v_mov_b32_e32 v2, 0x7f800001
	s_mov_b32 s42, exec_lo
	s_delay_alu instid0(VALU_DEP_2)
	v_cmpx_ne_u32_e32 0x7f, v3
	s_cbranch_execz .LBB6_212
; %bb.209:                              ;   in Loop: Header=BB6_128 Depth=2
	v_dual_lshrrev_b32 v2, 3, v3 :: v_dual_bitop2_b32 v54, 7, v0 bitop3:0x40
	s_mov_b32 s43, exec_lo
	v_cmpx_gt_u32_e32 8, v3
; %bb.210:                              ;   in Loop: Header=BB6_128 Depth=2
	s_delay_alu instid0(VALU_DEP_2) | instskip(NEXT) | instid1(VALU_DEP_1)
	v_clz_i32_u32_e32 v2, v54
	v_min_u32_e32 v2, 32, v2
	s_delay_alu instid0(VALU_DEP_1) | instskip(NEXT) | instid1(VALU_DEP_1)
	v_subrev_nc_u32_e32 v3, 28, v2
	v_lshlrev_b64_e32 v[4:5], v3, v[54:55]
	s_delay_alu instid0(VALU_DEP_1)
	v_dual_sub_nc_u32 v2, 29, v2 :: v_dual_bitop2_b32 v54, 7, v4 bitop3:0x40
; %bb.211:                              ;   in Loop: Header=BB6_128 Depth=2
	s_or_b32 exec_lo, exec_lo, s43
	s_delay_alu instid0(VALU_DEP_1) | instskip(NEXT) | instid1(VALU_DEP_2)
	v_dual_lshlrev_b32 v0, 24, v0 :: v_dual_lshlrev_b32 v3, 20, v54
	v_lshl_add_u32 v2, v2, 23, 0x3c000000
	s_delay_alu instid0(VALU_DEP_2) | instskip(NEXT) | instid1(VALU_DEP_1)
	v_and_b32_e32 v0, 0x80000000, v0
	v_or3_b32 v2, v3, v0, v2
.LBB6_212:                              ;   in Loop: Header=BB6_128 Depth=2
	s_or_b32 exec_lo, exec_lo, s42
.LBB6_213:                              ;   in Loop: Header=BB6_128 Depth=2
	s_delay_alu instid0(SALU_CYCLE_1)
	s_or_b32 exec_lo, exec_lo, s41
.LBB6_214:                              ;   in Loop: Header=BB6_128 Depth=2
	s_delay_alu instid0(SALU_CYCLE_1) | instskip(NEXT) | instid1(VALU_DEP_1)
	s_or_b32 exec_lo, exec_lo, s10
	v_mul_f32_e32 v2, s40, v2
                                        ; implicit-def: $vgpr50
	s_mov_b32 s10, exec_lo
	s_delay_alu instid0(VALU_DEP_1) | instskip(SKIP_1) | instid1(VALU_DEP_2)
	v_and_b32_e32 v54, 0x7f800000, v2
	v_lshrrev_b32_e32 v0, 24, v2
	v_cmpx_ne_u64_e32 0x7f800000, v[54:55]
	s_xor_b32 s41, exec_lo, s10
	s_cbranch_execz .LBB6_228
; %bb.215:                              ;   in Loop: Header=BB6_128 Depth=2
	v_and_b32_e32 v54, 0x7fffffff, v2
	v_and_b32_e32 v0, 0x80, v0
                                        ; implicit-def: $vgpr50
	s_mov_b32 s10, exec_lo
	s_delay_alu instid0(VALU_DEP_2)
	v_cmpx_gt_u64_e32 0x43e00001, v[54:55]
	s_xor_b32 s42, exec_lo, s10
	s_cbranch_execz .LBB6_225
; %bb.216:                              ;   in Loop: Header=BB6_128 Depth=2
	v_mov_b32_e32 v50, 0
	s_mov_b32 s43, exec_lo
	v_cmpx_ne_u32_e32 0, v2
	s_cbranch_execz .LBB6_224
; %bb.217:                              ;   in Loop: Header=BB6_128 Depth=2
	v_bfe_u32 v3, v2, 23, 8
	v_and_b32_e32 v2, 0x7fffff, v2
	s_mov_b32 s44, exec_lo
	s_delay_alu instid0(VALU_DEP_2) | instskip(SKIP_1) | instid1(VALU_DEP_3)
	v_sub_nc_u32_e32 v4, 0x79, v3
	v_cmp_gt_u32_e32 vcc_lo, 0x7a, v3
	v_or_b32_e32 v8, 0x800000, v2
	s_delay_alu instid0(VALU_DEP_3) | instskip(SKIP_1) | instid1(VALU_DEP_3)
	v_cndmask_b32_e32 v4, 0, v4, vcc_lo
	v_cmp_eq_u32_e32 vcc_lo, 0, v3
	v_cndmask_b32_e32 v54, v8, v2, vcc_lo
	s_delay_alu instid0(VALU_DEP_3) | instskip(NEXT) | instid1(VALU_DEP_1)
	v_cndmask_b32_e64 v4, v4, 0x78, vcc_lo
	v_add_nc_u32_e32 v5, 20, v4
	s_delay_alu instid0(VALU_DEP_3) | instskip(NEXT) | instid1(VALU_DEP_2)
	v_lshrrev_b64 v[14:15], v4, v[54:55]
	v_lshlrev_b64_e64 v[6:7], v5, -1
	v_add_nc_u32_e32 v5, 19, v4
	s_delay_alu instid0(VALU_DEP_3) | instskip(NEXT) | instid1(VALU_DEP_2)
	v_mov_b64_e32 v[16:17], v[14:15]
	v_lshlrev_b64_e64 v[8:9], v5, 1
	s_delay_alu instid0(VALU_DEP_4) | instskip(SKIP_1) | instid1(VALU_DEP_1)
	v_bfi_b32 v7, v7, 0, 0
	v_bfi_b32 v6, v6, 0, v54
	v_cmpx_eq_u64_e64 v[6:7], v[8:9]
; %bb.218:                              ;   in Loop: Header=BB6_128 Depth=2
	v_bfe_u32 v54, v14, 20, 1
	s_delay_alu instid0(VALU_DEP_1) | instskip(NEXT) | instid1(VALU_DEP_1)
	v_add_nc_u64_e32 v[6:7], v[14:15], v[54:55]
	v_add_nc_u64_e32 v[16:17], -1, v[6:7]
; %bb.219:                              ;   in Loop: Header=BB6_128 Depth=2
	s_or_b32 exec_lo, exec_lo, s44
	v_add_nc_u32_e32 v2, 0xffffff81, v3
	v_lshrrev_b32_e32 v3, 23, v14
	s_mov_b32 s10, exec_lo
	s_delay_alu instid0(VALU_DEP_2) | instskip(NEXT) | instid1(VALU_DEP_1)
	v_cndmask_b32_e64 v2, v2, 0xffffff82, vcc_lo
	v_add3_u32 v3, v4, v2, v3
	v_and_b32_e32 v2, 0xfffff, v16
	s_delay_alu instid0(VALU_DEP_1) | instskip(NEXT) | instid1(VALU_DEP_1)
	v_dual_add_nc_u32 v4, 6, v3 :: v_dual_add_nc_u32 v54, v2, v14
                                        ; implicit-def: $vgpr14_vgpr15
                                        ; implicit-def: $vgpr2
	v_cmpx_ne_u32_e32 0, v4
	s_xor_b32 s10, exec_lo, s10
; %bb.220:                              ;   in Loop: Header=BB6_128 Depth=2
	s_delay_alu instid0(VALU_DEP_2) | instskip(SKIP_2) | instid1(VALU_DEP_2)
	v_cmp_lt_u64_e32 vcc_lo, 0xffffff, v[54:55]
	v_add_nc_u32_e32 v2, 7, v3
	v_cndmask_b32_e64 v3, 0, 1, vcc_lo
	v_cndmask_b32_e32 v2, v4, v2, vcc_lo
	s_delay_alu instid0(VALU_DEP_2)
	v_lshrrev_b64 v[14:15], v3, v[54:55]
; %bb.221:                              ;   in Loop: Header=BB6_128 Depth=2
	s_and_not1_saveexec_b32 s10, s10
; %bb.222:                              ;   in Loop: Header=BB6_128 Depth=2
	v_mov_b64_e32 v[14:15], v[54:55]
	v_bfe_u32 v2, v54, 23, 1
; %bb.223:                              ;   in Loop: Header=BB6_128 Depth=2
	s_or_b32 exec_lo, exec_lo, s10
	s_delay_alu instid0(VALU_DEP_2) | instskip(NEXT) | instid1(VALU_DEP_2)
	v_lshrrev_b64 v[4:5], 20, v[14:15]
	v_cmp_gt_i32_e32 vcc_lo, 16, v2
	v_min_i32_e32 v3, 15, v2
	v_cmp_eq_u32_e64 s10, 0, v2
	s_delay_alu instid0(VALU_DEP_2) | instskip(SKIP_1) | instid1(VALU_DEP_2)
	v_dual_cndmask_b32 v5, 0, v5, vcc_lo :: v_dual_lshlrev_b32 v3, 3, v3
	v_cndmask_b32_e32 v4, 7, v4, vcc_lo
	v_and_b32_e32 v3, 0xf8, v3
	s_delay_alu instid0(VALU_DEP_2) | instskip(NEXT) | instid1(VALU_DEP_2)
	v_cmp_eq_u64_e32 vcc_lo, 0, v[4:5]
	v_and_or_b32 v2, v4, 7, v3
	s_and_b32 s10, s10, vcc_lo
	s_delay_alu instid0(VALU_DEP_1) | instid1(SALU_CYCLE_1)
	v_cndmask_b32_e64 v2, v2, 0, s10
	s_delay_alu instid0(VALU_DEP_1)
	v_or_b32_e32 v50, v2, v0
.LBB6_224:                              ;   in Loop: Header=BB6_128 Depth=2
	s_or_b32 exec_lo, exec_lo, s43
                                        ; implicit-def: $vgpr0
.LBB6_225:                              ;   in Loop: Header=BB6_128 Depth=2
	s_and_not1_saveexec_b32 s10, s42
; %bb.226:                              ;   in Loop: Header=BB6_128 Depth=2
	v_or_b32_e32 v50, 0x7e, v0
; %bb.227:                              ;   in Loop: Header=BB6_128 Depth=2
	s_or_b32 exec_lo, exec_lo, s10
                                        ; implicit-def: $vgpr0
.LBB6_228:                              ;   in Loop: Header=BB6_128 Depth=2
	s_and_not1_saveexec_b32 s10, s41
; %bb.229:                              ;   in Loop: Header=BB6_128 Depth=2
	v_or_b32_e32 v50, 0x7f, v0
; %bb.230:                              ;   in Loop: Header=BB6_128 Depth=2
	s_or_b32 exec_lo, exec_lo, s10
	v_and_b32_e32 v2, 0xff, v11
	v_dual_mov_b32 v54, v11 :: v_dual_mov_b32 v0, 0
	s_mov_b32 s10, exec_lo
	s_delay_alu instid0(VALU_DEP_2)
	v_cmpx_ne_u16_e32 0, v2
	s_cbranch_execz .LBB6_236
; %bb.231:                              ;   in Loop: Header=BB6_128 Depth=2
	v_bfrev_b32_e32 v0, 1
	s_mov_b32 s41, exec_lo
	v_cmpx_ne_u16_e32 0x80, v2
	s_cbranch_execz .LBB6_235
; %bb.232:                              ;   in Loop: Header=BB6_128 Depth=2
	v_and_b32_e32 v2, 0x7f, v11
	v_mov_b32_e32 v0, 0x7f800001
	s_mov_b32 s42, exec_lo
	s_delay_alu instid0(VALU_DEP_2)
	v_cmpx_ne_u32_e32 0x7f, v2
	s_cbranch_execz .LBB6_234
; %bb.233:                              ;   in Loop: Header=BB6_128 Depth=2
	v_dual_lshrrev_b32 v3, 3, v2 :: v_dual_bitop2_b32 v0, 7, v11 bitop3:0x40
	v_cmp_gt_u32_e32 vcc_lo, 8, v2
	s_delay_alu instid0(VALU_DEP_2) | instskip(NEXT) | instid1(VALU_DEP_1)
	v_clz_i32_u32_e32 v0, v0
	v_min_u32_e32 v0, 32, v0
	s_delay_alu instid0(VALU_DEP_1) | instskip(SKIP_1) | instid1(VALU_DEP_2)
	v_subrev_nc_u32_e32 v4, 28, v0
	v_sub_nc_u32_e32 v0, 29, v0
	v_cndmask_b32_e32 v2, 0, v4, vcc_lo
	s_delay_alu instid0(VALU_DEP_2) | instskip(NEXT) | instid1(VALU_DEP_2)
	v_cndmask_b32_e32 v0, v3, v0, vcc_lo
	v_lshlrev_b64_e32 v[2:3], v2, v[54:55]
	v_lshlrev_b32_e32 v3, 24, v54
	s_delay_alu instid0(VALU_DEP_1) | instskip(NEXT) | instid1(VALU_DEP_3)
	v_and_b32_e32 v3, 0x80000000, v3
	v_lshlrev_b32_e32 v2, 20, v2
	v_lshl_add_u32 v0, v0, 23, 0x3c000000
	s_delay_alu instid0(VALU_DEP_2) | instskip(NEXT) | instid1(VALU_DEP_1)
	v_and_b32_e32 v2, 0x700000, v2
	v_or3_b32 v0, v2, v3, v0
.LBB6_234:                              ;   in Loop: Header=BB6_128 Depth=2
	s_or_b32 exec_lo, exec_lo, s42
.LBB6_235:                              ;   in Loop: Header=BB6_128 Depth=2
	s_delay_alu instid0(SALU_CYCLE_1)
	s_or_b32 exec_lo, exec_lo, s41
.LBB6_236:                              ;   in Loop: Header=BB6_128 Depth=2
	s_delay_alu instid0(SALU_CYCLE_1) | instskip(NEXT) | instid1(VALU_DEP_1)
	s_or_b32 exec_lo, exec_lo, s10
	v_dual_mul_f32 v2, s40, v0 :: v_dual_mov_b32 v5, v55
                                        ; implicit-def: $vgpr79
	s_mov_b32 s10, exec_lo
	s_delay_alu instid0(VALU_DEP_1) | instskip(SKIP_1) | instid1(VALU_DEP_2)
	v_and_b32_e32 v4, 0x7f800000, v2
	v_lshrrev_b32_e32 v0, 24, v2
	v_cmpx_ne_u64_e32 0x7f800000, v[4:5]
	s_xor_b32 s41, exec_lo, s10
	s_cbranch_execz .LBB6_250
; %bb.237:                              ;   in Loop: Header=BB6_128 Depth=2
	v_and_b32_e32 v4, 0x7fffffff, v2
	v_mov_b32_e32 v5, v55
	v_and_b32_e32 v0, 0x80, v0
                                        ; implicit-def: $vgpr79
	s_mov_b32 s10, exec_lo
	s_delay_alu instid0(VALU_DEP_2)
	v_cmpx_gt_u64_e32 0x43e00001, v[4:5]
	s_xor_b32 s42, exec_lo, s10
	s_cbranch_execz .LBB6_247
; %bb.238:                              ;   in Loop: Header=BB6_128 Depth=2
	v_mov_b32_e32 v79, 0
	s_mov_b32 s43, exec_lo
	v_cmpx_ne_u32_e32 0, v2
	s_cbranch_execz .LBB6_246
; %bb.239:                              ;   in Loop: Header=BB6_128 Depth=2
	v_bfe_u32 v3, v2, 23, 8
	v_and_b32_e32 v2, 0x7fffff, v2
	s_delay_alu instid0(VALU_DEP_2) | instskip(SKIP_1) | instid1(VALU_DEP_3)
	v_dual_mov_b32 v9, v55 :: v_dual_sub_nc_u32 v4, 0x79, v3
	v_cmp_gt_u32_e32 vcc_lo, 0x7a, v3
	v_or_b32_e32 v8, 0x800000, v2
	s_delay_alu instid0(VALU_DEP_3) | instskip(SKIP_1) | instid1(VALU_DEP_3)
	v_cndmask_b32_e32 v4, 0, v4, vcc_lo
	v_cmp_eq_u32_e32 vcc_lo, 0, v3
	v_cndmask_b32_e32 v8, v8, v2, vcc_lo
	s_delay_alu instid0(VALU_DEP_3) | instskip(NEXT) | instid1(VALU_DEP_1)
	v_cndmask_b32_e64 v4, v4, 0x78, vcc_lo
	v_add_nc_u32_e32 v5, 20, v4
	s_delay_alu instid0(VALU_DEP_3) | instskip(NEXT) | instid1(VALU_DEP_2)
	v_lshrrev_b64 v[14:15], v4, v[8:9]
	v_lshlrev_b64_e64 v[6:7], v5, -1
	v_add_nc_u32_e32 v5, 19, v4
	s_delay_alu instid0(VALU_DEP_1) | instskip(NEXT) | instid1(VALU_DEP_3)
	v_lshlrev_b64_e64 v[16:17], v5, 1
	v_bfi_b32 v7, v7, 0, 0
	s_delay_alu instid0(VALU_DEP_4) | instskip(NEXT) | instid1(VALU_DEP_1)
	v_bfi_b32 v6, v6, 0, v8
	v_cmp_eq_u64_e64 s10, v[6:7], v[16:17]
	v_mov_b64_e32 v[16:17], v[14:15]
	s_and_saveexec_b32 s44, s10
; %bb.240:                              ;   in Loop: Header=BB6_128 Depth=2
	v_bfe_u32 v6, v14, 20, 1
	v_mov_b32_e32 v7, v55
	s_delay_alu instid0(VALU_DEP_1) | instskip(NEXT) | instid1(VALU_DEP_1)
	v_add_nc_u64_e32 v[6:7], v[14:15], v[6:7]
	v_add_nc_u64_e32 v[16:17], -1, v[6:7]
; %bb.241:                              ;   in Loop: Header=BB6_128 Depth=2
	s_or_b32 exec_lo, exec_lo, s44
	v_dual_mov_b32 v15, v55 :: v_dual_add_nc_u32 v2, 0xffffff81, v3
	v_lshrrev_b32_e32 v3, 23, v14
	s_mov_b32 s10, exec_lo
	s_delay_alu instid0(VALU_DEP_2) | instskip(NEXT) | instid1(VALU_DEP_1)
	v_cndmask_b32_e64 v2, v2, 0xffffff82, vcc_lo
	v_add3_u32 v3, v4, v2, v3
	v_and_b32_e32 v2, 0xfffff, v16
	s_delay_alu instid0(VALU_DEP_1) | instskip(NEXT) | instid1(VALU_DEP_1)
	v_dual_add_nc_u32 v4, 6, v3 :: v_dual_add_nc_u32 v14, v2, v14
                                        ; implicit-def: $vgpr2
	v_cmpx_ne_u32_e32 0, v4
	s_xor_b32 s10, exec_lo, s10
; %bb.242:                              ;   in Loop: Header=BB6_128 Depth=2
	s_delay_alu instid0(VALU_DEP_2) | instskip(SKIP_2) | instid1(VALU_DEP_2)
	v_cmp_lt_u64_e32 vcc_lo, 0xffffff, v[14:15]
	v_add_nc_u32_e32 v2, 7, v3
	v_cndmask_b32_e64 v3, 0, 1, vcc_lo
	v_cndmask_b32_e32 v2, v4, v2, vcc_lo
	s_delay_alu instid0(VALU_DEP_2)
	v_lshrrev_b64 v[14:15], v3, v[14:15]
; %bb.243:                              ;   in Loop: Header=BB6_128 Depth=2
	s_and_not1_saveexec_b32 s10, s10
; %bb.244:                              ;   in Loop: Header=BB6_128 Depth=2
	s_delay_alu instid0(VALU_DEP_1)
	v_bfe_u32 v2, v14, 23, 1
; %bb.245:                              ;   in Loop: Header=BB6_128 Depth=2
	s_or_b32 exec_lo, exec_lo, s10
	s_delay_alu instid0(VALU_DEP_2) | instskip(NEXT) | instid1(VALU_DEP_2)
	v_lshrrev_b64 v[4:5], 20, v[14:15]
	v_cmp_gt_i32_e32 vcc_lo, 16, v2
	v_min_i32_e32 v3, 15, v2
	v_cmp_eq_u32_e64 s10, 0, v2
	s_delay_alu instid0(VALU_DEP_2) | instskip(SKIP_1) | instid1(VALU_DEP_2)
	v_dual_cndmask_b32 v5, 0, v5, vcc_lo :: v_dual_lshlrev_b32 v3, 3, v3
	v_cndmask_b32_e32 v4, 7, v4, vcc_lo
	v_and_b32_e32 v3, 0xf8, v3
	s_delay_alu instid0(VALU_DEP_2) | instskip(NEXT) | instid1(VALU_DEP_2)
	v_cmp_eq_u64_e32 vcc_lo, 0, v[4:5]
	v_and_or_b32 v2, v4, 7, v3
	s_and_b32 s10, s10, vcc_lo
	s_delay_alu instid0(VALU_DEP_1) | instid1(SALU_CYCLE_1)
	v_cndmask_b32_e64 v2, v2, 0, s10
	s_delay_alu instid0(VALU_DEP_1)
	v_or_b32_e32 v79, v2, v0
.LBB6_246:                              ;   in Loop: Header=BB6_128 Depth=2
	s_or_b32 exec_lo, exec_lo, s43
                                        ; implicit-def: $vgpr0
.LBB6_247:                              ;   in Loop: Header=BB6_128 Depth=2
	s_and_not1_saveexec_b32 s10, s42
; %bb.248:                              ;   in Loop: Header=BB6_128 Depth=2
	v_or_b32_e32 v79, 0x7e, v0
; %bb.249:                              ;   in Loop: Header=BB6_128 Depth=2
	s_or_b32 exec_lo, exec_lo, s10
                                        ; implicit-def: $vgpr0
.LBB6_250:                              ;   in Loop: Header=BB6_128 Depth=2
	s_and_not1_saveexec_b32 s10, s41
; %bb.251:                              ;   in Loop: Header=BB6_128 Depth=2
	v_or_b32_e32 v79, 0x7f, v0
; %bb.252:                              ;   in Loop: Header=BB6_128 Depth=2
	s_or_b32 exec_lo, exec_lo, s10
	v_lshrrev_b16 v2, 8, v54
	v_mov_b32_e32 v0, 0
	s_mov_b32 s10, exec_lo
	s_delay_alu instid0(VALU_DEP_2)
	v_cmpx_ne_u16_e32 0, v2
	s_cbranch_execz .LBB6_260
; %bb.253:                              ;   in Loop: Header=BB6_128 Depth=2
	v_bfrev_b32_e32 v0, 1
	s_mov_b32 s41, exec_lo
	v_cmpx_ne_u16_e32 0x80, v2
	s_cbranch_execz .LBB6_259
; %bb.254:                              ;   in Loop: Header=BB6_128 Depth=2
	v_and_b32_e32 v3, 0xffff, v2
	v_mov_b32_e32 v0, 0x7f800001
	s_mov_b32 s42, exec_lo
	s_delay_alu instid0(VALU_DEP_2) | instskip(NEXT) | instid1(VALU_DEP_1)
	v_and_b32_e32 v2, 0x7f, v3
	v_cmpx_ne_u32_e32 0x7f, v2
	s_cbranch_execz .LBB6_258
; %bb.255:                              ;   in Loop: Header=BB6_128 Depth=2
	v_dual_mov_b32 v15, v55 :: v_dual_bitop2_b32 v14, 7, v3 bitop3:0x40
	v_lshrrev_b32_e32 v0, 3, v2
	s_mov_b32 s43, exec_lo
	v_cmpx_gt_u32_e32 8, v2
; %bb.256:                              ;   in Loop: Header=BB6_128 Depth=2
	s_delay_alu instid0(VALU_DEP_3) | instskip(NEXT) | instid1(VALU_DEP_1)
	v_clz_i32_u32_e32 v0, v14
	v_min_u32_e32 v0, 32, v0
	s_delay_alu instid0(VALU_DEP_1) | instskip(NEXT) | instid1(VALU_DEP_1)
	v_subrev_nc_u32_e32 v2, 28, v0
	v_lshlrev_b64_e32 v[2:3], v2, v[14:15]
	s_delay_alu instid0(VALU_DEP_1)
	v_dual_sub_nc_u32 v0, 29, v0 :: v_dual_bitop2_b32 v14, 7, v2 bitop3:0x40
; %bb.257:                              ;   in Loop: Header=BB6_128 Depth=2
	s_or_b32 exec_lo, exec_lo, s43
	v_lshlrev_b32_e32 v2, 16, v54
	s_delay_alu instid0(VALU_DEP_2) | instskip(NEXT) | instid1(VALU_DEP_3)
	v_lshlrev_b32_e32 v3, 20, v14
	v_lshl_add_u32 v0, v0, 23, 0x3c000000
	s_delay_alu instid0(VALU_DEP_3) | instskip(NEXT) | instid1(VALU_DEP_1)
	v_and_b32_e32 v2, 0x80000000, v2
	v_or3_b32 v0, v3, v2, v0
.LBB6_258:                              ;   in Loop: Header=BB6_128 Depth=2
	s_or_b32 exec_lo, exec_lo, s42
.LBB6_259:                              ;   in Loop: Header=BB6_128 Depth=2
	s_delay_alu instid0(SALU_CYCLE_1)
	s_or_b32 exec_lo, exec_lo, s41
.LBB6_260:                              ;   in Loop: Header=BB6_128 Depth=2
	s_delay_alu instid0(SALU_CYCLE_1) | instskip(NEXT) | instid1(VALU_DEP_1)
	s_or_b32 exec_lo, exec_lo, s10
	v_mul_f32_e32 v2, s40, v0
                                        ; implicit-def: $vgpr89
	s_mov_b32 s10, exec_lo
	s_delay_alu instid0(VALU_DEP_1) | instskip(SKIP_1) | instid1(VALU_DEP_2)
	v_and_b32_e32 v54, 0x7f800000, v2
	v_lshrrev_b32_e32 v0, 24, v2
	v_cmpx_ne_u64_e32 0x7f800000, v[54:55]
	s_xor_b32 s41, exec_lo, s10
	s_cbranch_execz .LBB6_274
; %bb.261:                              ;   in Loop: Header=BB6_128 Depth=2
	v_and_b32_e32 v54, 0x7fffffff, v2
	v_and_b32_e32 v0, 0x80, v0
                                        ; implicit-def: $vgpr89
	s_mov_b32 s10, exec_lo
	s_delay_alu instid0(VALU_DEP_2)
	v_cmpx_gt_u64_e32 0x43e00001, v[54:55]
	s_xor_b32 s42, exec_lo, s10
	s_cbranch_execz .LBB6_271
; %bb.262:                              ;   in Loop: Header=BB6_128 Depth=2
	v_mov_b32_e32 v89, 0
	s_mov_b32 s43, exec_lo
	v_cmpx_ne_u32_e32 0, v2
	s_cbranch_execz .LBB6_270
; %bb.263:                              ;   in Loop: Header=BB6_128 Depth=2
	v_bfe_u32 v3, v2, 23, 8
	v_and_b32_e32 v2, 0x7fffff, v2
	s_mov_b32 s44, exec_lo
	s_delay_alu instid0(VALU_DEP_2) | instskip(SKIP_1) | instid1(VALU_DEP_3)
	v_sub_nc_u32_e32 v4, 0x79, v3
	v_cmp_gt_u32_e32 vcc_lo, 0x7a, v3
	v_or_b32_e32 v8, 0x800000, v2
	s_delay_alu instid0(VALU_DEP_3) | instskip(SKIP_1) | instid1(VALU_DEP_3)
	v_cndmask_b32_e32 v4, 0, v4, vcc_lo
	v_cmp_eq_u32_e32 vcc_lo, 0, v3
	v_cndmask_b32_e32 v54, v8, v2, vcc_lo
	s_delay_alu instid0(VALU_DEP_3) | instskip(NEXT) | instid1(VALU_DEP_1)
	v_cndmask_b32_e64 v4, v4, 0x78, vcc_lo
	v_add_nc_u32_e32 v5, 20, v4
	s_delay_alu instid0(VALU_DEP_3) | instskip(NEXT) | instid1(VALU_DEP_2)
	v_lshrrev_b64 v[14:15], v4, v[54:55]
	v_lshlrev_b64_e64 v[6:7], v5, -1
	v_add_nc_u32_e32 v5, 19, v4
	s_delay_alu instid0(VALU_DEP_3) | instskip(NEXT) | instid1(VALU_DEP_2)
	v_mov_b64_e32 v[16:17], v[14:15]
	v_lshlrev_b64_e64 v[8:9], v5, 1
	s_delay_alu instid0(VALU_DEP_4) | instskip(SKIP_1) | instid1(VALU_DEP_1)
	v_bfi_b32 v7, v7, 0, 0
	v_bfi_b32 v6, v6, 0, v54
	v_cmpx_eq_u64_e64 v[6:7], v[8:9]
; %bb.264:                              ;   in Loop: Header=BB6_128 Depth=2
	v_bfe_u32 v54, v14, 20, 1
	s_delay_alu instid0(VALU_DEP_1) | instskip(NEXT) | instid1(VALU_DEP_1)
	v_add_nc_u64_e32 v[6:7], v[14:15], v[54:55]
	v_add_nc_u64_e32 v[16:17], -1, v[6:7]
; %bb.265:                              ;   in Loop: Header=BB6_128 Depth=2
	s_or_b32 exec_lo, exec_lo, s44
	v_add_nc_u32_e32 v2, 0xffffff81, v3
	v_lshrrev_b32_e32 v3, 23, v14
	s_mov_b32 s10, exec_lo
	s_delay_alu instid0(VALU_DEP_2) | instskip(NEXT) | instid1(VALU_DEP_1)
	v_cndmask_b32_e64 v2, v2, 0xffffff82, vcc_lo
	v_add3_u32 v3, v4, v2, v3
	v_and_b32_e32 v2, 0xfffff, v16
	s_delay_alu instid0(VALU_DEP_1) | instskip(NEXT) | instid1(VALU_DEP_1)
	v_dual_add_nc_u32 v4, 6, v3 :: v_dual_add_nc_u32 v54, v2, v14
                                        ; implicit-def: $vgpr14_vgpr15
                                        ; implicit-def: $vgpr2
	v_cmpx_ne_u32_e32 0, v4
	s_xor_b32 s10, exec_lo, s10
; %bb.266:                              ;   in Loop: Header=BB6_128 Depth=2
	s_delay_alu instid0(VALU_DEP_2) | instskip(SKIP_2) | instid1(VALU_DEP_2)
	v_cmp_lt_u64_e32 vcc_lo, 0xffffff, v[54:55]
	v_add_nc_u32_e32 v2, 7, v3
	v_cndmask_b32_e64 v3, 0, 1, vcc_lo
	v_cndmask_b32_e32 v2, v4, v2, vcc_lo
	s_delay_alu instid0(VALU_DEP_2)
	v_lshrrev_b64 v[14:15], v3, v[54:55]
; %bb.267:                              ;   in Loop: Header=BB6_128 Depth=2
	s_and_not1_saveexec_b32 s10, s10
; %bb.268:                              ;   in Loop: Header=BB6_128 Depth=2
	v_mov_b64_e32 v[14:15], v[54:55]
	v_bfe_u32 v2, v54, 23, 1
; %bb.269:                              ;   in Loop: Header=BB6_128 Depth=2
	s_or_b32 exec_lo, exec_lo, s10
	s_delay_alu instid0(VALU_DEP_2) | instskip(NEXT) | instid1(VALU_DEP_2)
	v_lshrrev_b64 v[4:5], 20, v[14:15]
	v_cmp_gt_i32_e32 vcc_lo, 16, v2
	v_min_i32_e32 v3, 15, v2
	v_cmp_eq_u32_e64 s10, 0, v2
	s_delay_alu instid0(VALU_DEP_2) | instskip(SKIP_1) | instid1(VALU_DEP_2)
	v_dual_cndmask_b32 v5, 0, v5, vcc_lo :: v_dual_lshlrev_b32 v3, 3, v3
	v_cndmask_b32_e32 v4, 7, v4, vcc_lo
	v_and_b32_e32 v3, 0xf8, v3
	s_delay_alu instid0(VALU_DEP_2) | instskip(NEXT) | instid1(VALU_DEP_2)
	v_cmp_eq_u64_e32 vcc_lo, 0, v[4:5]
	v_and_or_b32 v2, v4, 7, v3
	s_and_b32 s10, s10, vcc_lo
	s_delay_alu instid0(VALU_DEP_1) | instid1(SALU_CYCLE_1)
	v_cndmask_b32_e64 v2, v2, 0, s10
	s_delay_alu instid0(VALU_DEP_1)
	v_or_b32_e32 v89, v2, v0
.LBB6_270:                              ;   in Loop: Header=BB6_128 Depth=2
	s_or_b32 exec_lo, exec_lo, s43
                                        ; implicit-def: $vgpr0
.LBB6_271:                              ;   in Loop: Header=BB6_128 Depth=2
	s_and_not1_saveexec_b32 s10, s42
; %bb.272:                              ;   in Loop: Header=BB6_128 Depth=2
	v_or_b32_e32 v89, 0x7e, v0
; %bb.273:                              ;   in Loop: Header=BB6_128 Depth=2
	s_or_b32 exec_lo, exec_lo, s10
                                        ; implicit-def: $vgpr0
.LBB6_274:                              ;   in Loop: Header=BB6_128 Depth=2
	s_and_not1_saveexec_b32 s10, s41
; %bb.275:                              ;   in Loop: Header=BB6_128 Depth=2
	v_or_b32_e32 v89, 0x7f, v0
; %bb.276:                              ;   in Loop: Header=BB6_128 Depth=2
	s_or_b32 exec_lo, exec_lo, s10
	v_dual_lshrrev_b32 v0, 16, v11 :: v_dual_mov_b32 v2, 0
	s_mov_b32 s10, exec_lo
	s_delay_alu instid0(VALU_DEP_1) | instskip(NEXT) | instid1(VALU_DEP_1)
	v_and_b32_e32 v3, 0xff, v0
	v_cmpx_ne_u16_e32 0, v3
	s_cbranch_execz .LBB6_284
; %bb.277:                              ;   in Loop: Header=BB6_128 Depth=2
	v_bfrev_b32_e32 v2, 1
	s_mov_b32 s41, exec_lo
	v_cmpx_ne_u16_e32 0x80, v3
	s_cbranch_execz .LBB6_283
; %bb.278:                              ;   in Loop: Header=BB6_128 Depth=2
	v_bfe_u32 v3, v11, 16, 7
	v_mov_b32_e32 v2, 0x7f800001
	s_mov_b32 s42, exec_lo
	s_delay_alu instid0(VALU_DEP_2)
	v_cmpx_ne_u32_e32 0x7f, v3
	s_cbranch_execz .LBB6_282
; %bb.279:                              ;   in Loop: Header=BB6_128 Depth=2
	v_dual_lshrrev_b32 v2, 3, v3 :: v_dual_bitop2_b32 v54, 7, v0 bitop3:0x40
	s_mov_b32 s43, exec_lo
	v_cmpx_gt_u32_e32 8, v3
; %bb.280:                              ;   in Loop: Header=BB6_128 Depth=2
	s_delay_alu instid0(VALU_DEP_2) | instskip(NEXT) | instid1(VALU_DEP_1)
	v_clz_i32_u32_e32 v2, v54
	v_min_u32_e32 v2, 32, v2
	s_delay_alu instid0(VALU_DEP_1) | instskip(NEXT) | instid1(VALU_DEP_1)
	v_subrev_nc_u32_e32 v3, 28, v2
	v_lshlrev_b64_e32 v[4:5], v3, v[54:55]
	s_delay_alu instid0(VALU_DEP_1)
	v_dual_sub_nc_u32 v2, 29, v2 :: v_dual_bitop2_b32 v54, 7, v4 bitop3:0x40
; %bb.281:                              ;   in Loop: Header=BB6_128 Depth=2
	s_or_b32 exec_lo, exec_lo, s43
	s_delay_alu instid0(VALU_DEP_1) | instskip(NEXT) | instid1(VALU_DEP_2)
	v_dual_lshlrev_b32 v0, 24, v0 :: v_dual_lshlrev_b32 v3, 20, v54
	v_lshl_add_u32 v2, v2, 23, 0x3c000000
	s_delay_alu instid0(VALU_DEP_2) | instskip(NEXT) | instid1(VALU_DEP_1)
	v_and_b32_e32 v0, 0x80000000, v0
	v_or3_b32 v2, v3, v0, v2
.LBB6_282:                              ;   in Loop: Header=BB6_128 Depth=2
	s_or_b32 exec_lo, exec_lo, s42
.LBB6_283:                              ;   in Loop: Header=BB6_128 Depth=2
	s_delay_alu instid0(SALU_CYCLE_1)
	s_or_b32 exec_lo, exec_lo, s41
.LBB6_284:                              ;   in Loop: Header=BB6_128 Depth=2
	s_delay_alu instid0(SALU_CYCLE_1) | instskip(NEXT) | instid1(VALU_DEP_1)
	s_or_b32 exec_lo, exec_lo, s10
	v_mul_f32_e32 v2, s40, v2
                                        ; implicit-def: $vgpr123
	s_mov_b32 s10, exec_lo
	s_delay_alu instid0(VALU_DEP_1) | instskip(SKIP_1) | instid1(VALU_DEP_2)
	v_and_b32_e32 v54, 0x7f800000, v2
	v_lshrrev_b32_e32 v0, 24, v2
	v_cmpx_ne_u64_e32 0x7f800000, v[54:55]
	s_xor_b32 s41, exec_lo, s10
	s_cbranch_execz .LBB6_298
; %bb.285:                              ;   in Loop: Header=BB6_128 Depth=2
	v_and_b32_e32 v54, 0x7fffffff, v2
	v_and_b32_e32 v0, 0x80, v0
                                        ; implicit-def: $vgpr123
	s_mov_b32 s10, exec_lo
	s_delay_alu instid0(VALU_DEP_2)
	v_cmpx_gt_u64_e32 0x43e00001, v[54:55]
	s_xor_b32 s42, exec_lo, s10
	s_cbranch_execz .LBB6_295
; %bb.286:                              ;   in Loop: Header=BB6_128 Depth=2
	v_mov_b32_e32 v123, 0
	s_mov_b32 s43, exec_lo
	v_cmpx_ne_u32_e32 0, v2
	s_cbranch_execz .LBB6_294
; %bb.287:                              ;   in Loop: Header=BB6_128 Depth=2
	v_bfe_u32 v3, v2, 23, 8
	v_and_b32_e32 v2, 0x7fffff, v2
	s_mov_b32 s44, exec_lo
	s_delay_alu instid0(VALU_DEP_2) | instskip(SKIP_1) | instid1(VALU_DEP_3)
	v_sub_nc_u32_e32 v4, 0x79, v3
	v_cmp_gt_u32_e32 vcc_lo, 0x7a, v3
	v_or_b32_e32 v8, 0x800000, v2
	s_delay_alu instid0(VALU_DEP_3) | instskip(SKIP_1) | instid1(VALU_DEP_3)
	v_cndmask_b32_e32 v4, 0, v4, vcc_lo
	v_cmp_eq_u32_e32 vcc_lo, 0, v3
	v_cndmask_b32_e32 v54, v8, v2, vcc_lo
	s_delay_alu instid0(VALU_DEP_3) | instskip(NEXT) | instid1(VALU_DEP_1)
	v_cndmask_b32_e64 v4, v4, 0x78, vcc_lo
	v_add_nc_u32_e32 v5, 20, v4
	s_delay_alu instid0(VALU_DEP_3) | instskip(NEXT) | instid1(VALU_DEP_2)
	v_lshrrev_b64 v[14:15], v4, v[54:55]
	v_lshlrev_b64_e64 v[6:7], v5, -1
	v_add_nc_u32_e32 v5, 19, v4
	s_delay_alu instid0(VALU_DEP_3) | instskip(NEXT) | instid1(VALU_DEP_2)
	v_mov_b64_e32 v[16:17], v[14:15]
	v_lshlrev_b64_e64 v[8:9], v5, 1
	s_delay_alu instid0(VALU_DEP_4) | instskip(SKIP_1) | instid1(VALU_DEP_1)
	v_bfi_b32 v7, v7, 0, 0
	v_bfi_b32 v6, v6, 0, v54
	v_cmpx_eq_u64_e64 v[6:7], v[8:9]
; %bb.288:                              ;   in Loop: Header=BB6_128 Depth=2
	v_bfe_u32 v54, v14, 20, 1
	s_delay_alu instid0(VALU_DEP_1) | instskip(NEXT) | instid1(VALU_DEP_1)
	v_add_nc_u64_e32 v[6:7], v[14:15], v[54:55]
	v_add_nc_u64_e32 v[16:17], -1, v[6:7]
; %bb.289:                              ;   in Loop: Header=BB6_128 Depth=2
	s_or_b32 exec_lo, exec_lo, s44
	v_add_nc_u32_e32 v2, 0xffffff81, v3
	v_lshrrev_b32_e32 v3, 23, v14
	s_mov_b32 s10, exec_lo
	s_delay_alu instid0(VALU_DEP_2) | instskip(NEXT) | instid1(VALU_DEP_1)
	v_cndmask_b32_e64 v2, v2, 0xffffff82, vcc_lo
	v_add3_u32 v3, v4, v2, v3
	v_and_b32_e32 v2, 0xfffff, v16
	s_delay_alu instid0(VALU_DEP_1) | instskip(NEXT) | instid1(VALU_DEP_1)
	v_dual_add_nc_u32 v4, 6, v3 :: v_dual_add_nc_u32 v54, v2, v14
                                        ; implicit-def: $vgpr14_vgpr15
                                        ; implicit-def: $vgpr2
	v_cmpx_ne_u32_e32 0, v4
	s_xor_b32 s10, exec_lo, s10
; %bb.290:                              ;   in Loop: Header=BB6_128 Depth=2
	s_delay_alu instid0(VALU_DEP_2) | instskip(SKIP_2) | instid1(VALU_DEP_2)
	v_cmp_lt_u64_e32 vcc_lo, 0xffffff, v[54:55]
	v_add_nc_u32_e32 v2, 7, v3
	v_cndmask_b32_e64 v3, 0, 1, vcc_lo
	v_cndmask_b32_e32 v2, v4, v2, vcc_lo
	s_delay_alu instid0(VALU_DEP_2)
	v_lshrrev_b64 v[14:15], v3, v[54:55]
; %bb.291:                              ;   in Loop: Header=BB6_128 Depth=2
	s_and_not1_saveexec_b32 s10, s10
; %bb.292:                              ;   in Loop: Header=BB6_128 Depth=2
	v_mov_b64_e32 v[14:15], v[54:55]
	v_bfe_u32 v2, v54, 23, 1
; %bb.293:                              ;   in Loop: Header=BB6_128 Depth=2
	s_or_b32 exec_lo, exec_lo, s10
	s_delay_alu instid0(VALU_DEP_2) | instskip(NEXT) | instid1(VALU_DEP_2)
	v_lshrrev_b64 v[4:5], 20, v[14:15]
	v_cmp_gt_i32_e32 vcc_lo, 16, v2
	v_min_i32_e32 v3, 15, v2
	v_cmp_eq_u32_e64 s10, 0, v2
	s_delay_alu instid0(VALU_DEP_2) | instskip(SKIP_1) | instid1(VALU_DEP_2)
	v_dual_cndmask_b32 v5, 0, v5, vcc_lo :: v_dual_lshlrev_b32 v3, 3, v3
	v_cndmask_b32_e32 v4, 7, v4, vcc_lo
	v_and_b32_e32 v3, 0xf8, v3
	s_delay_alu instid0(VALU_DEP_2) | instskip(NEXT) | instid1(VALU_DEP_2)
	v_cmp_eq_u64_e32 vcc_lo, 0, v[4:5]
	v_and_or_b32 v2, v4, 7, v3
	s_and_b32 s10, s10, vcc_lo
	s_delay_alu instid0(VALU_DEP_1) | instid1(SALU_CYCLE_1)
	v_cndmask_b32_e64 v2, v2, 0, s10
	s_delay_alu instid0(VALU_DEP_1)
	v_or_b32_e32 v123, v2, v0
.LBB6_294:                              ;   in Loop: Header=BB6_128 Depth=2
	s_or_b32 exec_lo, exec_lo, s43
                                        ; implicit-def: $vgpr0
.LBB6_295:                              ;   in Loop: Header=BB6_128 Depth=2
	s_and_not1_saveexec_b32 s10, s42
; %bb.296:                              ;   in Loop: Header=BB6_128 Depth=2
	v_or_b32_e32 v123, 0x7e, v0
; %bb.297:                              ;   in Loop: Header=BB6_128 Depth=2
	s_or_b32 exec_lo, exec_lo, s10
                                        ; implicit-def: $vgpr0
.LBB6_298:                              ;   in Loop: Header=BB6_128 Depth=2
	s_and_not1_saveexec_b32 s10, s41
; %bb.299:                              ;   in Loop: Header=BB6_128 Depth=2
	v_or_b32_e32 v123, 0x7f, v0
; %bb.300:                              ;   in Loop: Header=BB6_128 Depth=2
	s_or_b32 exec_lo, exec_lo, s10
	v_mov_b32_e32 v2, 0
	s_mov_b32 s10, exec_lo
	v_cmpx_lt_u64_e64 s[14:15], v[10:11]
	s_cbranch_execz .LBB6_308
; %bb.301:                              ;   in Loop: Header=BB6_128 Depth=2
	v_lshrrev_b32_e32 v0, 24, v11
	v_bfrev_b32_e32 v2, 1
	s_mov_b32 s41, exec_lo
	s_delay_alu instid0(VALU_DEP_2)
	v_cmpx_ne_u32_e32 0x80, v0
	s_cbranch_execz .LBB6_307
; %bb.302:                              ;   in Loop: Header=BB6_128 Depth=2
	v_bfe_u32 v3, v11, 24, 7
	v_mov_b32_e32 v2, 0x7f800001
	s_mov_b32 s42, exec_lo
	s_delay_alu instid0(VALU_DEP_2)
	v_cmpx_ne_u32_e32 0x7f, v3
	s_cbranch_execz .LBB6_306
; %bb.303:                              ;   in Loop: Header=BB6_128 Depth=2
	v_dual_lshrrev_b32 v2, 3, v3 :: v_dual_bitop2_b32 v54, 7, v0 bitop3:0x40
	s_mov_b32 s43, exec_lo
	v_cmpx_gt_u32_e32 8, v3
; %bb.304:                              ;   in Loop: Header=BB6_128 Depth=2
	s_delay_alu instid0(VALU_DEP_2) | instskip(NEXT) | instid1(VALU_DEP_1)
	v_clz_i32_u32_e32 v2, v54
	v_min_u32_e32 v2, 32, v2
	s_delay_alu instid0(VALU_DEP_1) | instskip(NEXT) | instid1(VALU_DEP_1)
	v_subrev_nc_u32_e32 v3, 28, v2
	v_lshlrev_b64_e32 v[4:5], v3, v[54:55]
	s_delay_alu instid0(VALU_DEP_1)
	v_dual_sub_nc_u32 v2, 29, v2 :: v_dual_bitop2_b32 v54, 7, v4 bitop3:0x40
; %bb.305:                              ;   in Loop: Header=BB6_128 Depth=2
	s_or_b32 exec_lo, exec_lo, s43
	s_delay_alu instid0(VALU_DEP_1) | instskip(NEXT) | instid1(VALU_DEP_2)
	v_dual_lshlrev_b32 v0, 24, v0 :: v_dual_lshlrev_b32 v3, 20, v54
	v_lshl_add_u32 v2, v2, 23, 0x3c000000
	s_delay_alu instid0(VALU_DEP_2) | instskip(NEXT) | instid1(VALU_DEP_1)
	v_and_b32_e32 v0, 0x80000000, v0
	v_or3_b32 v2, v3, v0, v2
.LBB6_306:                              ;   in Loop: Header=BB6_128 Depth=2
	s_or_b32 exec_lo, exec_lo, s42
.LBB6_307:                              ;   in Loop: Header=BB6_128 Depth=2
	s_delay_alu instid0(SALU_CYCLE_1)
	s_or_b32 exec_lo, exec_lo, s41
.LBB6_308:                              ;   in Loop: Header=BB6_128 Depth=2
	s_delay_alu instid0(SALU_CYCLE_1) | instskip(NEXT) | instid1(VALU_DEP_1)
	s_or_b32 exec_lo, exec_lo, s10
	v_mul_f32_e32 v3, s40, v2
                                        ; implicit-def: $vgpr0
	s_mov_b32 s10, exec_lo
	s_delay_alu instid0(VALU_DEP_1) | instskip(SKIP_1) | instid1(VALU_DEP_2)
	v_and_b32_e32 v54, 0x7f800000, v3
	v_lshrrev_b32_e32 v2, 24, v3
	v_cmpx_ne_u64_e32 0x7f800000, v[54:55]
	s_xor_b32 s41, exec_lo, s10
	s_cbranch_execz .LBB6_322
; %bb.309:                              ;   in Loop: Header=BB6_128 Depth=2
	v_and_b32_e32 v54, 0x7fffffff, v3
	v_and_b32_e32 v2, 0x80, v2
                                        ; implicit-def: $vgpr0
	s_mov_b32 s10, exec_lo
	s_delay_alu instid0(VALU_DEP_2)
	v_cmpx_gt_u64_e32 0x43e00001, v[54:55]
	s_xor_b32 s42, exec_lo, s10
	s_cbranch_execz .LBB6_319
; %bb.310:                              ;   in Loop: Header=BB6_128 Depth=2
	v_mov_b32_e32 v0, 0
	s_mov_b32 s43, exec_lo
	v_cmpx_ne_u32_e32 0, v3
	s_cbranch_execz .LBB6_318
; %bb.311:                              ;   in Loop: Header=BB6_128 Depth=2
	v_bfe_u32 v0, v3, 23, 8
	v_and_b32_e32 v3, 0x7fffff, v3
	s_mov_b32 s44, exec_lo
	s_delay_alu instid0(VALU_DEP_2) | instskip(SKIP_1) | instid1(VALU_DEP_3)
	v_sub_nc_u32_e32 v4, 0x79, v0
	v_cmp_gt_u32_e32 vcc_lo, 0x7a, v0
	v_or_b32_e32 v8, 0x800000, v3
	s_delay_alu instid0(VALU_DEP_3) | instskip(SKIP_1) | instid1(VALU_DEP_3)
	v_cndmask_b32_e32 v4, 0, v4, vcc_lo
	v_cmp_eq_u32_e32 vcc_lo, 0, v0
	v_cndmask_b32_e32 v54, v8, v3, vcc_lo
	s_delay_alu instid0(VALU_DEP_3) | instskip(NEXT) | instid1(VALU_DEP_1)
	v_cndmask_b32_e64 v4, v4, 0x78, vcc_lo
	v_add_nc_u32_e32 v5, 20, v4
	s_delay_alu instid0(VALU_DEP_3) | instskip(NEXT) | instid1(VALU_DEP_2)
	v_lshrrev_b64 v[10:11], v4, v[54:55]
	v_lshlrev_b64_e64 v[6:7], v5, -1
	v_add_nc_u32_e32 v5, 19, v4
	s_delay_alu instid0(VALU_DEP_3) | instskip(NEXT) | instid1(VALU_DEP_2)
	v_mov_b64_e32 v[14:15], v[10:11]
	v_lshlrev_b64_e64 v[8:9], v5, 1
	s_delay_alu instid0(VALU_DEP_4) | instskip(SKIP_1) | instid1(VALU_DEP_1)
	v_bfi_b32 v7, v7, 0, 0
	v_bfi_b32 v6, v6, 0, v54
	v_cmpx_eq_u64_e64 v[6:7], v[8:9]
; %bb.312:                              ;   in Loop: Header=BB6_128 Depth=2
	v_bfe_u32 v54, v10, 20, 1
	s_delay_alu instid0(VALU_DEP_1) | instskip(NEXT) | instid1(VALU_DEP_1)
	v_add_nc_u64_e32 v[6:7], v[10:11], v[54:55]
	v_add_nc_u64_e32 v[14:15], -1, v[6:7]
; %bb.313:                              ;   in Loop: Header=BB6_128 Depth=2
	s_or_b32 exec_lo, exec_lo, s44
	v_add_nc_u32_e32 v0, 0xffffff81, v0
	v_lshrrev_b32_e32 v3, 23, v10
	s_mov_b32 s10, exec_lo
	s_delay_alu instid0(VALU_DEP_2) | instskip(NEXT) | instid1(VALU_DEP_1)
	v_cndmask_b32_e64 v0, v0, 0xffffff82, vcc_lo
	v_add3_u32 v3, v4, v0, v3
	v_and_b32_e32 v0, 0xfffff, v14
	s_delay_alu instid0(VALU_DEP_1) | instskip(NEXT) | instid1(VALU_DEP_1)
	v_dual_add_nc_u32 v4, 6, v3 :: v_dual_add_nc_u32 v54, v0, v10
                                        ; implicit-def: $vgpr10_vgpr11
                                        ; implicit-def: $vgpr0
	v_cmpx_ne_u32_e32 0, v4
	s_xor_b32 s10, exec_lo, s10
; %bb.314:                              ;   in Loop: Header=BB6_128 Depth=2
	s_delay_alu instid0(VALU_DEP_2) | instskip(SKIP_2) | instid1(VALU_DEP_2)
	v_cmp_lt_u64_e32 vcc_lo, 0xffffff, v[54:55]
	v_add_nc_u32_e32 v0, 7, v3
	v_cndmask_b32_e64 v3, 0, 1, vcc_lo
	v_cndmask_b32_e32 v0, v4, v0, vcc_lo
	s_delay_alu instid0(VALU_DEP_2)
	v_lshrrev_b64 v[10:11], v3, v[54:55]
; %bb.315:                              ;   in Loop: Header=BB6_128 Depth=2
	s_and_not1_saveexec_b32 s10, s10
; %bb.316:                              ;   in Loop: Header=BB6_128 Depth=2
	v_mov_b64_e32 v[10:11], v[54:55]
	v_bfe_u32 v0, v54, 23, 1
; %bb.317:                              ;   in Loop: Header=BB6_128 Depth=2
	s_or_b32 exec_lo, exec_lo, s10
	s_delay_alu instid0(VALU_DEP_2) | instskip(NEXT) | instid1(VALU_DEP_2)
	v_lshrrev_b64 v[4:5], 20, v[10:11]
	v_cmp_gt_i32_e32 vcc_lo, 16, v0
	v_min_i32_e32 v3, 15, v0
	v_cmp_eq_u32_e64 s10, 0, v0
	s_delay_alu instid0(VALU_DEP_2) | instskip(SKIP_1) | instid1(VALU_DEP_2)
	v_dual_cndmask_b32 v5, 0, v5, vcc_lo :: v_dual_lshlrev_b32 v3, 3, v3
	v_cndmask_b32_e32 v4, 7, v4, vcc_lo
	v_and_b32_e32 v3, 0xf8, v3
	s_delay_alu instid0(VALU_DEP_2) | instskip(NEXT) | instid1(VALU_DEP_2)
	v_cmp_eq_u64_e32 vcc_lo, 0, v[4:5]
	v_and_or_b32 v0, v4, 7, v3
	s_and_b32 s10, s10, vcc_lo
	s_delay_alu instid0(VALU_DEP_1) | instid1(SALU_CYCLE_1)
	v_cndmask_b32_e64 v0, v0, 0, s10
	s_delay_alu instid0(VALU_DEP_1)
	v_or_b32_e32 v0, v0, v2
.LBB6_318:                              ;   in Loop: Header=BB6_128 Depth=2
	s_or_b32 exec_lo, exec_lo, s43
                                        ; implicit-def: $vgpr2
.LBB6_319:                              ;   in Loop: Header=BB6_128 Depth=2
	s_and_not1_saveexec_b32 s10, s42
; %bb.320:                              ;   in Loop: Header=BB6_128 Depth=2
	v_or_b32_e32 v0, 0x7e, v2
; %bb.321:                              ;   in Loop: Header=BB6_128 Depth=2
	s_or_b32 exec_lo, exec_lo, s10
                                        ; implicit-def: $vgpr2
.LBB6_322:                              ;   in Loop: Header=BB6_128 Depth=2
	s_and_not1_saveexec_b32 s10, s41
; %bb.323:                              ;   in Loop: Header=BB6_128 Depth=2
	v_or_b32_e32 v0, 0x7f, v2
; %bb.324:                              ;   in Loop: Header=BB6_128 Depth=2
	s_or_b32 exec_lo, exec_lo, s10
	v_and_b32_e32 v3, 0xff, v12
	v_mov_b32_e32 v2, 0
	s_mov_b32 s10, exec_lo
	s_delay_alu instid0(VALU_DEP_2)
	v_cmpx_ne_u16_e32 0, v3
	s_cbranch_execz .LBB6_330
; %bb.325:                              ;   in Loop: Header=BB6_128 Depth=2
	v_bfrev_b32_e32 v2, 1
	s_mov_b32 s41, exec_lo
	v_cmpx_ne_u16_e32 0x80, v3
	s_cbranch_execz .LBB6_329
; %bb.326:                              ;   in Loop: Header=BB6_128 Depth=2
	v_and_b32_e32 v3, 0x7f, v12
	v_mov_b32_e32 v2, 0x7f800001
	s_mov_b32 s42, exec_lo
	s_delay_alu instid0(VALU_DEP_2)
	v_cmpx_ne_u32_e32 0x7f, v3
	s_cbranch_execz .LBB6_328
; %bb.327:                              ;   in Loop: Header=BB6_128 Depth=2
	v_dual_lshrrev_b32 v4, 3, v3 :: v_dual_bitop2_b32 v2, 7, v12 bitop3:0x40
	v_cmp_gt_u32_e32 vcc_lo, 8, v3
	s_delay_alu instid0(VALU_DEP_2) | instskip(NEXT) | instid1(VALU_DEP_1)
	v_clz_i32_u32_e32 v2, v2
	v_min_u32_e32 v2, 32, v2
	s_delay_alu instid0(VALU_DEP_1) | instskip(SKIP_1) | instid1(VALU_DEP_1)
	v_subrev_nc_u32_e32 v5, 28, v2
	v_sub_nc_u32_e32 v2, 29, v2
	v_dual_cndmask_b32 v4, v4, v2, vcc_lo :: v_dual_cndmask_b32 v2, 0, v5, vcc_lo
	s_delay_alu instid0(VALU_DEP_1) | instskip(NEXT) | instid1(VALU_DEP_2)
	v_lshl_add_u32 v4, v4, 23, 0x3c000000
	v_lshlrev_b64_e32 v[2:3], v2, v[12:13]
	v_lshlrev_b32_e32 v3, 24, v12
	s_delay_alu instid0(VALU_DEP_1) | instskip(NEXT) | instid1(VALU_DEP_3)
	v_and_b32_e32 v3, 0x80000000, v3
	v_lshlrev_b32_e32 v2, 20, v2
	s_delay_alu instid0(VALU_DEP_1) | instskip(NEXT) | instid1(VALU_DEP_1)
	v_and_b32_e32 v2, 0x700000, v2
	v_or3_b32 v2, v2, v3, v4
.LBB6_328:                              ;   in Loop: Header=BB6_128 Depth=2
	s_or_b32 exec_lo, exec_lo, s42
.LBB6_329:                              ;   in Loop: Header=BB6_128 Depth=2
	s_delay_alu instid0(SALU_CYCLE_1)
	s_or_b32 exec_lo, exec_lo, s41
.LBB6_330:                              ;   in Loop: Header=BB6_128 Depth=2
	s_delay_alu instid0(SALU_CYCLE_1) | instskip(NEXT) | instid1(VALU_DEP_1)
	s_or_b32 exec_lo, exec_lo, s10
	v_mul_f32_e32 v3, s40, v2
                                        ; implicit-def: $vgpr29
	s_mov_b32 s10, exec_lo
	s_delay_alu instid0(VALU_DEP_1) | instskip(SKIP_1) | instid1(VALU_DEP_2)
	v_and_b32_e32 v54, 0x7f800000, v3
	v_lshrrev_b32_e32 v2, 24, v3
	v_cmpx_ne_u64_e32 0x7f800000, v[54:55]
	s_xor_b32 s41, exec_lo, s10
	s_cbranch_execz .LBB6_344
; %bb.331:                              ;   in Loop: Header=BB6_128 Depth=2
	v_and_b32_e32 v54, 0x7fffffff, v3
	v_and_b32_e32 v2, 0x80, v2
                                        ; implicit-def: $vgpr29
	s_mov_b32 s10, exec_lo
	s_delay_alu instid0(VALU_DEP_2)
	v_cmpx_gt_u64_e32 0x43e00001, v[54:55]
	s_xor_b32 s42, exec_lo, s10
	s_cbranch_execz .LBB6_341
; %bb.332:                              ;   in Loop: Header=BB6_128 Depth=2
	v_mov_b32_e32 v29, 0
	s_mov_b32 s43, exec_lo
	v_cmpx_ne_u32_e32 0, v3
	s_cbranch_execz .LBB6_340
; %bb.333:                              ;   in Loop: Header=BB6_128 Depth=2
	v_bfe_u32 v4, v3, 23, 8
	v_and_b32_e32 v3, 0x7fffff, v3
	s_mov_b32 s44, exec_lo
	s_delay_alu instid0(VALU_DEP_2) | instskip(NEXT) | instid1(VALU_DEP_2)
	v_cmp_gt_u32_e32 vcc_lo, 0x7a, v4
	v_or_b32_e32 v8, 0x800000, v3
	v_sub_nc_u32_e32 v5, 0x79, v4
	s_delay_alu instid0(VALU_DEP_1) | instskip(SKIP_1) | instid1(VALU_DEP_2)
	v_cndmask_b32_e32 v5, 0, v5, vcc_lo
	v_cmp_eq_u32_e32 vcc_lo, 0, v4
	v_cndmask_b32_e64 v5, v5, 0x78, vcc_lo
	s_delay_alu instid0(VALU_DEP_1) | instskip(SKIP_1) | instid1(VALU_DEP_2)
	v_dual_cndmask_b32 v54, v8, v3, vcc_lo :: v_dual_add_nc_u32 v6, 20, v5
	v_add_nc_u32_e32 v9, 19, v5
	v_lshrrev_b64 v[10:11], v5, v[54:55]
	s_delay_alu instid0(VALU_DEP_3) | instskip(NEXT) | instid1(VALU_DEP_3)
	v_lshlrev_b64_e64 v[6:7], v6, -1
	v_lshlrev_b64_e64 v[8:9], v9, 1
	s_delay_alu instid0(VALU_DEP_3) | instskip(NEXT) | instid1(VALU_DEP_3)
	v_mov_b64_e32 v[14:15], v[10:11]
	v_bfi_b32 v7, v7, 0, 0
	s_delay_alu instid0(VALU_DEP_4) | instskip(NEXT) | instid1(VALU_DEP_1)
	v_bfi_b32 v6, v6, 0, v54
	v_cmpx_eq_u64_e64 v[6:7], v[8:9]
; %bb.334:                              ;   in Loop: Header=BB6_128 Depth=2
	v_bfe_u32 v54, v10, 20, 1
	s_delay_alu instid0(VALU_DEP_1) | instskip(NEXT) | instid1(VALU_DEP_1)
	v_add_nc_u64_e32 v[6:7], v[10:11], v[54:55]
	v_add_nc_u64_e32 v[14:15], -1, v[6:7]
; %bb.335:                              ;   in Loop: Header=BB6_128 Depth=2
	s_or_b32 exec_lo, exec_lo, s44
	v_add_nc_u32_e32 v3, 0xffffff81, v4
	v_lshrrev_b32_e32 v4, 23, v10
	s_mov_b32 s10, exec_lo
	s_delay_alu instid0(VALU_DEP_2) | instskip(NEXT) | instid1(VALU_DEP_1)
	v_cndmask_b32_e64 v3, v3, 0xffffff82, vcc_lo
	v_add3_u32 v4, v5, v3, v4
	v_and_b32_e32 v3, 0xfffff, v14
	s_delay_alu instid0(VALU_DEP_1) | instskip(NEXT) | instid1(VALU_DEP_1)
	v_dual_add_nc_u32 v5, 6, v4 :: v_dual_add_nc_u32 v54, v3, v10
                                        ; implicit-def: $vgpr10_vgpr11
                                        ; implicit-def: $vgpr3
	v_cmpx_ne_u32_e32 0, v5
	s_xor_b32 s10, exec_lo, s10
; %bb.336:                              ;   in Loop: Header=BB6_128 Depth=2
	s_delay_alu instid0(VALU_DEP_2) | instskip(SKIP_2) | instid1(VALU_DEP_2)
	v_cmp_lt_u64_e32 vcc_lo, 0xffffff, v[54:55]
	v_add_nc_u32_e32 v3, 7, v4
	v_cndmask_b32_e64 v4, 0, 1, vcc_lo
	v_cndmask_b32_e32 v3, v5, v3, vcc_lo
	s_delay_alu instid0(VALU_DEP_2)
	v_lshrrev_b64 v[10:11], v4, v[54:55]
; %bb.337:                              ;   in Loop: Header=BB6_128 Depth=2
	s_and_not1_saveexec_b32 s10, s10
; %bb.338:                              ;   in Loop: Header=BB6_128 Depth=2
	v_mov_b64_e32 v[10:11], v[54:55]
	v_bfe_u32 v3, v54, 23, 1
; %bb.339:                              ;   in Loop: Header=BB6_128 Depth=2
	s_or_b32 exec_lo, exec_lo, s10
	s_delay_alu instid0(VALU_DEP_2) | instskip(NEXT) | instid1(VALU_DEP_2)
	v_lshrrev_b64 v[4:5], 20, v[10:11]
	v_cmp_gt_i32_e32 vcc_lo, 16, v3
	v_min_i32_e32 v6, 15, v3
	v_cmp_eq_u32_e64 s10, 0, v3
	s_delay_alu instid0(VALU_DEP_2) | instskip(SKIP_1) | instid1(VALU_DEP_2)
	v_dual_cndmask_b32 v5, 0, v5 :: v_dual_lshlrev_b32 v6, 3, v6
	v_cndmask_b32_e32 v4, 7, v4, vcc_lo
	v_and_b32_e32 v6, 0xf8, v6
	s_delay_alu instid0(VALU_DEP_2) | instskip(NEXT) | instid1(VALU_DEP_2)
	v_cmp_eq_u64_e32 vcc_lo, 0, v[4:5]
	v_and_or_b32 v3, v4, 7, v6
	s_and_b32 s10, s10, vcc_lo
	s_delay_alu instid0(VALU_DEP_1) | instid1(SALU_CYCLE_1)
	v_cndmask_b32_e64 v3, v3, 0, s10
	s_delay_alu instid0(VALU_DEP_1)
	v_or_b32_e32 v29, v3, v2
.LBB6_340:                              ;   in Loop: Header=BB6_128 Depth=2
	s_or_b32 exec_lo, exec_lo, s43
                                        ; implicit-def: $vgpr2
.LBB6_341:                              ;   in Loop: Header=BB6_128 Depth=2
	s_and_not1_saveexec_b32 s10, s42
; %bb.342:                              ;   in Loop: Header=BB6_128 Depth=2
	v_or_b32_e32 v29, 0x7e, v2
; %bb.343:                              ;   in Loop: Header=BB6_128 Depth=2
	s_or_b32 exec_lo, exec_lo, s10
                                        ; implicit-def: $vgpr2
.LBB6_344:                              ;   in Loop: Header=BB6_128 Depth=2
	s_and_not1_saveexec_b32 s10, s41
; %bb.345:                              ;   in Loop: Header=BB6_128 Depth=2
	v_or_b32_e32 v29, 0x7f, v2
; %bb.346:                              ;   in Loop: Header=BB6_128 Depth=2
	s_or_b32 exec_lo, exec_lo, s10
	v_lshrrev_b16 v3, 8, v12
	v_mov_b32_e32 v2, 0
	s_mov_b32 s10, exec_lo
	s_delay_alu instid0(VALU_DEP_2)
	v_cmpx_ne_u16_e32 0, v3
	s_cbranch_execz .LBB6_354
; %bb.347:                              ;   in Loop: Header=BB6_128 Depth=2
	v_bfrev_b32_e32 v2, 1
	s_mov_b32 s41, exec_lo
	v_cmpx_ne_u16_e32 0x80, v3
	s_cbranch_execz .LBB6_353
; %bb.348:                              ;   in Loop: Header=BB6_128 Depth=2
	v_and_b32_e32 v4, 0xffff, v3
	v_mov_b32_e32 v2, 0x7f800001
	s_mov_b32 s42, exec_lo
	s_delay_alu instid0(VALU_DEP_2) | instskip(NEXT) | instid1(VALU_DEP_1)
	v_and_b32_e32 v3, 0x7f, v4
	v_cmpx_ne_u32_e32 0x7f, v3
	s_cbranch_execz .LBB6_352
; %bb.349:                              ;   in Loop: Header=BB6_128 Depth=2
	v_dual_lshrrev_b32 v2, 3, v3 :: v_dual_bitop2_b32 v54, 7, v4 bitop3:0x40
	s_mov_b32 s43, exec_lo
	v_cmpx_gt_u32_e32 8, v3
; %bb.350:                              ;   in Loop: Header=BB6_128 Depth=2
	s_delay_alu instid0(VALU_DEP_2) | instskip(NEXT) | instid1(VALU_DEP_1)
	v_clz_i32_u32_e32 v2, v54
	v_min_u32_e32 v2, 32, v2
	s_delay_alu instid0(VALU_DEP_1) | instskip(NEXT) | instid1(VALU_DEP_1)
	v_subrev_nc_u32_e32 v3, 28, v2
	v_lshlrev_b64_e32 v[4:5], v3, v[54:55]
	s_delay_alu instid0(VALU_DEP_1)
	v_dual_sub_nc_u32 v2, 29, v2 :: v_dual_bitop2_b32 v54, 7, v4 bitop3:0x40
; %bb.351:                              ;   in Loop: Header=BB6_128 Depth=2
	s_or_b32 exec_lo, exec_lo, s43
	s_delay_alu instid0(VALU_DEP_1) | instskip(NEXT) | instid1(VALU_DEP_2)
	v_dual_lshlrev_b32 v3, 16, v12 :: v_dual_lshlrev_b32 v4, 20, v54
	v_lshl_add_u32 v2, v2, 23, 0x3c000000
	s_delay_alu instid0(VALU_DEP_2) | instskip(NEXT) | instid1(VALU_DEP_1)
	v_and_b32_e32 v3, 0x80000000, v3
	v_or3_b32 v2, v4, v3, v2
.LBB6_352:                              ;   in Loop: Header=BB6_128 Depth=2
	s_or_b32 exec_lo, exec_lo, s42
.LBB6_353:                              ;   in Loop: Header=BB6_128 Depth=2
	s_delay_alu instid0(SALU_CYCLE_1)
	s_or_b32 exec_lo, exec_lo, s41
.LBB6_354:                              ;   in Loop: Header=BB6_128 Depth=2
	s_delay_alu instid0(SALU_CYCLE_1) | instskip(NEXT) | instid1(VALU_DEP_1)
	s_or_b32 exec_lo, exec_lo, s10
	v_mul_f32_e32 v3, s40, v2
                                        ; implicit-def: $vgpr101
	s_mov_b32 s10, exec_lo
	s_delay_alu instid0(VALU_DEP_1) | instskip(SKIP_1) | instid1(VALU_DEP_2)
	v_and_b32_e32 v54, 0x7f800000, v3
	v_lshrrev_b32_e32 v2, 24, v3
	v_cmpx_ne_u64_e32 0x7f800000, v[54:55]
	s_xor_b32 s41, exec_lo, s10
	s_cbranch_execz .LBB6_368
; %bb.355:                              ;   in Loop: Header=BB6_128 Depth=2
	v_and_b32_e32 v54, 0x7fffffff, v3
	v_and_b32_e32 v2, 0x80, v2
                                        ; implicit-def: $vgpr101
	s_mov_b32 s10, exec_lo
	s_delay_alu instid0(VALU_DEP_2)
	v_cmpx_gt_u64_e32 0x43e00001, v[54:55]
	s_xor_b32 s42, exec_lo, s10
	s_cbranch_execz .LBB6_365
; %bb.356:                              ;   in Loop: Header=BB6_128 Depth=2
	v_mov_b32_e32 v101, 0
	s_mov_b32 s43, exec_lo
	v_cmpx_ne_u32_e32 0, v3
	s_cbranch_execz .LBB6_364
; %bb.357:                              ;   in Loop: Header=BB6_128 Depth=2
	v_bfe_u32 v4, v3, 23, 8
	v_and_b32_e32 v3, 0x7fffff, v3
	s_mov_b32 s44, exec_lo
	s_delay_alu instid0(VALU_DEP_2) | instskip(NEXT) | instid1(VALU_DEP_2)
	v_cmp_gt_u32_e32 vcc_lo, 0x7a, v4
	v_or_b32_e32 v8, 0x800000, v3
	v_sub_nc_u32_e32 v5, 0x79, v4
	s_delay_alu instid0(VALU_DEP_1) | instskip(SKIP_1) | instid1(VALU_DEP_2)
	v_cndmask_b32_e32 v5, 0, v5, vcc_lo
	v_cmp_eq_u32_e32 vcc_lo, 0, v4
	v_cndmask_b32_e64 v5, v5, 0x78, vcc_lo
	s_delay_alu instid0(VALU_DEP_1) | instskip(SKIP_1) | instid1(VALU_DEP_2)
	v_dual_cndmask_b32 v54, v8, v3, vcc_lo :: v_dual_add_nc_u32 v6, 20, v5
	v_add_nc_u32_e32 v9, 19, v5
	v_lshrrev_b64 v[10:11], v5, v[54:55]
	s_delay_alu instid0(VALU_DEP_3) | instskip(NEXT) | instid1(VALU_DEP_3)
	v_lshlrev_b64_e64 v[6:7], v6, -1
	v_lshlrev_b64_e64 v[8:9], v9, 1
	s_delay_alu instid0(VALU_DEP_3) | instskip(NEXT) | instid1(VALU_DEP_3)
	v_mov_b64_e32 v[14:15], v[10:11]
	v_bfi_b32 v7, v7, 0, 0
	s_delay_alu instid0(VALU_DEP_4) | instskip(NEXT) | instid1(VALU_DEP_1)
	v_bfi_b32 v6, v6, 0, v54
	v_cmpx_eq_u64_e64 v[6:7], v[8:9]
; %bb.358:                              ;   in Loop: Header=BB6_128 Depth=2
	v_bfe_u32 v54, v10, 20, 1
	s_delay_alu instid0(VALU_DEP_1) | instskip(NEXT) | instid1(VALU_DEP_1)
	v_add_nc_u64_e32 v[6:7], v[10:11], v[54:55]
	v_add_nc_u64_e32 v[14:15], -1, v[6:7]
; %bb.359:                              ;   in Loop: Header=BB6_128 Depth=2
	s_or_b32 exec_lo, exec_lo, s44
	v_add_nc_u32_e32 v3, 0xffffff81, v4
	v_lshrrev_b32_e32 v4, 23, v10
	s_mov_b32 s10, exec_lo
	s_delay_alu instid0(VALU_DEP_2) | instskip(NEXT) | instid1(VALU_DEP_1)
	v_cndmask_b32_e64 v3, v3, 0xffffff82, vcc_lo
	v_add3_u32 v4, v5, v3, v4
	v_and_b32_e32 v3, 0xfffff, v14
	s_delay_alu instid0(VALU_DEP_1) | instskip(NEXT) | instid1(VALU_DEP_1)
	v_dual_add_nc_u32 v5, 6, v4 :: v_dual_add_nc_u32 v54, v3, v10
                                        ; implicit-def: $vgpr10_vgpr11
                                        ; implicit-def: $vgpr3
	v_cmpx_ne_u32_e32 0, v5
	s_xor_b32 s10, exec_lo, s10
; %bb.360:                              ;   in Loop: Header=BB6_128 Depth=2
	s_delay_alu instid0(VALU_DEP_2) | instskip(SKIP_2) | instid1(VALU_DEP_2)
	v_cmp_lt_u64_e32 vcc_lo, 0xffffff, v[54:55]
	v_add_nc_u32_e32 v3, 7, v4
	v_cndmask_b32_e64 v4, 0, 1, vcc_lo
	v_cndmask_b32_e32 v3, v5, v3, vcc_lo
	s_delay_alu instid0(VALU_DEP_2)
	v_lshrrev_b64 v[10:11], v4, v[54:55]
; %bb.361:                              ;   in Loop: Header=BB6_128 Depth=2
	s_and_not1_saveexec_b32 s10, s10
; %bb.362:                              ;   in Loop: Header=BB6_128 Depth=2
	v_mov_b64_e32 v[10:11], v[54:55]
	v_bfe_u32 v3, v54, 23, 1
; %bb.363:                              ;   in Loop: Header=BB6_128 Depth=2
	s_or_b32 exec_lo, exec_lo, s10
	s_delay_alu instid0(VALU_DEP_2) | instskip(NEXT) | instid1(VALU_DEP_2)
	v_lshrrev_b64 v[4:5], 20, v[10:11]
	v_cmp_gt_i32_e32 vcc_lo, 16, v3
	v_min_i32_e32 v6, 15, v3
	v_cmp_eq_u32_e64 s10, 0, v3
	s_delay_alu instid0(VALU_DEP_2) | instskip(SKIP_1) | instid1(VALU_DEP_2)
	v_dual_cndmask_b32 v5, 0, v5 :: v_dual_lshlrev_b32 v6, 3, v6
	v_cndmask_b32_e32 v4, 7, v4, vcc_lo
	v_and_b32_e32 v6, 0xf8, v6
	s_delay_alu instid0(VALU_DEP_2) | instskip(NEXT) | instid1(VALU_DEP_2)
	v_cmp_eq_u64_e32 vcc_lo, 0, v[4:5]
	v_and_or_b32 v3, v4, 7, v6
	s_and_b32 s10, s10, vcc_lo
	s_delay_alu instid0(VALU_DEP_1) | instid1(SALU_CYCLE_1)
	v_cndmask_b32_e64 v3, v3, 0, s10
	s_delay_alu instid0(VALU_DEP_1)
	v_or_b32_e32 v101, v3, v2
.LBB6_364:                              ;   in Loop: Header=BB6_128 Depth=2
	s_or_b32 exec_lo, exec_lo, s43
                                        ; implicit-def: $vgpr2
.LBB6_365:                              ;   in Loop: Header=BB6_128 Depth=2
	s_and_not1_saveexec_b32 s10, s42
; %bb.366:                              ;   in Loop: Header=BB6_128 Depth=2
	v_or_b32_e32 v101, 0x7e, v2
; %bb.367:                              ;   in Loop: Header=BB6_128 Depth=2
	s_or_b32 exec_lo, exec_lo, s10
                                        ; implicit-def: $vgpr2
.LBB6_368:                              ;   in Loop: Header=BB6_128 Depth=2
	s_and_not1_saveexec_b32 s10, s41
; %bb.369:                              ;   in Loop: Header=BB6_128 Depth=2
	v_or_b32_e32 v101, 0x7f, v2
; %bb.370:                              ;   in Loop: Header=BB6_128 Depth=2
	s_or_b32 exec_lo, exec_lo, s10
	v_dual_mov_b32 v3, 0 :: v_dual_lshrrev_b32 v2, 16, v12
	s_mov_b32 s10, exec_lo
	s_delay_alu instid0(VALU_DEP_1) | instskip(NEXT) | instid1(VALU_DEP_1)
	v_and_b32_e32 v4, 0xff, v2
	v_cmpx_ne_u16_e32 0, v4
	s_cbranch_execz .LBB6_378
; %bb.371:                              ;   in Loop: Header=BB6_128 Depth=2
	v_bfrev_b32_e32 v3, 1
	s_mov_b32 s41, exec_lo
	v_cmpx_ne_u16_e32 0x80, v4
	s_cbranch_execz .LBB6_377
; %bb.372:                              ;   in Loop: Header=BB6_128 Depth=2
	v_bfe_u32 v4, v12, 16, 7
	v_mov_b32_e32 v3, 0x7f800001
	s_mov_b32 s42, exec_lo
	s_delay_alu instid0(VALU_DEP_2)
	v_cmpx_ne_u32_e32 0x7f, v4
	s_cbranch_execz .LBB6_376
; %bb.373:                              ;   in Loop: Header=BB6_128 Depth=2
	v_dual_lshrrev_b32 v3, 3, v4 :: v_dual_bitop2_b32 v54, 7, v2 bitop3:0x40
	s_mov_b32 s43, exec_lo
	v_cmpx_gt_u32_e32 8, v4
; %bb.374:                              ;   in Loop: Header=BB6_128 Depth=2
	s_delay_alu instid0(VALU_DEP_2) | instskip(NEXT) | instid1(VALU_DEP_1)
	v_clz_i32_u32_e32 v3, v54
	v_min_u32_e32 v3, 32, v3
	s_delay_alu instid0(VALU_DEP_1) | instskip(NEXT) | instid1(VALU_DEP_1)
	v_subrev_nc_u32_e32 v4, 28, v3
	v_lshlrev_b64_e32 v[4:5], v4, v[54:55]
	s_delay_alu instid0(VALU_DEP_1)
	v_dual_sub_nc_u32 v3, 29, v3 :: v_dual_bitop2_b32 v54, 7, v4 bitop3:0x40
; %bb.375:                              ;   in Loop: Header=BB6_128 Depth=2
	s_or_b32 exec_lo, exec_lo, s43
	v_lshlrev_b32_e32 v2, 24, v2
	s_delay_alu instid0(VALU_DEP_2) | instskip(NEXT) | instid1(VALU_DEP_3)
	v_lshlrev_b32_e32 v4, 20, v54
	v_lshl_add_u32 v3, v3, 23, 0x3c000000
	s_delay_alu instid0(VALU_DEP_3) | instskip(NEXT) | instid1(VALU_DEP_1)
	v_and_b32_e32 v2, 0x80000000, v2
	v_or3_b32 v3, v4, v2, v3
.LBB6_376:                              ;   in Loop: Header=BB6_128 Depth=2
	s_or_b32 exec_lo, exec_lo, s42
.LBB6_377:                              ;   in Loop: Header=BB6_128 Depth=2
	s_delay_alu instid0(SALU_CYCLE_1)
	s_or_b32 exec_lo, exec_lo, s41
.LBB6_378:                              ;   in Loop: Header=BB6_128 Depth=2
	s_delay_alu instid0(SALU_CYCLE_1) | instskip(NEXT) | instid1(VALU_DEP_1)
	s_or_b32 exec_lo, exec_lo, s10
	v_mul_f32_e32 v3, s40, v3
                                        ; implicit-def: $vgpr108
	s_mov_b32 s10, exec_lo
	s_delay_alu instid0(VALU_DEP_1) | instskip(SKIP_1) | instid1(VALU_DEP_2)
	v_and_b32_e32 v54, 0x7f800000, v3
	v_lshrrev_b32_e32 v2, 24, v3
	v_cmpx_ne_u64_e32 0x7f800000, v[54:55]
	s_xor_b32 s41, exec_lo, s10
	s_cbranch_execz .LBB6_392
; %bb.379:                              ;   in Loop: Header=BB6_128 Depth=2
	v_and_b32_e32 v54, 0x7fffffff, v3
	v_and_b32_e32 v2, 0x80, v2
                                        ; implicit-def: $vgpr108
	s_mov_b32 s10, exec_lo
	s_delay_alu instid0(VALU_DEP_2)
	v_cmpx_gt_u64_e32 0x43e00001, v[54:55]
	s_xor_b32 s42, exec_lo, s10
	s_cbranch_execz .LBB6_389
; %bb.380:                              ;   in Loop: Header=BB6_128 Depth=2
	v_mov_b32_e32 v108, 0
	s_mov_b32 s43, exec_lo
	v_cmpx_ne_u32_e32 0, v3
	s_cbranch_execz .LBB6_388
; %bb.381:                              ;   in Loop: Header=BB6_128 Depth=2
	v_bfe_u32 v4, v3, 23, 8
	v_and_b32_e32 v3, 0x7fffff, v3
	s_mov_b32 s44, exec_lo
	s_delay_alu instid0(VALU_DEP_2) | instskip(NEXT) | instid1(VALU_DEP_2)
	v_cmp_gt_u32_e32 vcc_lo, 0x7a, v4
	v_or_b32_e32 v8, 0x800000, v3
	v_sub_nc_u32_e32 v5, 0x79, v4
	s_delay_alu instid0(VALU_DEP_1) | instskip(SKIP_1) | instid1(VALU_DEP_2)
	v_cndmask_b32_e32 v5, 0, v5, vcc_lo
	v_cmp_eq_u32_e32 vcc_lo, 0, v4
	v_cndmask_b32_e64 v5, v5, 0x78, vcc_lo
	s_delay_alu instid0(VALU_DEP_1) | instskip(SKIP_1) | instid1(VALU_DEP_2)
	v_dual_cndmask_b32 v54, v8, v3, vcc_lo :: v_dual_add_nc_u32 v6, 20, v5
	v_add_nc_u32_e32 v9, 19, v5
	v_lshrrev_b64 v[10:11], v5, v[54:55]
	s_delay_alu instid0(VALU_DEP_3) | instskip(NEXT) | instid1(VALU_DEP_3)
	v_lshlrev_b64_e64 v[6:7], v6, -1
	v_lshlrev_b64_e64 v[8:9], v9, 1
	s_delay_alu instid0(VALU_DEP_3) | instskip(NEXT) | instid1(VALU_DEP_3)
	v_mov_b64_e32 v[14:15], v[10:11]
	v_bfi_b32 v7, v7, 0, 0
	s_delay_alu instid0(VALU_DEP_4) | instskip(NEXT) | instid1(VALU_DEP_1)
	v_bfi_b32 v6, v6, 0, v54
	v_cmpx_eq_u64_e64 v[6:7], v[8:9]
; %bb.382:                              ;   in Loop: Header=BB6_128 Depth=2
	v_bfe_u32 v54, v10, 20, 1
	s_delay_alu instid0(VALU_DEP_1) | instskip(NEXT) | instid1(VALU_DEP_1)
	v_add_nc_u64_e32 v[6:7], v[10:11], v[54:55]
	v_add_nc_u64_e32 v[14:15], -1, v[6:7]
; %bb.383:                              ;   in Loop: Header=BB6_128 Depth=2
	s_or_b32 exec_lo, exec_lo, s44
	v_add_nc_u32_e32 v3, 0xffffff81, v4
	v_lshrrev_b32_e32 v4, 23, v10
	s_mov_b32 s10, exec_lo
	s_delay_alu instid0(VALU_DEP_2) | instskip(NEXT) | instid1(VALU_DEP_1)
	v_cndmask_b32_e64 v3, v3, 0xffffff82, vcc_lo
	v_add3_u32 v4, v5, v3, v4
	v_and_b32_e32 v3, 0xfffff, v14
	s_delay_alu instid0(VALU_DEP_1) | instskip(NEXT) | instid1(VALU_DEP_1)
	v_dual_add_nc_u32 v5, 6, v4 :: v_dual_add_nc_u32 v54, v3, v10
                                        ; implicit-def: $vgpr10_vgpr11
                                        ; implicit-def: $vgpr3
	v_cmpx_ne_u32_e32 0, v5
	s_xor_b32 s10, exec_lo, s10
; %bb.384:                              ;   in Loop: Header=BB6_128 Depth=2
	s_delay_alu instid0(VALU_DEP_2) | instskip(SKIP_2) | instid1(VALU_DEP_2)
	v_cmp_lt_u64_e32 vcc_lo, 0xffffff, v[54:55]
	v_add_nc_u32_e32 v3, 7, v4
	v_cndmask_b32_e64 v4, 0, 1, vcc_lo
	v_cndmask_b32_e32 v3, v5, v3, vcc_lo
	s_delay_alu instid0(VALU_DEP_2)
	v_lshrrev_b64 v[10:11], v4, v[54:55]
; %bb.385:                              ;   in Loop: Header=BB6_128 Depth=2
	s_and_not1_saveexec_b32 s10, s10
; %bb.386:                              ;   in Loop: Header=BB6_128 Depth=2
	v_mov_b64_e32 v[10:11], v[54:55]
	v_bfe_u32 v3, v54, 23, 1
; %bb.387:                              ;   in Loop: Header=BB6_128 Depth=2
	s_or_b32 exec_lo, exec_lo, s10
	s_delay_alu instid0(VALU_DEP_2) | instskip(NEXT) | instid1(VALU_DEP_2)
	v_lshrrev_b64 v[4:5], 20, v[10:11]
	v_cmp_gt_i32_e32 vcc_lo, 16, v3
	v_min_i32_e32 v6, 15, v3
	v_cmp_eq_u32_e64 s10, 0, v3
	s_delay_alu instid0(VALU_DEP_2) | instskip(SKIP_1) | instid1(VALU_DEP_2)
	v_dual_cndmask_b32 v5, 0, v5 :: v_dual_lshlrev_b32 v6, 3, v6
	v_cndmask_b32_e32 v4, 7, v4, vcc_lo
	v_and_b32_e32 v6, 0xf8, v6
	s_delay_alu instid0(VALU_DEP_2) | instskip(NEXT) | instid1(VALU_DEP_2)
	v_cmp_eq_u64_e32 vcc_lo, 0, v[4:5]
	v_and_or_b32 v3, v4, 7, v6
	s_and_b32 s10, s10, vcc_lo
	s_delay_alu instid0(VALU_DEP_1) | instid1(SALU_CYCLE_1)
	v_cndmask_b32_e64 v3, v3, 0, s10
	s_delay_alu instid0(VALU_DEP_1)
	v_or_b32_e32 v108, v3, v2
.LBB6_388:                              ;   in Loop: Header=BB6_128 Depth=2
	s_or_b32 exec_lo, exec_lo, s43
                                        ; implicit-def: $vgpr2
.LBB6_389:                              ;   in Loop: Header=BB6_128 Depth=2
	s_and_not1_saveexec_b32 s10, s42
; %bb.390:                              ;   in Loop: Header=BB6_128 Depth=2
	v_or_b32_e32 v108, 0x7e, v2
; %bb.391:                              ;   in Loop: Header=BB6_128 Depth=2
	s_or_b32 exec_lo, exec_lo, s10
                                        ; implicit-def: $vgpr2
.LBB6_392:                              ;   in Loop: Header=BB6_128 Depth=2
	s_and_not1_saveexec_b32 s10, s41
; %bb.393:                              ;   in Loop: Header=BB6_128 Depth=2
	v_or_b32_e32 v108, 0x7f, v2
; %bb.394:                              ;   in Loop: Header=BB6_128 Depth=2
	s_or_b32 exec_lo, exec_lo, s10
	v_mov_b32_e32 v3, 0
	s_mov_b32 s10, exec_lo
	v_cmpx_lt_u32_e32 0xffffff, v12
	s_cbranch_execz .LBB6_402
; %bb.395:                              ;   in Loop: Header=BB6_128 Depth=2
	v_lshrrev_b32_e32 v2, 24, v12
	v_bfrev_b32_e32 v3, 1
	s_mov_b32 s41, exec_lo
	s_delay_alu instid0(VALU_DEP_2)
	v_cmpx_ne_u32_e32 0x80, v2
	s_cbranch_execz .LBB6_401
; %bb.396:                              ;   in Loop: Header=BB6_128 Depth=2
	v_bfe_u32 v4, v12, 24, 7
	v_mov_b32_e32 v3, 0x7f800001
	s_mov_b32 s42, exec_lo
	s_delay_alu instid0(VALU_DEP_2)
	v_cmpx_ne_u32_e32 0x7f, v4
	s_cbranch_execz .LBB6_400
; %bb.397:                              ;   in Loop: Header=BB6_128 Depth=2
	v_dual_lshrrev_b32 v3, 3, v4 :: v_dual_bitop2_b32 v54, 7, v2 bitop3:0x40
	s_mov_b32 s43, exec_lo
	v_cmpx_gt_u32_e32 8, v4
; %bb.398:                              ;   in Loop: Header=BB6_128 Depth=2
	s_delay_alu instid0(VALU_DEP_2) | instskip(NEXT) | instid1(VALU_DEP_1)
	v_clz_i32_u32_e32 v3, v54
	v_min_u32_e32 v3, 32, v3
	s_delay_alu instid0(VALU_DEP_1) | instskip(NEXT) | instid1(VALU_DEP_1)
	v_subrev_nc_u32_e32 v4, 28, v3
	v_lshlrev_b64_e32 v[4:5], v4, v[54:55]
	s_delay_alu instid0(VALU_DEP_1)
	v_dual_sub_nc_u32 v3, 29, v3 :: v_dual_bitop2_b32 v54, 7, v4 bitop3:0x40
; %bb.399:                              ;   in Loop: Header=BB6_128 Depth=2
	s_or_b32 exec_lo, exec_lo, s43
	v_lshlrev_b32_e32 v2, 24, v2
	s_delay_alu instid0(VALU_DEP_2) | instskip(NEXT) | instid1(VALU_DEP_3)
	v_lshlrev_b32_e32 v4, 20, v54
	v_lshl_add_u32 v3, v3, 23, 0x3c000000
	s_delay_alu instid0(VALU_DEP_3) | instskip(NEXT) | instid1(VALU_DEP_1)
	v_and_b32_e32 v2, 0x80000000, v2
	v_or3_b32 v3, v4, v2, v3
.LBB6_400:                              ;   in Loop: Header=BB6_128 Depth=2
	s_or_b32 exec_lo, exec_lo, s42
.LBB6_401:                              ;   in Loop: Header=BB6_128 Depth=2
	s_delay_alu instid0(SALU_CYCLE_1)
	s_or_b32 exec_lo, exec_lo, s41
.LBB6_402:                              ;   in Loop: Header=BB6_128 Depth=2
	s_delay_alu instid0(SALU_CYCLE_1) | instskip(NEXT) | instid1(VALU_DEP_1)
	s_or_b32 exec_lo, exec_lo, s10
	v_mul_f32_e32 v3, s40, v3
                                        ; implicit-def: $vgpr111
	s_mov_b32 s10, exec_lo
	s_delay_alu instid0(VALU_DEP_1) | instskip(SKIP_1) | instid1(VALU_DEP_2)
	v_and_b32_e32 v54, 0x7f800000, v3
	v_lshrrev_b32_e32 v2, 24, v3
	v_cmpx_ne_u64_e32 0x7f800000, v[54:55]
	s_xor_b32 s41, exec_lo, s10
	s_cbranch_execz .LBB6_416
; %bb.403:                              ;   in Loop: Header=BB6_128 Depth=2
	v_and_b32_e32 v54, 0x7fffffff, v3
	v_and_b32_e32 v2, 0x80, v2
                                        ; implicit-def: $vgpr111
	s_mov_b32 s10, exec_lo
	s_delay_alu instid0(VALU_DEP_2)
	v_cmpx_gt_u64_e32 0x43e00001, v[54:55]
	s_xor_b32 s42, exec_lo, s10
	s_cbranch_execz .LBB6_413
; %bb.404:                              ;   in Loop: Header=BB6_128 Depth=2
	v_mov_b32_e32 v111, 0
	s_mov_b32 s43, exec_lo
	v_cmpx_ne_u32_e32 0, v3
	s_cbranch_execz .LBB6_412
; %bb.405:                              ;   in Loop: Header=BB6_128 Depth=2
	v_bfe_u32 v4, v3, 23, 8
	v_and_b32_e32 v3, 0x7fffff, v3
	s_mov_b32 s44, exec_lo
	s_delay_alu instid0(VALU_DEP_2) | instskip(NEXT) | instid1(VALU_DEP_2)
	v_cmp_gt_u32_e32 vcc_lo, 0x7a, v4
	v_or_b32_e32 v8, 0x800000, v3
	v_sub_nc_u32_e32 v5, 0x79, v4
	s_delay_alu instid0(VALU_DEP_1) | instskip(SKIP_1) | instid1(VALU_DEP_2)
	v_cndmask_b32_e32 v5, 0, v5, vcc_lo
	v_cmp_eq_u32_e32 vcc_lo, 0, v4
	v_cndmask_b32_e64 v5, v5, 0x78, vcc_lo
	s_delay_alu instid0(VALU_DEP_1) | instskip(SKIP_1) | instid1(VALU_DEP_2)
	v_dual_cndmask_b32 v54, v8, v3, vcc_lo :: v_dual_add_nc_u32 v6, 20, v5
	v_add_nc_u32_e32 v9, 19, v5
	v_lshrrev_b64 v[10:11], v5, v[54:55]
	s_delay_alu instid0(VALU_DEP_3) | instskip(NEXT) | instid1(VALU_DEP_3)
	v_lshlrev_b64_e64 v[6:7], v6, -1
	v_lshlrev_b64_e64 v[8:9], v9, 1
	s_delay_alu instid0(VALU_DEP_3) | instskip(NEXT) | instid1(VALU_DEP_3)
	v_mov_b64_e32 v[14:15], v[10:11]
	v_bfi_b32 v7, v7, 0, 0
	s_delay_alu instid0(VALU_DEP_4) | instskip(NEXT) | instid1(VALU_DEP_1)
	v_bfi_b32 v6, v6, 0, v54
	v_cmpx_eq_u64_e64 v[6:7], v[8:9]
; %bb.406:                              ;   in Loop: Header=BB6_128 Depth=2
	v_bfe_u32 v54, v10, 20, 1
	s_delay_alu instid0(VALU_DEP_1) | instskip(NEXT) | instid1(VALU_DEP_1)
	v_add_nc_u64_e32 v[6:7], v[10:11], v[54:55]
	v_add_nc_u64_e32 v[14:15], -1, v[6:7]
; %bb.407:                              ;   in Loop: Header=BB6_128 Depth=2
	s_or_b32 exec_lo, exec_lo, s44
	v_add_nc_u32_e32 v3, 0xffffff81, v4
	v_lshrrev_b32_e32 v4, 23, v10
	s_mov_b32 s10, exec_lo
	s_delay_alu instid0(VALU_DEP_2) | instskip(NEXT) | instid1(VALU_DEP_1)
	v_cndmask_b32_e64 v3, v3, 0xffffff82, vcc_lo
	v_add3_u32 v4, v5, v3, v4
	v_and_b32_e32 v3, 0xfffff, v14
	s_delay_alu instid0(VALU_DEP_1) | instskip(NEXT) | instid1(VALU_DEP_1)
	v_dual_add_nc_u32 v5, 6, v4 :: v_dual_add_nc_u32 v54, v3, v10
                                        ; implicit-def: $vgpr10_vgpr11
                                        ; implicit-def: $vgpr3
	v_cmpx_ne_u32_e32 0, v5
	s_xor_b32 s10, exec_lo, s10
; %bb.408:                              ;   in Loop: Header=BB6_128 Depth=2
	s_delay_alu instid0(VALU_DEP_2) | instskip(SKIP_2) | instid1(VALU_DEP_2)
	v_cmp_lt_u64_e32 vcc_lo, 0xffffff, v[54:55]
	v_add_nc_u32_e32 v3, 7, v4
	v_cndmask_b32_e64 v4, 0, 1, vcc_lo
	v_cndmask_b32_e32 v3, v5, v3, vcc_lo
	s_delay_alu instid0(VALU_DEP_2)
	v_lshrrev_b64 v[10:11], v4, v[54:55]
; %bb.409:                              ;   in Loop: Header=BB6_128 Depth=2
	s_and_not1_saveexec_b32 s10, s10
; %bb.410:                              ;   in Loop: Header=BB6_128 Depth=2
	v_mov_b64_e32 v[10:11], v[54:55]
	v_bfe_u32 v3, v54, 23, 1
; %bb.411:                              ;   in Loop: Header=BB6_128 Depth=2
	s_or_b32 exec_lo, exec_lo, s10
	s_delay_alu instid0(VALU_DEP_2) | instskip(NEXT) | instid1(VALU_DEP_2)
	v_lshrrev_b64 v[4:5], 20, v[10:11]
	v_cmp_gt_i32_e32 vcc_lo, 16, v3
	v_min_i32_e32 v6, 15, v3
	v_cmp_eq_u32_e64 s10, 0, v3
	s_delay_alu instid0(VALU_DEP_2) | instskip(SKIP_1) | instid1(VALU_DEP_2)
	v_dual_cndmask_b32 v5, 0, v5 :: v_dual_lshlrev_b32 v6, 3, v6
	v_cndmask_b32_e32 v4, 7, v4, vcc_lo
	v_and_b32_e32 v6, 0xf8, v6
	s_delay_alu instid0(VALU_DEP_2) | instskip(NEXT) | instid1(VALU_DEP_2)
	v_cmp_eq_u64_e32 vcc_lo, 0, v[4:5]
	v_and_or_b32 v3, v4, 7, v6
	s_and_b32 s10, s10, vcc_lo
	s_delay_alu instid0(VALU_DEP_1) | instid1(SALU_CYCLE_1)
	v_cndmask_b32_e64 v3, v3, 0, s10
	s_delay_alu instid0(VALU_DEP_1)
	v_or_b32_e32 v111, v3, v2
.LBB6_412:                              ;   in Loop: Header=BB6_128 Depth=2
	s_or_b32 exec_lo, exec_lo, s43
                                        ; implicit-def: $vgpr2
.LBB6_413:                              ;   in Loop: Header=BB6_128 Depth=2
	s_and_not1_saveexec_b32 s10, s42
; %bb.414:                              ;   in Loop: Header=BB6_128 Depth=2
	v_or_b32_e32 v111, 0x7e, v2
; %bb.415:                              ;   in Loop: Header=BB6_128 Depth=2
	s_or_b32 exec_lo, exec_lo, s10
                                        ; implicit-def: $vgpr2
.LBB6_416:                              ;   in Loop: Header=BB6_128 Depth=2
	s_and_not1_saveexec_b32 s10, s41
; %bb.417:                              ;   in Loop: Header=BB6_128 Depth=2
	v_or_b32_e32 v111, 0x7f, v2
; %bb.418:                              ;   in Loop: Header=BB6_128 Depth=2
	s_or_b32 exec_lo, exec_lo, s10
	v_and_b32_e32 v3, 0xff, v13
	v_dual_mov_b32 v54, v13 :: v_dual_mov_b32 v2, 0
	s_mov_b32 s10, exec_lo
	s_delay_alu instid0(VALU_DEP_2)
	v_cmpx_ne_u16_e32 0, v3
	s_cbranch_execz .LBB6_424
; %bb.419:                              ;   in Loop: Header=BB6_128 Depth=2
	v_bfrev_b32_e32 v2, 1
	s_mov_b32 s41, exec_lo
	v_cmpx_ne_u16_e32 0x80, v3
	s_cbranch_execz .LBB6_423
; %bb.420:                              ;   in Loop: Header=BB6_128 Depth=2
	v_and_b32_e32 v3, 0x7f, v13
	v_mov_b32_e32 v2, 0x7f800001
	s_mov_b32 s42, exec_lo
	s_delay_alu instid0(VALU_DEP_2)
	v_cmpx_ne_u32_e32 0x7f, v3
	s_cbranch_execz .LBB6_422
; %bb.421:                              ;   in Loop: Header=BB6_128 Depth=2
	v_dual_lshrrev_b32 v4, 3, v3 :: v_dual_bitop2_b32 v2, 7, v13 bitop3:0x40
	v_cmp_gt_u32_e32 vcc_lo, 8, v3
	s_delay_alu instid0(VALU_DEP_2) | instskip(NEXT) | instid1(VALU_DEP_1)
	v_clz_i32_u32_e32 v2, v2
	v_min_u32_e32 v2, 32, v2
	s_delay_alu instid0(VALU_DEP_1) | instskip(SKIP_1) | instid1(VALU_DEP_1)
	v_subrev_nc_u32_e32 v5, 28, v2
	v_sub_nc_u32_e32 v2, 29, v2
	v_dual_cndmask_b32 v4, v4, v2, vcc_lo :: v_dual_cndmask_b32 v2, 0, v5, vcc_lo
	s_delay_alu instid0(VALU_DEP_1) | instskip(NEXT) | instid1(VALU_DEP_2)
	v_lshl_add_u32 v4, v4, 23, 0x3c000000
	v_lshlrev_b64_e32 v[2:3], v2, v[54:55]
	v_lshlrev_b32_e32 v3, 24, v54
	s_delay_alu instid0(VALU_DEP_1) | instskip(NEXT) | instid1(VALU_DEP_3)
	v_and_b32_e32 v3, 0x80000000, v3
	v_lshlrev_b32_e32 v2, 20, v2
	s_delay_alu instid0(VALU_DEP_1) | instskip(NEXT) | instid1(VALU_DEP_1)
	v_and_b32_e32 v2, 0x700000, v2
	v_or3_b32 v2, v2, v3, v4
.LBB6_422:                              ;   in Loop: Header=BB6_128 Depth=2
	s_or_b32 exec_lo, exec_lo, s42
.LBB6_423:                              ;   in Loop: Header=BB6_128 Depth=2
	s_delay_alu instid0(SALU_CYCLE_1)
	s_or_b32 exec_lo, exec_lo, s41
.LBB6_424:                              ;   in Loop: Header=BB6_128 Depth=2
	s_delay_alu instid0(SALU_CYCLE_1) | instskip(NEXT) | instid1(VALU_DEP_1)
	s_or_b32 exec_lo, exec_lo, s10
	v_dual_mul_f32 v3, s40, v2 :: v_dual_mov_b32 v5, v55
                                        ; implicit-def: $vgpr66
	s_mov_b32 s10, exec_lo
	s_delay_alu instid0(VALU_DEP_1) | instskip(SKIP_1) | instid1(VALU_DEP_2)
	v_and_b32_e32 v4, 0x7f800000, v3
	v_lshrrev_b32_e32 v2, 24, v3
	v_cmpx_ne_u64_e32 0x7f800000, v[4:5]
	s_xor_b32 s41, exec_lo, s10
	s_cbranch_execz .LBB6_438
; %bb.425:                              ;   in Loop: Header=BB6_128 Depth=2
	v_and_b32_e32 v4, 0x7fffffff, v3
	v_mov_b32_e32 v5, v55
	v_and_b32_e32 v2, 0x80, v2
                                        ; implicit-def: $vgpr66
	s_mov_b32 s10, exec_lo
	s_delay_alu instid0(VALU_DEP_2)
	v_cmpx_gt_u64_e32 0x43e00001, v[4:5]
	s_xor_b32 s42, exec_lo, s10
	s_cbranch_execz .LBB6_435
; %bb.426:                              ;   in Loop: Header=BB6_128 Depth=2
	v_mov_b32_e32 v66, 0
	s_mov_b32 s43, exec_lo
	v_cmpx_ne_u32_e32 0, v3
	s_cbranch_execz .LBB6_434
; %bb.427:                              ;   in Loop: Header=BB6_128 Depth=2
	v_bfe_u32 v4, v3, 23, 8
	v_and_b32_e32 v3, 0x7fffff, v3
	v_mov_b32_e32 v9, v55
	s_delay_alu instid0(VALU_DEP_3) | instskip(NEXT) | instid1(VALU_DEP_3)
	v_cmp_gt_u32_e32 vcc_lo, 0x7a, v4
	v_or_b32_e32 v8, 0x800000, v3
	v_sub_nc_u32_e32 v5, 0x79, v4
	s_delay_alu instid0(VALU_DEP_1) | instskip(SKIP_1) | instid1(VALU_DEP_2)
	v_cndmask_b32_e32 v5, 0, v5, vcc_lo
	v_cmp_eq_u32_e32 vcc_lo, 0, v4
	v_cndmask_b32_e64 v5, v5, 0x78, vcc_lo
	s_delay_alu instid0(VALU_DEP_1) | instskip(SKIP_1) | instid1(VALU_DEP_2)
	v_dual_cndmask_b32 v8, v8, v3, vcc_lo :: v_dual_add_nc_u32 v6, 20, v5
	v_add_nc_u32_e32 v10, 19, v5
	v_lshlrev_b64_e64 v[6:7], v6, -1
	s_delay_alu instid0(VALU_DEP_2) | instskip(NEXT) | instid1(VALU_DEP_4)
	v_lshlrev_b64_e64 v[14:15], v10, 1
	v_lshrrev_b64 v[10:11], v5, v[8:9]
	s_delay_alu instid0(VALU_DEP_3) | instskip(NEXT) | instid1(VALU_DEP_4)
	v_bfi_b32 v7, v7, 0, 0
	v_bfi_b32 v6, v6, 0, v8
	s_delay_alu instid0(VALU_DEP_1) | instskip(NEXT) | instid1(VALU_DEP_4)
	v_cmp_eq_u64_e64 s10, v[6:7], v[14:15]
	v_mov_b64_e32 v[14:15], v[10:11]
	s_and_saveexec_b32 s44, s10
; %bb.428:                              ;   in Loop: Header=BB6_128 Depth=2
	v_bfe_u32 v6, v10, 20, 1
	v_mov_b32_e32 v7, v55
	s_delay_alu instid0(VALU_DEP_1) | instskip(NEXT) | instid1(VALU_DEP_1)
	v_add_nc_u64_e32 v[6:7], v[10:11], v[6:7]
	v_add_nc_u64_e32 v[14:15], -1, v[6:7]
; %bb.429:                              ;   in Loop: Header=BB6_128 Depth=2
	s_or_b32 exec_lo, exec_lo, s44
	v_add_nc_u32_e32 v3, 0xffffff81, v4
	v_lshrrev_b32_e32 v4, 23, v10
	s_mov_b32 s10, exec_lo
	v_mov_b32_e32 v11, v55
	s_delay_alu instid0(VALU_DEP_3) | instskip(NEXT) | instid1(VALU_DEP_1)
	v_cndmask_b32_e64 v3, v3, 0xffffff82, vcc_lo
	v_add3_u32 v4, v5, v3, v4
	v_and_b32_e32 v3, 0xfffff, v14
	s_delay_alu instid0(VALU_DEP_1) | instskip(NEXT) | instid1(VALU_DEP_1)
	v_dual_add_nc_u32 v5, 6, v4 :: v_dual_add_nc_u32 v10, v3, v10
                                        ; implicit-def: $vgpr3
	v_cmpx_ne_u32_e32 0, v5
	s_xor_b32 s10, exec_lo, s10
; %bb.430:                              ;   in Loop: Header=BB6_128 Depth=2
	s_delay_alu instid0(VALU_DEP_2) | instskip(SKIP_2) | instid1(VALU_DEP_2)
	v_cmp_lt_u64_e32 vcc_lo, 0xffffff, v[10:11]
	v_add_nc_u32_e32 v3, 7, v4
	v_cndmask_b32_e64 v4, 0, 1, vcc_lo
	v_cndmask_b32_e32 v3, v5, v3, vcc_lo
	s_delay_alu instid0(VALU_DEP_2)
	v_lshrrev_b64 v[10:11], v4, v[10:11]
; %bb.431:                              ;   in Loop: Header=BB6_128 Depth=2
	s_and_not1_saveexec_b32 s10, s10
; %bb.432:                              ;   in Loop: Header=BB6_128 Depth=2
	s_delay_alu instid0(VALU_DEP_1)
	v_bfe_u32 v3, v10, 23, 1
; %bb.433:                              ;   in Loop: Header=BB6_128 Depth=2
	s_or_b32 exec_lo, exec_lo, s10
	s_delay_alu instid0(VALU_DEP_2) | instskip(NEXT) | instid1(VALU_DEP_2)
	v_lshrrev_b64 v[4:5], 20, v[10:11]
	v_cmp_gt_i32_e32 vcc_lo, 16, v3
	v_min_i32_e32 v6, 15, v3
	v_cmp_eq_u32_e64 s10, 0, v3
	s_delay_alu instid0(VALU_DEP_2) | instskip(SKIP_1) | instid1(VALU_DEP_2)
	v_dual_cndmask_b32 v5, 0, v5 :: v_dual_lshlrev_b32 v6, 3, v6
	v_cndmask_b32_e32 v4, 7, v4, vcc_lo
	v_and_b32_e32 v6, 0xf8, v6
	s_delay_alu instid0(VALU_DEP_2) | instskip(NEXT) | instid1(VALU_DEP_2)
	v_cmp_eq_u64_e32 vcc_lo, 0, v[4:5]
	v_and_or_b32 v3, v4, 7, v6
	s_and_b32 s10, s10, vcc_lo
	s_delay_alu instid0(VALU_DEP_1) | instid1(SALU_CYCLE_1)
	v_cndmask_b32_e64 v3, v3, 0, s10
	s_delay_alu instid0(VALU_DEP_1)
	v_or_b32_e32 v66, v3, v2
.LBB6_434:                              ;   in Loop: Header=BB6_128 Depth=2
	s_or_b32 exec_lo, exec_lo, s43
                                        ; implicit-def: $vgpr2
.LBB6_435:                              ;   in Loop: Header=BB6_128 Depth=2
	s_and_not1_saveexec_b32 s10, s42
; %bb.436:                              ;   in Loop: Header=BB6_128 Depth=2
	v_or_b32_e32 v66, 0x7e, v2
; %bb.437:                              ;   in Loop: Header=BB6_128 Depth=2
	s_or_b32 exec_lo, exec_lo, s10
                                        ; implicit-def: $vgpr2
.LBB6_438:                              ;   in Loop: Header=BB6_128 Depth=2
	s_and_not1_saveexec_b32 s10, s41
; %bb.439:                              ;   in Loop: Header=BB6_128 Depth=2
	v_or_b32_e32 v66, 0x7f, v2
; %bb.440:                              ;   in Loop: Header=BB6_128 Depth=2
	s_or_b32 exec_lo, exec_lo, s10
	v_lshrrev_b16 v3, 8, v54
	v_mov_b32_e32 v2, 0
	s_mov_b32 s10, exec_lo
	s_delay_alu instid0(VALU_DEP_2)
	v_cmpx_ne_u16_e32 0, v3
	s_cbranch_execz .LBB6_448
; %bb.441:                              ;   in Loop: Header=BB6_128 Depth=2
	v_bfrev_b32_e32 v2, 1
	s_mov_b32 s41, exec_lo
	v_cmpx_ne_u16_e32 0x80, v3
	s_cbranch_execz .LBB6_447
; %bb.442:                              ;   in Loop: Header=BB6_128 Depth=2
	v_and_b32_e32 v4, 0xffff, v3
	v_mov_b32_e32 v2, 0x7f800001
	s_mov_b32 s42, exec_lo
	s_delay_alu instid0(VALU_DEP_2) | instskip(NEXT) | instid1(VALU_DEP_1)
	v_and_b32_e32 v3, 0x7f, v4
	v_cmpx_ne_u32_e32 0x7f, v3
	s_cbranch_execz .LBB6_446
; %bb.443:                              ;   in Loop: Header=BB6_128 Depth=2
	v_dual_mov_b32 v11, v55 :: v_dual_bitop2_b32 v10, 7, v4 bitop3:0x40
	v_lshrrev_b32_e32 v2, 3, v3
	s_mov_b32 s43, exec_lo
	v_cmpx_gt_u32_e32 8, v3
; %bb.444:                              ;   in Loop: Header=BB6_128 Depth=2
	s_delay_alu instid0(VALU_DEP_3) | instskip(NEXT) | instid1(VALU_DEP_1)
	v_clz_i32_u32_e32 v2, v10
	v_min_u32_e32 v2, 32, v2
	s_delay_alu instid0(VALU_DEP_1) | instskip(NEXT) | instid1(VALU_DEP_1)
	v_subrev_nc_u32_e32 v3, 28, v2
	v_lshlrev_b64_e32 v[4:5], v3, v[10:11]
	s_delay_alu instid0(VALU_DEP_1)
	v_dual_sub_nc_u32 v2, 29, v2 :: v_dual_bitop2_b32 v10, 7, v4 bitop3:0x40
; %bb.445:                              ;   in Loop: Header=BB6_128 Depth=2
	s_or_b32 exec_lo, exec_lo, s43
	v_lshlrev_b32_e32 v3, 16, v54
	s_delay_alu instid0(VALU_DEP_2) | instskip(NEXT) | instid1(VALU_DEP_3)
	v_lshlrev_b32_e32 v4, 20, v10
	v_lshl_add_u32 v2, v2, 23, 0x3c000000
	s_delay_alu instid0(VALU_DEP_3) | instskip(NEXT) | instid1(VALU_DEP_1)
	v_and_b32_e32 v3, 0x80000000, v3
	v_or3_b32 v2, v4, v3, v2
.LBB6_446:                              ;   in Loop: Header=BB6_128 Depth=2
	s_or_b32 exec_lo, exec_lo, s42
.LBB6_447:                              ;   in Loop: Header=BB6_128 Depth=2
	s_delay_alu instid0(SALU_CYCLE_1)
	s_or_b32 exec_lo, exec_lo, s41
.LBB6_448:                              ;   in Loop: Header=BB6_128 Depth=2
	s_delay_alu instid0(SALU_CYCLE_1) | instskip(NEXT) | instid1(VALU_DEP_1)
	s_or_b32 exec_lo, exec_lo, s10
	v_mul_f32_e32 v3, s40, v2
                                        ; implicit-def: $vgpr27
	s_mov_b32 s10, exec_lo
	s_delay_alu instid0(VALU_DEP_1) | instskip(SKIP_1) | instid1(VALU_DEP_2)
	v_and_b32_e32 v54, 0x7f800000, v3
	v_lshrrev_b32_e32 v2, 24, v3
	v_cmpx_ne_u64_e32 0x7f800000, v[54:55]
	s_xor_b32 s41, exec_lo, s10
	s_cbranch_execz .LBB6_462
; %bb.449:                              ;   in Loop: Header=BB6_128 Depth=2
	v_and_b32_e32 v54, 0x7fffffff, v3
	v_and_b32_e32 v2, 0x80, v2
                                        ; implicit-def: $vgpr27
	s_mov_b32 s10, exec_lo
	s_delay_alu instid0(VALU_DEP_2)
	v_cmpx_gt_u64_e32 0x43e00001, v[54:55]
	s_xor_b32 s42, exec_lo, s10
	s_cbranch_execz .LBB6_459
; %bb.450:                              ;   in Loop: Header=BB6_128 Depth=2
	v_mov_b32_e32 v27, 0
	s_mov_b32 s43, exec_lo
	v_cmpx_ne_u32_e32 0, v3
	s_cbranch_execz .LBB6_458
; %bb.451:                              ;   in Loop: Header=BB6_128 Depth=2
	v_bfe_u32 v4, v3, 23, 8
	v_and_b32_e32 v3, 0x7fffff, v3
	s_mov_b32 s44, exec_lo
	s_delay_alu instid0(VALU_DEP_2) | instskip(NEXT) | instid1(VALU_DEP_2)
	v_cmp_gt_u32_e32 vcc_lo, 0x7a, v4
	v_or_b32_e32 v8, 0x800000, v3
	v_sub_nc_u32_e32 v5, 0x79, v4
	s_delay_alu instid0(VALU_DEP_1) | instskip(SKIP_1) | instid1(VALU_DEP_2)
	v_cndmask_b32_e32 v5, 0, v5, vcc_lo
	v_cmp_eq_u32_e32 vcc_lo, 0, v4
	v_cndmask_b32_e64 v5, v5, 0x78, vcc_lo
	s_delay_alu instid0(VALU_DEP_1) | instskip(SKIP_1) | instid1(VALU_DEP_2)
	v_dual_cndmask_b32 v54, v8, v3, vcc_lo :: v_dual_add_nc_u32 v6, 20, v5
	v_add_nc_u32_e32 v9, 19, v5
	v_lshrrev_b64 v[10:11], v5, v[54:55]
	s_delay_alu instid0(VALU_DEP_3) | instskip(NEXT) | instid1(VALU_DEP_3)
	v_lshlrev_b64_e64 v[6:7], v6, -1
	v_lshlrev_b64_e64 v[8:9], v9, 1
	s_delay_alu instid0(VALU_DEP_3) | instskip(NEXT) | instid1(VALU_DEP_3)
	v_mov_b64_e32 v[14:15], v[10:11]
	v_bfi_b32 v7, v7, 0, 0
	s_delay_alu instid0(VALU_DEP_4) | instskip(NEXT) | instid1(VALU_DEP_1)
	v_bfi_b32 v6, v6, 0, v54
	v_cmpx_eq_u64_e64 v[6:7], v[8:9]
; %bb.452:                              ;   in Loop: Header=BB6_128 Depth=2
	v_bfe_u32 v54, v10, 20, 1
	s_delay_alu instid0(VALU_DEP_1) | instskip(NEXT) | instid1(VALU_DEP_1)
	v_add_nc_u64_e32 v[6:7], v[10:11], v[54:55]
	v_add_nc_u64_e32 v[14:15], -1, v[6:7]
; %bb.453:                              ;   in Loop: Header=BB6_128 Depth=2
	s_or_b32 exec_lo, exec_lo, s44
	v_add_nc_u32_e32 v3, 0xffffff81, v4
	v_lshrrev_b32_e32 v4, 23, v10
	s_mov_b32 s10, exec_lo
	s_delay_alu instid0(VALU_DEP_2) | instskip(NEXT) | instid1(VALU_DEP_1)
	v_cndmask_b32_e64 v3, v3, 0xffffff82, vcc_lo
	v_add3_u32 v4, v5, v3, v4
	v_and_b32_e32 v3, 0xfffff, v14
	s_delay_alu instid0(VALU_DEP_1) | instskip(NEXT) | instid1(VALU_DEP_1)
	v_dual_add_nc_u32 v5, 6, v4 :: v_dual_add_nc_u32 v54, v3, v10
                                        ; implicit-def: $vgpr10_vgpr11
                                        ; implicit-def: $vgpr3
	v_cmpx_ne_u32_e32 0, v5
	s_xor_b32 s10, exec_lo, s10
; %bb.454:                              ;   in Loop: Header=BB6_128 Depth=2
	s_delay_alu instid0(VALU_DEP_2) | instskip(SKIP_2) | instid1(VALU_DEP_2)
	v_cmp_lt_u64_e32 vcc_lo, 0xffffff, v[54:55]
	v_add_nc_u32_e32 v3, 7, v4
	v_cndmask_b32_e64 v4, 0, 1, vcc_lo
	v_cndmask_b32_e32 v3, v5, v3, vcc_lo
	s_delay_alu instid0(VALU_DEP_2)
	v_lshrrev_b64 v[10:11], v4, v[54:55]
; %bb.455:                              ;   in Loop: Header=BB6_128 Depth=2
	s_and_not1_saveexec_b32 s10, s10
; %bb.456:                              ;   in Loop: Header=BB6_128 Depth=2
	v_mov_b64_e32 v[10:11], v[54:55]
	v_bfe_u32 v3, v54, 23, 1
; %bb.457:                              ;   in Loop: Header=BB6_128 Depth=2
	s_or_b32 exec_lo, exec_lo, s10
	s_delay_alu instid0(VALU_DEP_2) | instskip(NEXT) | instid1(VALU_DEP_2)
	v_lshrrev_b64 v[4:5], 20, v[10:11]
	v_cmp_gt_i32_e32 vcc_lo, 16, v3
	v_min_i32_e32 v6, 15, v3
	v_cmp_eq_u32_e64 s10, 0, v3
	s_delay_alu instid0(VALU_DEP_2) | instskip(SKIP_1) | instid1(VALU_DEP_2)
	v_dual_cndmask_b32 v5, 0, v5 :: v_dual_lshlrev_b32 v6, 3, v6
	v_cndmask_b32_e32 v4, 7, v4, vcc_lo
	v_and_b32_e32 v6, 0xf8, v6
	s_delay_alu instid0(VALU_DEP_2) | instskip(NEXT) | instid1(VALU_DEP_2)
	v_cmp_eq_u64_e32 vcc_lo, 0, v[4:5]
	v_and_or_b32 v3, v4, 7, v6
	s_and_b32 s10, s10, vcc_lo
	s_delay_alu instid0(VALU_DEP_1) | instid1(SALU_CYCLE_1)
	v_cndmask_b32_e64 v3, v3, 0, s10
	s_delay_alu instid0(VALU_DEP_1)
	v_or_b32_e32 v27, v3, v2
.LBB6_458:                              ;   in Loop: Header=BB6_128 Depth=2
	s_or_b32 exec_lo, exec_lo, s43
                                        ; implicit-def: $vgpr2
.LBB6_459:                              ;   in Loop: Header=BB6_128 Depth=2
	s_and_not1_saveexec_b32 s10, s42
; %bb.460:                              ;   in Loop: Header=BB6_128 Depth=2
	v_or_b32_e32 v27, 0x7e, v2
; %bb.461:                              ;   in Loop: Header=BB6_128 Depth=2
	s_or_b32 exec_lo, exec_lo, s10
                                        ; implicit-def: $vgpr2
.LBB6_462:                              ;   in Loop: Header=BB6_128 Depth=2
	s_and_not1_saveexec_b32 s10, s41
; %bb.463:                              ;   in Loop: Header=BB6_128 Depth=2
	v_or_b32_e32 v27, 0x7f, v2
; %bb.464:                              ;   in Loop: Header=BB6_128 Depth=2
	s_or_b32 exec_lo, exec_lo, s10
	v_dual_mov_b32 v3, 0 :: v_dual_lshrrev_b32 v2, 16, v13
	s_mov_b32 s10, exec_lo
	s_delay_alu instid0(VALU_DEP_1) | instskip(NEXT) | instid1(VALU_DEP_1)
	v_and_b32_e32 v4, 0xff, v2
	v_cmpx_ne_u16_e32 0, v4
	s_cbranch_execz .LBB6_472
; %bb.465:                              ;   in Loop: Header=BB6_128 Depth=2
	v_bfrev_b32_e32 v3, 1
	s_mov_b32 s41, exec_lo
	v_cmpx_ne_u16_e32 0x80, v4
	s_cbranch_execz .LBB6_471
; %bb.466:                              ;   in Loop: Header=BB6_128 Depth=2
	v_bfe_u32 v4, v13, 16, 7
	v_mov_b32_e32 v3, 0x7f800001
	s_mov_b32 s42, exec_lo
	s_delay_alu instid0(VALU_DEP_2)
	v_cmpx_ne_u32_e32 0x7f, v4
	s_cbranch_execz .LBB6_470
; %bb.467:                              ;   in Loop: Header=BB6_128 Depth=2
	v_dual_lshrrev_b32 v3, 3, v4 :: v_dual_bitop2_b32 v54, 7, v2 bitop3:0x40
	s_mov_b32 s43, exec_lo
	v_cmpx_gt_u32_e32 8, v4
; %bb.468:                              ;   in Loop: Header=BB6_128 Depth=2
	s_delay_alu instid0(VALU_DEP_2) | instskip(NEXT) | instid1(VALU_DEP_1)
	v_clz_i32_u32_e32 v3, v54
	v_min_u32_e32 v3, 32, v3
	s_delay_alu instid0(VALU_DEP_1) | instskip(NEXT) | instid1(VALU_DEP_1)
	v_subrev_nc_u32_e32 v4, 28, v3
	v_lshlrev_b64_e32 v[4:5], v4, v[54:55]
	s_delay_alu instid0(VALU_DEP_1)
	v_dual_sub_nc_u32 v3, 29, v3 :: v_dual_bitop2_b32 v54, 7, v4 bitop3:0x40
; %bb.469:                              ;   in Loop: Header=BB6_128 Depth=2
	s_or_b32 exec_lo, exec_lo, s43
	v_lshlrev_b32_e32 v2, 24, v2
	s_delay_alu instid0(VALU_DEP_2) | instskip(NEXT) | instid1(VALU_DEP_3)
	v_lshlrev_b32_e32 v4, 20, v54
	v_lshl_add_u32 v3, v3, 23, 0x3c000000
	s_delay_alu instid0(VALU_DEP_3) | instskip(NEXT) | instid1(VALU_DEP_1)
	v_and_b32_e32 v2, 0x80000000, v2
	v_or3_b32 v3, v4, v2, v3
.LBB6_470:                              ;   in Loop: Header=BB6_128 Depth=2
	s_or_b32 exec_lo, exec_lo, s42
.LBB6_471:                              ;   in Loop: Header=BB6_128 Depth=2
	s_delay_alu instid0(SALU_CYCLE_1)
	s_or_b32 exec_lo, exec_lo, s41
.LBB6_472:                              ;   in Loop: Header=BB6_128 Depth=2
	s_delay_alu instid0(SALU_CYCLE_1) | instskip(NEXT) | instid1(VALU_DEP_1)
	s_or_b32 exec_lo, exec_lo, s10
	v_mul_f32_e32 v3, s40, v3
                                        ; implicit-def: $vgpr124
	s_mov_b32 s10, exec_lo
	s_delay_alu instid0(VALU_DEP_1) | instskip(SKIP_1) | instid1(VALU_DEP_2)
	v_and_b32_e32 v54, 0x7f800000, v3
	v_lshrrev_b32_e32 v2, 24, v3
	v_cmpx_ne_u64_e32 0x7f800000, v[54:55]
	s_xor_b32 s41, exec_lo, s10
	s_cbranch_execz .LBB6_486
; %bb.473:                              ;   in Loop: Header=BB6_128 Depth=2
	v_and_b32_e32 v54, 0x7fffffff, v3
	v_and_b32_e32 v2, 0x80, v2
                                        ; implicit-def: $vgpr124
	s_mov_b32 s10, exec_lo
	s_delay_alu instid0(VALU_DEP_2)
	v_cmpx_gt_u64_e32 0x43e00001, v[54:55]
	s_xor_b32 s42, exec_lo, s10
	s_cbranch_execz .LBB6_483
; %bb.474:                              ;   in Loop: Header=BB6_128 Depth=2
	v_mov_b32_e32 v124, 0
	s_mov_b32 s43, exec_lo
	v_cmpx_ne_u32_e32 0, v3
	s_cbranch_execz .LBB6_482
; %bb.475:                              ;   in Loop: Header=BB6_128 Depth=2
	v_bfe_u32 v4, v3, 23, 8
	v_and_b32_e32 v3, 0x7fffff, v3
	s_mov_b32 s44, exec_lo
	s_delay_alu instid0(VALU_DEP_2) | instskip(NEXT) | instid1(VALU_DEP_2)
	v_cmp_gt_u32_e32 vcc_lo, 0x7a, v4
	v_or_b32_e32 v8, 0x800000, v3
	v_sub_nc_u32_e32 v5, 0x79, v4
	s_delay_alu instid0(VALU_DEP_1) | instskip(SKIP_1) | instid1(VALU_DEP_2)
	v_cndmask_b32_e32 v5, 0, v5, vcc_lo
	v_cmp_eq_u32_e32 vcc_lo, 0, v4
	v_cndmask_b32_e64 v5, v5, 0x78, vcc_lo
	s_delay_alu instid0(VALU_DEP_1) | instskip(SKIP_1) | instid1(VALU_DEP_2)
	v_dual_cndmask_b32 v54, v8, v3, vcc_lo :: v_dual_add_nc_u32 v6, 20, v5
	v_add_nc_u32_e32 v9, 19, v5
	v_lshrrev_b64 v[10:11], v5, v[54:55]
	s_delay_alu instid0(VALU_DEP_3) | instskip(NEXT) | instid1(VALU_DEP_3)
	v_lshlrev_b64_e64 v[6:7], v6, -1
	v_lshlrev_b64_e64 v[8:9], v9, 1
	s_delay_alu instid0(VALU_DEP_3) | instskip(NEXT) | instid1(VALU_DEP_3)
	v_mov_b64_e32 v[14:15], v[10:11]
	v_bfi_b32 v7, v7, 0, 0
	s_delay_alu instid0(VALU_DEP_4) | instskip(NEXT) | instid1(VALU_DEP_1)
	v_bfi_b32 v6, v6, 0, v54
	v_cmpx_eq_u64_e64 v[6:7], v[8:9]
; %bb.476:                              ;   in Loop: Header=BB6_128 Depth=2
	v_bfe_u32 v54, v10, 20, 1
	s_delay_alu instid0(VALU_DEP_1) | instskip(NEXT) | instid1(VALU_DEP_1)
	v_add_nc_u64_e32 v[6:7], v[10:11], v[54:55]
	v_add_nc_u64_e32 v[14:15], -1, v[6:7]
; %bb.477:                              ;   in Loop: Header=BB6_128 Depth=2
	s_or_b32 exec_lo, exec_lo, s44
	v_add_nc_u32_e32 v3, 0xffffff81, v4
	v_lshrrev_b32_e32 v4, 23, v10
	s_mov_b32 s10, exec_lo
	s_delay_alu instid0(VALU_DEP_2) | instskip(NEXT) | instid1(VALU_DEP_1)
	v_cndmask_b32_e64 v3, v3, 0xffffff82, vcc_lo
	v_add3_u32 v4, v5, v3, v4
	v_and_b32_e32 v3, 0xfffff, v14
	s_delay_alu instid0(VALU_DEP_1) | instskip(NEXT) | instid1(VALU_DEP_1)
	v_dual_add_nc_u32 v5, 6, v4 :: v_dual_add_nc_u32 v54, v3, v10
                                        ; implicit-def: $vgpr10_vgpr11
                                        ; implicit-def: $vgpr3
	v_cmpx_ne_u32_e32 0, v5
	s_xor_b32 s10, exec_lo, s10
; %bb.478:                              ;   in Loop: Header=BB6_128 Depth=2
	s_delay_alu instid0(VALU_DEP_2) | instskip(SKIP_2) | instid1(VALU_DEP_2)
	v_cmp_lt_u64_e32 vcc_lo, 0xffffff, v[54:55]
	v_add_nc_u32_e32 v3, 7, v4
	v_cndmask_b32_e64 v4, 0, 1, vcc_lo
	v_cndmask_b32_e32 v3, v5, v3, vcc_lo
	s_delay_alu instid0(VALU_DEP_2)
	v_lshrrev_b64 v[10:11], v4, v[54:55]
; %bb.479:                              ;   in Loop: Header=BB6_128 Depth=2
	s_and_not1_saveexec_b32 s10, s10
; %bb.480:                              ;   in Loop: Header=BB6_128 Depth=2
	v_mov_b64_e32 v[10:11], v[54:55]
	v_bfe_u32 v3, v54, 23, 1
; %bb.481:                              ;   in Loop: Header=BB6_128 Depth=2
	s_or_b32 exec_lo, exec_lo, s10
	s_delay_alu instid0(VALU_DEP_2) | instskip(NEXT) | instid1(VALU_DEP_2)
	v_lshrrev_b64 v[4:5], 20, v[10:11]
	v_cmp_gt_i32_e32 vcc_lo, 16, v3
	v_min_i32_e32 v6, 15, v3
	v_cmp_eq_u32_e64 s10, 0, v3
	s_delay_alu instid0(VALU_DEP_2) | instskip(SKIP_1) | instid1(VALU_DEP_2)
	v_dual_cndmask_b32 v5, 0, v5 :: v_dual_lshlrev_b32 v6, 3, v6
	v_cndmask_b32_e32 v4, 7, v4, vcc_lo
	v_and_b32_e32 v6, 0xf8, v6
	s_delay_alu instid0(VALU_DEP_2) | instskip(NEXT) | instid1(VALU_DEP_2)
	v_cmp_eq_u64_e32 vcc_lo, 0, v[4:5]
	v_and_or_b32 v3, v4, 7, v6
	s_and_b32 s10, s10, vcc_lo
	s_delay_alu instid0(VALU_DEP_1) | instid1(SALU_CYCLE_1)
	v_cndmask_b32_e64 v3, v3, 0, s10
	s_delay_alu instid0(VALU_DEP_1)
	v_or_b32_e32 v124, v3, v2
.LBB6_482:                              ;   in Loop: Header=BB6_128 Depth=2
	s_or_b32 exec_lo, exec_lo, s43
                                        ; implicit-def: $vgpr2
.LBB6_483:                              ;   in Loop: Header=BB6_128 Depth=2
	s_and_not1_saveexec_b32 s10, s42
; %bb.484:                              ;   in Loop: Header=BB6_128 Depth=2
	v_or_b32_e32 v124, 0x7e, v2
; %bb.485:                              ;   in Loop: Header=BB6_128 Depth=2
	s_or_b32 exec_lo, exec_lo, s10
                                        ; implicit-def: $vgpr2
.LBB6_486:                              ;   in Loop: Header=BB6_128 Depth=2
	s_and_not1_saveexec_b32 s10, s41
; %bb.487:                              ;   in Loop: Header=BB6_128 Depth=2
	v_or_b32_e32 v124, 0x7f, v2
; %bb.488:                              ;   in Loop: Header=BB6_128 Depth=2
	s_or_b32 exec_lo, exec_lo, s10
	v_mov_b32_e32 v3, 0
	s_mov_b32 s10, exec_lo
	v_cmpx_lt_u64_e64 s[14:15], v[12:13]
	s_cbranch_execz .LBB6_496
; %bb.489:                              ;   in Loop: Header=BB6_128 Depth=2
	v_lshrrev_b32_e32 v2, 24, v13
	v_bfrev_b32_e32 v3, 1
	s_mov_b32 s41, exec_lo
	s_delay_alu instid0(VALU_DEP_2)
	v_cmpx_ne_u32_e32 0x80, v2
	s_cbranch_execz .LBB6_495
; %bb.490:                              ;   in Loop: Header=BB6_128 Depth=2
	v_bfe_u32 v4, v13, 24, 7
	v_mov_b32_e32 v3, 0x7f800001
	s_mov_b32 s42, exec_lo
	s_delay_alu instid0(VALU_DEP_2)
	v_cmpx_ne_u32_e32 0x7f, v4
	s_cbranch_execz .LBB6_494
; %bb.491:                              ;   in Loop: Header=BB6_128 Depth=2
	v_dual_lshrrev_b32 v3, 3, v4 :: v_dual_bitop2_b32 v54, 7, v2 bitop3:0x40
	s_mov_b32 s43, exec_lo
	v_cmpx_gt_u32_e32 8, v4
; %bb.492:                              ;   in Loop: Header=BB6_128 Depth=2
	s_delay_alu instid0(VALU_DEP_2) | instskip(NEXT) | instid1(VALU_DEP_1)
	v_clz_i32_u32_e32 v3, v54
	v_min_u32_e32 v3, 32, v3
	s_delay_alu instid0(VALU_DEP_1) | instskip(NEXT) | instid1(VALU_DEP_1)
	v_subrev_nc_u32_e32 v4, 28, v3
	v_lshlrev_b64_e32 v[4:5], v4, v[54:55]
	s_delay_alu instid0(VALU_DEP_1)
	v_dual_sub_nc_u32 v3, 29, v3 :: v_dual_bitop2_b32 v54, 7, v4 bitop3:0x40
; %bb.493:                              ;   in Loop: Header=BB6_128 Depth=2
	s_or_b32 exec_lo, exec_lo, s43
	v_lshlrev_b32_e32 v2, 24, v2
	s_delay_alu instid0(VALU_DEP_2) | instskip(NEXT) | instid1(VALU_DEP_3)
	v_lshlrev_b32_e32 v4, 20, v54
	v_lshl_add_u32 v3, v3, 23, 0x3c000000
	s_delay_alu instid0(VALU_DEP_3) | instskip(NEXT) | instid1(VALU_DEP_1)
	v_and_b32_e32 v2, 0x80000000, v2
	v_or3_b32 v3, v4, v2, v3
.LBB6_494:                              ;   in Loop: Header=BB6_128 Depth=2
	s_or_b32 exec_lo, exec_lo, s42
.LBB6_495:                              ;   in Loop: Header=BB6_128 Depth=2
	s_delay_alu instid0(SALU_CYCLE_1)
	s_or_b32 exec_lo, exec_lo, s41
.LBB6_496:                              ;   in Loop: Header=BB6_128 Depth=2
	s_delay_alu instid0(SALU_CYCLE_1) | instskip(NEXT) | instid1(VALU_DEP_1)
	s_or_b32 exec_lo, exec_lo, s10
	v_mul_f32_e32 v3, s40, v3
                                        ; implicit-def: $vgpr100
	s_mov_b32 s10, exec_lo
	s_delay_alu instid0(VALU_DEP_1) | instskip(SKIP_1) | instid1(VALU_DEP_2)
	v_and_b32_e32 v54, 0x7f800000, v3
	v_lshrrev_b32_e32 v2, 24, v3
	v_cmpx_ne_u64_e32 0x7f800000, v[54:55]
	s_xor_b32 s41, exec_lo, s10
	s_cbranch_execz .LBB6_510
; %bb.497:                              ;   in Loop: Header=BB6_128 Depth=2
	v_and_b32_e32 v54, 0x7fffffff, v3
	v_and_b32_e32 v2, 0x80, v2
                                        ; implicit-def: $vgpr100
	s_mov_b32 s10, exec_lo
	s_delay_alu instid0(VALU_DEP_2)
	v_cmpx_gt_u64_e32 0x43e00001, v[54:55]
	s_xor_b32 s42, exec_lo, s10
	s_cbranch_execz .LBB6_507
; %bb.498:                              ;   in Loop: Header=BB6_128 Depth=2
	v_mov_b32_e32 v100, 0
	s_mov_b32 s43, exec_lo
	v_cmpx_ne_u32_e32 0, v3
	s_cbranch_execz .LBB6_506
; %bb.499:                              ;   in Loop: Header=BB6_128 Depth=2
	v_bfe_u32 v4, v3, 23, 8
	v_and_b32_e32 v3, 0x7fffff, v3
	s_mov_b32 s44, exec_lo
	s_delay_alu instid0(VALU_DEP_2) | instskip(NEXT) | instid1(VALU_DEP_2)
	v_cmp_gt_u32_e32 vcc_lo, 0x7a, v4
	v_or_b32_e32 v8, 0x800000, v3
	v_sub_nc_u32_e32 v5, 0x79, v4
	s_delay_alu instid0(VALU_DEP_1) | instskip(SKIP_1) | instid1(VALU_DEP_2)
	v_cndmask_b32_e32 v5, 0, v5, vcc_lo
	v_cmp_eq_u32_e32 vcc_lo, 0, v4
	v_cndmask_b32_e64 v5, v5, 0x78, vcc_lo
	s_delay_alu instid0(VALU_DEP_1) | instskip(SKIP_1) | instid1(VALU_DEP_2)
	v_dual_cndmask_b32 v54, v8, v3, vcc_lo :: v_dual_add_nc_u32 v6, 20, v5
	v_add_nc_u32_e32 v9, 19, v5
	v_lshrrev_b64 v[10:11], v5, v[54:55]
	s_delay_alu instid0(VALU_DEP_3) | instskip(NEXT) | instid1(VALU_DEP_3)
	v_lshlrev_b64_e64 v[6:7], v6, -1
	v_lshlrev_b64_e64 v[8:9], v9, 1
	s_delay_alu instid0(VALU_DEP_3) | instskip(NEXT) | instid1(VALU_DEP_3)
	v_mov_b64_e32 v[12:13], v[10:11]
	v_bfi_b32 v7, v7, 0, 0
	s_delay_alu instid0(VALU_DEP_4) | instskip(NEXT) | instid1(VALU_DEP_1)
	v_bfi_b32 v6, v6, 0, v54
	v_cmpx_eq_u64_e64 v[6:7], v[8:9]
; %bb.500:                              ;   in Loop: Header=BB6_128 Depth=2
	v_bfe_u32 v54, v10, 20, 1
	s_delay_alu instid0(VALU_DEP_1) | instskip(NEXT) | instid1(VALU_DEP_1)
	v_add_nc_u64_e32 v[6:7], v[10:11], v[54:55]
	v_add_nc_u64_e32 v[12:13], -1, v[6:7]
; %bb.501:                              ;   in Loop: Header=BB6_128 Depth=2
	s_or_b32 exec_lo, exec_lo, s44
	v_add_nc_u32_e32 v3, 0xffffff81, v4
	v_lshrrev_b32_e32 v4, 23, v10
	s_mov_b32 s10, exec_lo
	s_delay_alu instid0(VALU_DEP_2) | instskip(NEXT) | instid1(VALU_DEP_1)
	v_cndmask_b32_e64 v3, v3, 0xffffff82, vcc_lo
	v_add3_u32 v4, v5, v3, v4
	v_and_b32_e32 v3, 0xfffff, v12
	s_delay_alu instid0(VALU_DEP_1) | instskip(NEXT) | instid1(VALU_DEP_1)
	v_dual_add_nc_u32 v5, 6, v4 :: v_dual_add_nc_u32 v54, v3, v10
                                        ; implicit-def: $vgpr10_vgpr11
                                        ; implicit-def: $vgpr3
	v_cmpx_ne_u32_e32 0, v5
	s_xor_b32 s10, exec_lo, s10
; %bb.502:                              ;   in Loop: Header=BB6_128 Depth=2
	s_delay_alu instid0(VALU_DEP_2) | instskip(SKIP_2) | instid1(VALU_DEP_2)
	v_cmp_lt_u64_e32 vcc_lo, 0xffffff, v[54:55]
	v_add_nc_u32_e32 v3, 7, v4
	v_cndmask_b32_e64 v4, 0, 1, vcc_lo
	v_cndmask_b32_e32 v3, v5, v3, vcc_lo
	s_delay_alu instid0(VALU_DEP_2)
	v_lshrrev_b64 v[10:11], v4, v[54:55]
; %bb.503:                              ;   in Loop: Header=BB6_128 Depth=2
	s_and_not1_saveexec_b32 s10, s10
; %bb.504:                              ;   in Loop: Header=BB6_128 Depth=2
	v_mov_b64_e32 v[10:11], v[54:55]
	v_bfe_u32 v3, v54, 23, 1
; %bb.505:                              ;   in Loop: Header=BB6_128 Depth=2
	s_or_b32 exec_lo, exec_lo, s10
	s_delay_alu instid0(VALU_DEP_2) | instskip(NEXT) | instid1(VALU_DEP_2)
	v_lshrrev_b64 v[4:5], 20, v[10:11]
	v_cmp_gt_i32_e32 vcc_lo, 16, v3
	v_min_i32_e32 v6, 15, v3
	v_cmp_eq_u32_e64 s10, 0, v3
	s_delay_alu instid0(VALU_DEP_2) | instskip(SKIP_1) | instid1(VALU_DEP_2)
	v_dual_cndmask_b32 v5, 0, v5 :: v_dual_lshlrev_b32 v6, 3, v6
	v_cndmask_b32_e32 v4, 7, v4, vcc_lo
	v_and_b32_e32 v6, 0xf8, v6
	s_delay_alu instid0(VALU_DEP_2) | instskip(NEXT) | instid1(VALU_DEP_2)
	v_cmp_eq_u64_e32 vcc_lo, 0, v[4:5]
	v_and_or_b32 v3, v4, 7, v6
	s_and_b32 s10, s10, vcc_lo
	s_delay_alu instid0(VALU_DEP_1) | instid1(SALU_CYCLE_1)
	v_cndmask_b32_e64 v3, v3, 0, s10
	s_delay_alu instid0(VALU_DEP_1)
	v_or_b32_e32 v100, v3, v2
.LBB6_506:                              ;   in Loop: Header=BB6_128 Depth=2
	s_or_b32 exec_lo, exec_lo, s43
                                        ; implicit-def: $vgpr2
.LBB6_507:                              ;   in Loop: Header=BB6_128 Depth=2
	s_and_not1_saveexec_b32 s10, s42
; %bb.508:                              ;   in Loop: Header=BB6_128 Depth=2
	v_or_b32_e32 v100, 0x7e, v2
; %bb.509:                              ;   in Loop: Header=BB6_128 Depth=2
	s_or_b32 exec_lo, exec_lo, s10
                                        ; implicit-def: $vgpr2
.LBB6_510:                              ;   in Loop: Header=BB6_128 Depth=2
	s_and_not1_saveexec_b32 s10, s41
; %bb.511:                              ;   in Loop: Header=BB6_128 Depth=2
	v_or_b32_e32 v100, 0x7f, v2
; %bb.512:                              ;   in Loop: Header=BB6_128 Depth=2
	s_or_b32 exec_lo, exec_lo, s10
	global_load_b128 v[10:13], v[102:103], off offset:512 th:TH_LOAD_NT
	v_mov_b32_e32 v2, 0
	s_mov_b32 s10, exec_lo
	s_wait_loadcnt 0x0
	v_and_b32_e32 v3, 0xff, v10
	s_wait_xcnt 0x0
	s_delay_alu instid0(VALU_DEP_1)
	v_cmpx_ne_u16_e32 0, v3
	s_cbranch_execz .LBB6_518
; %bb.513:                              ;   in Loop: Header=BB6_128 Depth=2
	v_bfrev_b32_e32 v2, 1
	s_mov_b32 s41, exec_lo
	v_cmpx_ne_u16_e32 0x80, v3
	s_cbranch_execz .LBB6_517
; %bb.514:                              ;   in Loop: Header=BB6_128 Depth=2
	v_and_b32_e32 v3, 0x7f, v10
	v_mov_b32_e32 v2, 0x7f800001
	s_mov_b32 s42, exec_lo
	s_delay_alu instid0(VALU_DEP_2)
	v_cmpx_ne_u32_e32 0x7f, v3
	s_cbranch_execz .LBB6_516
; %bb.515:                              ;   in Loop: Header=BB6_128 Depth=2
	v_dual_lshrrev_b32 v4, 3, v3 :: v_dual_bitop2_b32 v2, 7, v10 bitop3:0x40
	v_cmp_gt_u32_e32 vcc_lo, 8, v3
	s_delay_alu instid0(VALU_DEP_2) | instskip(NEXT) | instid1(VALU_DEP_1)
	v_clz_i32_u32_e32 v2, v2
	v_min_u32_e32 v2, 32, v2
	s_delay_alu instid0(VALU_DEP_1) | instskip(SKIP_1) | instid1(VALU_DEP_1)
	v_subrev_nc_u32_e32 v5, 28, v2
	v_sub_nc_u32_e32 v2, 29, v2
	v_dual_cndmask_b32 v4, v4, v2, vcc_lo :: v_dual_cndmask_b32 v2, 0, v5, vcc_lo
	s_delay_alu instid0(VALU_DEP_1) | instskip(NEXT) | instid1(VALU_DEP_2)
	v_lshl_add_u32 v4, v4, 23, 0x3c000000
	v_lshlrev_b64_e32 v[2:3], v2, v[10:11]
	v_lshlrev_b32_e32 v3, 24, v10
	s_delay_alu instid0(VALU_DEP_1) | instskip(NEXT) | instid1(VALU_DEP_3)
	v_and_b32_e32 v3, 0x80000000, v3
	v_lshlrev_b32_e32 v2, 20, v2
	s_delay_alu instid0(VALU_DEP_1) | instskip(NEXT) | instid1(VALU_DEP_1)
	v_and_b32_e32 v2, 0x700000, v2
	v_or3_b32 v2, v2, v3, v4
.LBB6_516:                              ;   in Loop: Header=BB6_128 Depth=2
	s_or_b32 exec_lo, exec_lo, s42
.LBB6_517:                              ;   in Loop: Header=BB6_128 Depth=2
	s_delay_alu instid0(SALU_CYCLE_1)
	s_or_b32 exec_lo, exec_lo, s41
.LBB6_518:                              ;   in Loop: Header=BB6_128 Depth=2
	s_delay_alu instid0(SALU_CYCLE_1) | instskip(NEXT) | instid1(VALU_DEP_1)
	s_or_b32 exec_lo, exec_lo, s10
	v_mul_f32_e32 v3, s40, v2
                                        ; implicit-def: $vgpr52
	s_mov_b32 s10, exec_lo
	s_delay_alu instid0(VALU_DEP_1) | instskip(SKIP_1) | instid1(VALU_DEP_2)
	v_and_b32_e32 v54, 0x7f800000, v3
	v_lshrrev_b32_e32 v2, 24, v3
	v_cmpx_ne_u64_e32 0x7f800000, v[54:55]
	s_xor_b32 s41, exec_lo, s10
	s_cbranch_execz .LBB6_532
; %bb.519:                              ;   in Loop: Header=BB6_128 Depth=2
	v_and_b32_e32 v54, 0x7fffffff, v3
	v_and_b32_e32 v2, 0x80, v2
                                        ; implicit-def: $vgpr52
	s_mov_b32 s10, exec_lo
	s_delay_alu instid0(VALU_DEP_2)
	v_cmpx_gt_u64_e32 0x43e00001, v[54:55]
	s_xor_b32 s42, exec_lo, s10
	s_cbranch_execz .LBB6_529
; %bb.520:                              ;   in Loop: Header=BB6_128 Depth=2
	v_mov_b32_e32 v52, 0
	s_mov_b32 s43, exec_lo
	v_cmpx_ne_u32_e32 0, v3
	s_cbranch_execz .LBB6_528
; %bb.521:                              ;   in Loop: Header=BB6_128 Depth=2
	v_bfe_u32 v4, v3, 23, 8
	v_and_b32_e32 v3, 0x7fffff, v3
	s_mov_b32 s44, exec_lo
	s_delay_alu instid0(VALU_DEP_2) | instskip(NEXT) | instid1(VALU_DEP_2)
	v_cmp_gt_u32_e32 vcc_lo, 0x7a, v4
	v_or_b32_e32 v8, 0x800000, v3
	v_sub_nc_u32_e32 v5, 0x79, v4
	s_delay_alu instid0(VALU_DEP_1) | instskip(SKIP_1) | instid1(VALU_DEP_2)
	v_cndmask_b32_e32 v5, 0, v5, vcc_lo
	v_cmp_eq_u32_e32 vcc_lo, 0, v4
	v_cndmask_b32_e64 v5, v5, 0x78, vcc_lo
	s_delay_alu instid0(VALU_DEP_1) | instskip(SKIP_1) | instid1(VALU_DEP_2)
	v_dual_cndmask_b32 v54, v8, v3, vcc_lo :: v_dual_add_nc_u32 v6, 20, v5
	v_add_nc_u32_e32 v9, 19, v5
	v_lshrrev_b64 v[14:15], v5, v[54:55]
	s_delay_alu instid0(VALU_DEP_3) | instskip(NEXT) | instid1(VALU_DEP_3)
	v_lshlrev_b64_e64 v[6:7], v6, -1
	v_lshlrev_b64_e64 v[8:9], v9, 1
	s_delay_alu instid0(VALU_DEP_3) | instskip(NEXT) | instid1(VALU_DEP_3)
	v_mov_b64_e32 v[16:17], v[14:15]
	v_bfi_b32 v7, v7, 0, 0
	s_delay_alu instid0(VALU_DEP_4) | instskip(NEXT) | instid1(VALU_DEP_1)
	v_bfi_b32 v6, v6, 0, v54
	v_cmpx_eq_u64_e64 v[6:7], v[8:9]
; %bb.522:                              ;   in Loop: Header=BB6_128 Depth=2
	v_bfe_u32 v54, v14, 20, 1
	s_delay_alu instid0(VALU_DEP_1) | instskip(NEXT) | instid1(VALU_DEP_1)
	v_add_nc_u64_e32 v[6:7], v[14:15], v[54:55]
	v_add_nc_u64_e32 v[16:17], -1, v[6:7]
; %bb.523:                              ;   in Loop: Header=BB6_128 Depth=2
	s_or_b32 exec_lo, exec_lo, s44
	v_add_nc_u32_e32 v3, 0xffffff81, v4
	v_lshrrev_b32_e32 v4, 23, v14
	s_mov_b32 s10, exec_lo
	s_delay_alu instid0(VALU_DEP_2) | instskip(NEXT) | instid1(VALU_DEP_1)
	v_cndmask_b32_e64 v3, v3, 0xffffff82, vcc_lo
	v_add3_u32 v4, v5, v3, v4
	v_and_b32_e32 v3, 0xfffff, v16
	s_delay_alu instid0(VALU_DEP_1) | instskip(NEXT) | instid1(VALU_DEP_1)
	v_dual_add_nc_u32 v5, 6, v4 :: v_dual_add_nc_u32 v54, v3, v14
                                        ; implicit-def: $vgpr14_vgpr15
                                        ; implicit-def: $vgpr3
	v_cmpx_ne_u32_e32 0, v5
	s_xor_b32 s10, exec_lo, s10
; %bb.524:                              ;   in Loop: Header=BB6_128 Depth=2
	s_delay_alu instid0(VALU_DEP_2) | instskip(SKIP_2) | instid1(VALU_DEP_2)
	v_cmp_lt_u64_e32 vcc_lo, 0xffffff, v[54:55]
	v_add_nc_u32_e32 v3, 7, v4
	v_cndmask_b32_e64 v4, 0, 1, vcc_lo
	v_cndmask_b32_e32 v3, v5, v3, vcc_lo
	s_delay_alu instid0(VALU_DEP_2)
	v_lshrrev_b64 v[14:15], v4, v[54:55]
; %bb.525:                              ;   in Loop: Header=BB6_128 Depth=2
	s_and_not1_saveexec_b32 s10, s10
; %bb.526:                              ;   in Loop: Header=BB6_128 Depth=2
	v_mov_b64_e32 v[14:15], v[54:55]
	v_bfe_u32 v3, v54, 23, 1
; %bb.527:                              ;   in Loop: Header=BB6_128 Depth=2
	s_or_b32 exec_lo, exec_lo, s10
	s_delay_alu instid0(VALU_DEP_2) | instskip(NEXT) | instid1(VALU_DEP_2)
	v_lshrrev_b64 v[4:5], 20, v[14:15]
	v_cmp_gt_i32_e32 vcc_lo, 16, v3
	v_min_i32_e32 v6, 15, v3
	v_cmp_eq_u32_e64 s10, 0, v3
	s_delay_alu instid0(VALU_DEP_2) | instskip(SKIP_1) | instid1(VALU_DEP_2)
	v_dual_cndmask_b32 v5, 0, v5 :: v_dual_lshlrev_b32 v6, 3, v6
	v_cndmask_b32_e32 v4, 7, v4, vcc_lo
	v_and_b32_e32 v6, 0xf8, v6
	s_delay_alu instid0(VALU_DEP_2) | instskip(NEXT) | instid1(VALU_DEP_2)
	v_cmp_eq_u64_e32 vcc_lo, 0, v[4:5]
	v_and_or_b32 v3, v4, 7, v6
	s_and_b32 s10, s10, vcc_lo
	s_delay_alu instid0(VALU_DEP_1) | instid1(SALU_CYCLE_1)
	v_cndmask_b32_e64 v3, v3, 0, s10
	s_delay_alu instid0(VALU_DEP_1)
	v_or_b32_e32 v52, v3, v2
.LBB6_528:                              ;   in Loop: Header=BB6_128 Depth=2
	s_or_b32 exec_lo, exec_lo, s43
                                        ; implicit-def: $vgpr2
.LBB6_529:                              ;   in Loop: Header=BB6_128 Depth=2
	s_and_not1_saveexec_b32 s10, s42
; %bb.530:                              ;   in Loop: Header=BB6_128 Depth=2
	v_or_b32_e32 v52, 0x7e, v2
; %bb.531:                              ;   in Loop: Header=BB6_128 Depth=2
	s_or_b32 exec_lo, exec_lo, s10
                                        ; implicit-def: $vgpr2
.LBB6_532:                              ;   in Loop: Header=BB6_128 Depth=2
	s_and_not1_saveexec_b32 s10, s41
; %bb.533:                              ;   in Loop: Header=BB6_128 Depth=2
	v_or_b32_e32 v52, 0x7f, v2
; %bb.534:                              ;   in Loop: Header=BB6_128 Depth=2
	s_or_b32 exec_lo, exec_lo, s10
	v_lshrrev_b16 v3, 8, v10
	v_mov_b32_e32 v2, 0
	s_mov_b32 s10, exec_lo
	s_delay_alu instid0(VALU_DEP_2)
	v_cmpx_ne_u16_e32 0, v3
	s_cbranch_execz .LBB6_542
; %bb.535:                              ;   in Loop: Header=BB6_128 Depth=2
	v_bfrev_b32_e32 v2, 1
	s_mov_b32 s41, exec_lo
	v_cmpx_ne_u16_e32 0x80, v3
	s_cbranch_execz .LBB6_541
; %bb.536:                              ;   in Loop: Header=BB6_128 Depth=2
	v_and_b32_e32 v4, 0xffff, v3
	v_mov_b32_e32 v2, 0x7f800001
	s_mov_b32 s42, exec_lo
	s_delay_alu instid0(VALU_DEP_2) | instskip(NEXT) | instid1(VALU_DEP_1)
	v_and_b32_e32 v3, 0x7f, v4
	v_cmpx_ne_u32_e32 0x7f, v3
	s_cbranch_execz .LBB6_540
; %bb.537:                              ;   in Loop: Header=BB6_128 Depth=2
	v_dual_lshrrev_b32 v2, 3, v3 :: v_dual_bitop2_b32 v54, 7, v4 bitop3:0x40
	s_mov_b32 s43, exec_lo
	v_cmpx_gt_u32_e32 8, v3
; %bb.538:                              ;   in Loop: Header=BB6_128 Depth=2
	s_delay_alu instid0(VALU_DEP_2) | instskip(NEXT) | instid1(VALU_DEP_1)
	v_clz_i32_u32_e32 v2, v54
	v_min_u32_e32 v2, 32, v2
	s_delay_alu instid0(VALU_DEP_1) | instskip(NEXT) | instid1(VALU_DEP_1)
	v_subrev_nc_u32_e32 v3, 28, v2
	v_lshlrev_b64_e32 v[4:5], v3, v[54:55]
	s_delay_alu instid0(VALU_DEP_1)
	v_dual_sub_nc_u32 v2, 29, v2 :: v_dual_bitop2_b32 v54, 7, v4 bitop3:0x40
; %bb.539:                              ;   in Loop: Header=BB6_128 Depth=2
	s_or_b32 exec_lo, exec_lo, s43
	v_lshlrev_b32_e32 v3, 16, v10
	s_delay_alu instid0(VALU_DEP_2) | instskip(NEXT) | instid1(VALU_DEP_3)
	v_lshlrev_b32_e32 v4, 20, v54
	v_lshl_add_u32 v2, v2, 23, 0x3c000000
	s_delay_alu instid0(VALU_DEP_3) | instskip(NEXT) | instid1(VALU_DEP_1)
	v_and_b32_e32 v3, 0x80000000, v3
	v_or3_b32 v2, v4, v3, v2
.LBB6_540:                              ;   in Loop: Header=BB6_128 Depth=2
	s_or_b32 exec_lo, exec_lo, s42
.LBB6_541:                              ;   in Loop: Header=BB6_128 Depth=2
	s_delay_alu instid0(SALU_CYCLE_1)
	s_or_b32 exec_lo, exec_lo, s41
.LBB6_542:                              ;   in Loop: Header=BB6_128 Depth=2
	s_delay_alu instid0(SALU_CYCLE_1) | instskip(NEXT) | instid1(VALU_DEP_1)
	s_or_b32 exec_lo, exec_lo, s10
	v_mul_f32_e32 v3, s40, v2
                                        ; implicit-def: $vgpr36
	s_mov_b32 s10, exec_lo
	s_delay_alu instid0(VALU_DEP_1) | instskip(SKIP_1) | instid1(VALU_DEP_2)
	v_and_b32_e32 v54, 0x7f800000, v3
	v_lshrrev_b32_e32 v2, 24, v3
	v_cmpx_ne_u64_e32 0x7f800000, v[54:55]
	s_xor_b32 s41, exec_lo, s10
	s_cbranch_execz .LBB6_556
; %bb.543:                              ;   in Loop: Header=BB6_128 Depth=2
	v_and_b32_e32 v54, 0x7fffffff, v3
	v_and_b32_e32 v2, 0x80, v2
                                        ; implicit-def: $vgpr36
	s_mov_b32 s10, exec_lo
	s_delay_alu instid0(VALU_DEP_2)
	v_cmpx_gt_u64_e32 0x43e00001, v[54:55]
	s_xor_b32 s42, exec_lo, s10
	s_cbranch_execz .LBB6_553
; %bb.544:                              ;   in Loop: Header=BB6_128 Depth=2
	v_mov_b32_e32 v36, 0
	s_mov_b32 s43, exec_lo
	v_cmpx_ne_u32_e32 0, v3
	s_cbranch_execz .LBB6_552
; %bb.545:                              ;   in Loop: Header=BB6_128 Depth=2
	v_bfe_u32 v4, v3, 23, 8
	v_and_b32_e32 v3, 0x7fffff, v3
	s_mov_b32 s44, exec_lo
	s_delay_alu instid0(VALU_DEP_2) | instskip(NEXT) | instid1(VALU_DEP_2)
	v_cmp_gt_u32_e32 vcc_lo, 0x7a, v4
	v_or_b32_e32 v8, 0x800000, v3
	v_sub_nc_u32_e32 v5, 0x79, v4
	s_delay_alu instid0(VALU_DEP_1) | instskip(SKIP_1) | instid1(VALU_DEP_2)
	v_cndmask_b32_e32 v5, 0, v5, vcc_lo
	v_cmp_eq_u32_e32 vcc_lo, 0, v4
	v_cndmask_b32_e64 v5, v5, 0x78, vcc_lo
	s_delay_alu instid0(VALU_DEP_1) | instskip(SKIP_1) | instid1(VALU_DEP_2)
	v_dual_cndmask_b32 v54, v8, v3, vcc_lo :: v_dual_add_nc_u32 v6, 20, v5
	v_add_nc_u32_e32 v9, 19, v5
	v_lshrrev_b64 v[14:15], v5, v[54:55]
	s_delay_alu instid0(VALU_DEP_3) | instskip(NEXT) | instid1(VALU_DEP_3)
	v_lshlrev_b64_e64 v[6:7], v6, -1
	v_lshlrev_b64_e64 v[8:9], v9, 1
	s_delay_alu instid0(VALU_DEP_3) | instskip(NEXT) | instid1(VALU_DEP_3)
	v_mov_b64_e32 v[16:17], v[14:15]
	v_bfi_b32 v7, v7, 0, 0
	s_delay_alu instid0(VALU_DEP_4) | instskip(NEXT) | instid1(VALU_DEP_1)
	v_bfi_b32 v6, v6, 0, v54
	v_cmpx_eq_u64_e64 v[6:7], v[8:9]
; %bb.546:                              ;   in Loop: Header=BB6_128 Depth=2
	v_bfe_u32 v54, v14, 20, 1
	s_delay_alu instid0(VALU_DEP_1) | instskip(NEXT) | instid1(VALU_DEP_1)
	v_add_nc_u64_e32 v[6:7], v[14:15], v[54:55]
	v_add_nc_u64_e32 v[16:17], -1, v[6:7]
; %bb.547:                              ;   in Loop: Header=BB6_128 Depth=2
	s_or_b32 exec_lo, exec_lo, s44
	v_add_nc_u32_e32 v3, 0xffffff81, v4
	v_lshrrev_b32_e32 v4, 23, v14
	s_mov_b32 s10, exec_lo
	s_delay_alu instid0(VALU_DEP_2) | instskip(NEXT) | instid1(VALU_DEP_1)
	v_cndmask_b32_e64 v3, v3, 0xffffff82, vcc_lo
	v_add3_u32 v4, v5, v3, v4
	v_and_b32_e32 v3, 0xfffff, v16
	s_delay_alu instid0(VALU_DEP_1) | instskip(NEXT) | instid1(VALU_DEP_1)
	v_dual_add_nc_u32 v5, 6, v4 :: v_dual_add_nc_u32 v54, v3, v14
                                        ; implicit-def: $vgpr14_vgpr15
                                        ; implicit-def: $vgpr3
	v_cmpx_ne_u32_e32 0, v5
	s_xor_b32 s10, exec_lo, s10
; %bb.548:                              ;   in Loop: Header=BB6_128 Depth=2
	s_delay_alu instid0(VALU_DEP_2) | instskip(SKIP_2) | instid1(VALU_DEP_2)
	v_cmp_lt_u64_e32 vcc_lo, 0xffffff, v[54:55]
	v_add_nc_u32_e32 v3, 7, v4
	v_cndmask_b32_e64 v4, 0, 1, vcc_lo
	v_cndmask_b32_e32 v3, v5, v3, vcc_lo
	s_delay_alu instid0(VALU_DEP_2)
	v_lshrrev_b64 v[14:15], v4, v[54:55]
; %bb.549:                              ;   in Loop: Header=BB6_128 Depth=2
	s_and_not1_saveexec_b32 s10, s10
; %bb.550:                              ;   in Loop: Header=BB6_128 Depth=2
	v_mov_b64_e32 v[14:15], v[54:55]
	v_bfe_u32 v3, v54, 23, 1
; %bb.551:                              ;   in Loop: Header=BB6_128 Depth=2
	s_or_b32 exec_lo, exec_lo, s10
	s_delay_alu instid0(VALU_DEP_2) | instskip(NEXT) | instid1(VALU_DEP_2)
	v_lshrrev_b64 v[4:5], 20, v[14:15]
	v_cmp_gt_i32_e32 vcc_lo, 16, v3
	v_min_i32_e32 v6, 15, v3
	v_cmp_eq_u32_e64 s10, 0, v3
	s_delay_alu instid0(VALU_DEP_2) | instskip(SKIP_1) | instid1(VALU_DEP_2)
	v_dual_cndmask_b32 v5, 0, v5 :: v_dual_lshlrev_b32 v6, 3, v6
	v_cndmask_b32_e32 v4, 7, v4, vcc_lo
	v_and_b32_e32 v6, 0xf8, v6
	s_delay_alu instid0(VALU_DEP_2) | instskip(NEXT) | instid1(VALU_DEP_2)
	v_cmp_eq_u64_e32 vcc_lo, 0, v[4:5]
	v_and_or_b32 v3, v4, 7, v6
	s_and_b32 s10, s10, vcc_lo
	s_delay_alu instid0(VALU_DEP_1) | instid1(SALU_CYCLE_1)
	v_cndmask_b32_e64 v3, v3, 0, s10
	s_delay_alu instid0(VALU_DEP_1)
	v_or_b32_e32 v36, v3, v2
.LBB6_552:                              ;   in Loop: Header=BB6_128 Depth=2
	s_or_b32 exec_lo, exec_lo, s43
                                        ; implicit-def: $vgpr2
.LBB6_553:                              ;   in Loop: Header=BB6_128 Depth=2
	s_and_not1_saveexec_b32 s10, s42
; %bb.554:                              ;   in Loop: Header=BB6_128 Depth=2
	v_or_b32_e32 v36, 0x7e, v2
; %bb.555:                              ;   in Loop: Header=BB6_128 Depth=2
	s_or_b32 exec_lo, exec_lo, s10
                                        ; implicit-def: $vgpr2
.LBB6_556:                              ;   in Loop: Header=BB6_128 Depth=2
	s_and_not1_saveexec_b32 s10, s41
; %bb.557:                              ;   in Loop: Header=BB6_128 Depth=2
	v_or_b32_e32 v36, 0x7f, v2
; %bb.558:                              ;   in Loop: Header=BB6_128 Depth=2
	s_or_b32 exec_lo, exec_lo, s10
	v_dual_mov_b32 v3, 0 :: v_dual_lshrrev_b32 v2, 16, v10
	s_mov_b32 s10, exec_lo
	s_delay_alu instid0(VALU_DEP_1) | instskip(NEXT) | instid1(VALU_DEP_1)
	v_and_b32_e32 v4, 0xff, v2
	v_cmpx_ne_u16_e32 0, v4
	s_cbranch_execz .LBB6_566
; %bb.559:                              ;   in Loop: Header=BB6_128 Depth=2
	v_bfrev_b32_e32 v3, 1
	s_mov_b32 s41, exec_lo
	v_cmpx_ne_u16_e32 0x80, v4
	s_cbranch_execz .LBB6_565
; %bb.560:                              ;   in Loop: Header=BB6_128 Depth=2
	v_bfe_u32 v4, v10, 16, 7
	v_mov_b32_e32 v3, 0x7f800001
	s_mov_b32 s42, exec_lo
	s_delay_alu instid0(VALU_DEP_2)
	v_cmpx_ne_u32_e32 0x7f, v4
	s_cbranch_execz .LBB6_564
; %bb.561:                              ;   in Loop: Header=BB6_128 Depth=2
	v_dual_lshrrev_b32 v3, 3, v4 :: v_dual_bitop2_b32 v54, 7, v2 bitop3:0x40
	s_mov_b32 s43, exec_lo
	v_cmpx_gt_u32_e32 8, v4
; %bb.562:                              ;   in Loop: Header=BB6_128 Depth=2
	s_delay_alu instid0(VALU_DEP_2) | instskip(NEXT) | instid1(VALU_DEP_1)
	v_clz_i32_u32_e32 v3, v54
	v_min_u32_e32 v3, 32, v3
	s_delay_alu instid0(VALU_DEP_1) | instskip(NEXT) | instid1(VALU_DEP_1)
	v_subrev_nc_u32_e32 v4, 28, v3
	v_lshlrev_b64_e32 v[4:5], v4, v[54:55]
	s_delay_alu instid0(VALU_DEP_1)
	v_dual_sub_nc_u32 v3, 29, v3 :: v_dual_bitop2_b32 v54, 7, v4 bitop3:0x40
; %bb.563:                              ;   in Loop: Header=BB6_128 Depth=2
	s_or_b32 exec_lo, exec_lo, s43
	v_lshlrev_b32_e32 v2, 24, v2
	s_delay_alu instid0(VALU_DEP_2) | instskip(NEXT) | instid1(VALU_DEP_3)
	v_lshlrev_b32_e32 v4, 20, v54
	v_lshl_add_u32 v3, v3, 23, 0x3c000000
	s_delay_alu instid0(VALU_DEP_3) | instskip(NEXT) | instid1(VALU_DEP_1)
	v_and_b32_e32 v2, 0x80000000, v2
	v_or3_b32 v3, v4, v2, v3
.LBB6_564:                              ;   in Loop: Header=BB6_128 Depth=2
	s_or_b32 exec_lo, exec_lo, s42
.LBB6_565:                              ;   in Loop: Header=BB6_128 Depth=2
	s_delay_alu instid0(SALU_CYCLE_1)
	s_or_b32 exec_lo, exec_lo, s41
.LBB6_566:                              ;   in Loop: Header=BB6_128 Depth=2
	s_delay_alu instid0(SALU_CYCLE_1) | instskip(NEXT) | instid1(VALU_DEP_1)
	s_or_b32 exec_lo, exec_lo, s10
	v_mul_f32_e32 v3, s40, v3
                                        ; implicit-def: $vgpr37
	s_mov_b32 s10, exec_lo
	s_delay_alu instid0(VALU_DEP_1) | instskip(SKIP_1) | instid1(VALU_DEP_2)
	v_and_b32_e32 v54, 0x7f800000, v3
	v_lshrrev_b32_e32 v2, 24, v3
	v_cmpx_ne_u64_e32 0x7f800000, v[54:55]
	s_xor_b32 s41, exec_lo, s10
	s_cbranch_execz .LBB6_580
; %bb.567:                              ;   in Loop: Header=BB6_128 Depth=2
	v_and_b32_e32 v54, 0x7fffffff, v3
	v_and_b32_e32 v2, 0x80, v2
                                        ; implicit-def: $vgpr37
	s_mov_b32 s10, exec_lo
	s_delay_alu instid0(VALU_DEP_2)
	v_cmpx_gt_u64_e32 0x43e00001, v[54:55]
	s_xor_b32 s42, exec_lo, s10
	s_cbranch_execz .LBB6_577
; %bb.568:                              ;   in Loop: Header=BB6_128 Depth=2
	v_mov_b32_e32 v37, 0
	s_mov_b32 s43, exec_lo
	v_cmpx_ne_u32_e32 0, v3
	s_cbranch_execz .LBB6_576
; %bb.569:                              ;   in Loop: Header=BB6_128 Depth=2
	v_bfe_u32 v4, v3, 23, 8
	v_and_b32_e32 v3, 0x7fffff, v3
	s_mov_b32 s44, exec_lo
	s_delay_alu instid0(VALU_DEP_2) | instskip(NEXT) | instid1(VALU_DEP_2)
	v_cmp_gt_u32_e32 vcc_lo, 0x7a, v4
	v_or_b32_e32 v8, 0x800000, v3
	v_sub_nc_u32_e32 v5, 0x79, v4
	s_delay_alu instid0(VALU_DEP_1) | instskip(SKIP_1) | instid1(VALU_DEP_2)
	v_cndmask_b32_e32 v5, 0, v5, vcc_lo
	v_cmp_eq_u32_e32 vcc_lo, 0, v4
	v_cndmask_b32_e64 v5, v5, 0x78, vcc_lo
	s_delay_alu instid0(VALU_DEP_1) | instskip(SKIP_1) | instid1(VALU_DEP_2)
	v_dual_cndmask_b32 v54, v8, v3, vcc_lo :: v_dual_add_nc_u32 v6, 20, v5
	v_add_nc_u32_e32 v9, 19, v5
	v_lshrrev_b64 v[14:15], v5, v[54:55]
	s_delay_alu instid0(VALU_DEP_3) | instskip(NEXT) | instid1(VALU_DEP_3)
	v_lshlrev_b64_e64 v[6:7], v6, -1
	v_lshlrev_b64_e64 v[8:9], v9, 1
	s_delay_alu instid0(VALU_DEP_3) | instskip(NEXT) | instid1(VALU_DEP_3)
	v_mov_b64_e32 v[16:17], v[14:15]
	v_bfi_b32 v7, v7, 0, 0
	s_delay_alu instid0(VALU_DEP_4) | instskip(NEXT) | instid1(VALU_DEP_1)
	v_bfi_b32 v6, v6, 0, v54
	v_cmpx_eq_u64_e64 v[6:7], v[8:9]
; %bb.570:                              ;   in Loop: Header=BB6_128 Depth=2
	v_bfe_u32 v54, v14, 20, 1
	s_delay_alu instid0(VALU_DEP_1) | instskip(NEXT) | instid1(VALU_DEP_1)
	v_add_nc_u64_e32 v[6:7], v[14:15], v[54:55]
	v_add_nc_u64_e32 v[16:17], -1, v[6:7]
; %bb.571:                              ;   in Loop: Header=BB6_128 Depth=2
	s_or_b32 exec_lo, exec_lo, s44
	v_add_nc_u32_e32 v3, 0xffffff81, v4
	v_lshrrev_b32_e32 v4, 23, v14
	s_mov_b32 s10, exec_lo
	s_delay_alu instid0(VALU_DEP_2) | instskip(NEXT) | instid1(VALU_DEP_1)
	v_cndmask_b32_e64 v3, v3, 0xffffff82, vcc_lo
	v_add3_u32 v4, v5, v3, v4
	v_and_b32_e32 v3, 0xfffff, v16
	s_delay_alu instid0(VALU_DEP_1) | instskip(NEXT) | instid1(VALU_DEP_1)
	v_dual_add_nc_u32 v5, 6, v4 :: v_dual_add_nc_u32 v54, v3, v14
                                        ; implicit-def: $vgpr14_vgpr15
                                        ; implicit-def: $vgpr3
	v_cmpx_ne_u32_e32 0, v5
	s_xor_b32 s10, exec_lo, s10
; %bb.572:                              ;   in Loop: Header=BB6_128 Depth=2
	s_delay_alu instid0(VALU_DEP_2) | instskip(SKIP_2) | instid1(VALU_DEP_2)
	v_cmp_lt_u64_e32 vcc_lo, 0xffffff, v[54:55]
	v_add_nc_u32_e32 v3, 7, v4
	v_cndmask_b32_e64 v4, 0, 1, vcc_lo
	v_cndmask_b32_e32 v3, v5, v3, vcc_lo
	s_delay_alu instid0(VALU_DEP_2)
	v_lshrrev_b64 v[14:15], v4, v[54:55]
; %bb.573:                              ;   in Loop: Header=BB6_128 Depth=2
	s_and_not1_saveexec_b32 s10, s10
; %bb.574:                              ;   in Loop: Header=BB6_128 Depth=2
	v_mov_b64_e32 v[14:15], v[54:55]
	v_bfe_u32 v3, v54, 23, 1
; %bb.575:                              ;   in Loop: Header=BB6_128 Depth=2
	s_or_b32 exec_lo, exec_lo, s10
	s_delay_alu instid0(VALU_DEP_2) | instskip(NEXT) | instid1(VALU_DEP_2)
	v_lshrrev_b64 v[4:5], 20, v[14:15]
	v_cmp_gt_i32_e32 vcc_lo, 16, v3
	v_min_i32_e32 v6, 15, v3
	v_cmp_eq_u32_e64 s10, 0, v3
	s_delay_alu instid0(VALU_DEP_2) | instskip(SKIP_1) | instid1(VALU_DEP_2)
	v_dual_cndmask_b32 v5, 0, v5 :: v_dual_lshlrev_b32 v6, 3, v6
	v_cndmask_b32_e32 v4, 7, v4, vcc_lo
	v_and_b32_e32 v6, 0xf8, v6
	s_delay_alu instid0(VALU_DEP_2) | instskip(NEXT) | instid1(VALU_DEP_2)
	v_cmp_eq_u64_e32 vcc_lo, 0, v[4:5]
	v_and_or_b32 v3, v4, 7, v6
	s_and_b32 s10, s10, vcc_lo
	s_delay_alu instid0(VALU_DEP_1) | instid1(SALU_CYCLE_1)
	v_cndmask_b32_e64 v3, v3, 0, s10
	s_delay_alu instid0(VALU_DEP_1)
	v_or_b32_e32 v37, v3, v2
.LBB6_576:                              ;   in Loop: Header=BB6_128 Depth=2
	s_or_b32 exec_lo, exec_lo, s43
                                        ; implicit-def: $vgpr2
.LBB6_577:                              ;   in Loop: Header=BB6_128 Depth=2
	s_and_not1_saveexec_b32 s10, s42
; %bb.578:                              ;   in Loop: Header=BB6_128 Depth=2
	v_or_b32_e32 v37, 0x7e, v2
; %bb.579:                              ;   in Loop: Header=BB6_128 Depth=2
	s_or_b32 exec_lo, exec_lo, s10
                                        ; implicit-def: $vgpr2
.LBB6_580:                              ;   in Loop: Header=BB6_128 Depth=2
	s_and_not1_saveexec_b32 s10, s41
; %bb.581:                              ;   in Loop: Header=BB6_128 Depth=2
	v_or_b32_e32 v37, 0x7f, v2
; %bb.582:                              ;   in Loop: Header=BB6_128 Depth=2
	s_or_b32 exec_lo, exec_lo, s10
	v_mov_b32_e32 v3, 0
	s_mov_b32 s10, exec_lo
	v_cmpx_lt_u32_e32 0xffffff, v10
	s_cbranch_execz .LBB6_590
; %bb.583:                              ;   in Loop: Header=BB6_128 Depth=2
	v_lshrrev_b32_e32 v2, 24, v10
	v_bfrev_b32_e32 v3, 1
	s_mov_b32 s41, exec_lo
	s_delay_alu instid0(VALU_DEP_2)
	v_cmpx_ne_u32_e32 0x80, v2
	s_cbranch_execz .LBB6_589
; %bb.584:                              ;   in Loop: Header=BB6_128 Depth=2
	v_bfe_u32 v4, v10, 24, 7
	v_mov_b32_e32 v3, 0x7f800001
	s_mov_b32 s42, exec_lo
	s_delay_alu instid0(VALU_DEP_2)
	v_cmpx_ne_u32_e32 0x7f, v4
	s_cbranch_execz .LBB6_588
; %bb.585:                              ;   in Loop: Header=BB6_128 Depth=2
	v_dual_lshrrev_b32 v3, 3, v4 :: v_dual_bitop2_b32 v54, 7, v2 bitop3:0x40
	s_mov_b32 s43, exec_lo
	v_cmpx_gt_u32_e32 8, v4
; %bb.586:                              ;   in Loop: Header=BB6_128 Depth=2
	s_delay_alu instid0(VALU_DEP_2) | instskip(NEXT) | instid1(VALU_DEP_1)
	v_clz_i32_u32_e32 v3, v54
	v_min_u32_e32 v3, 32, v3
	s_delay_alu instid0(VALU_DEP_1) | instskip(NEXT) | instid1(VALU_DEP_1)
	v_subrev_nc_u32_e32 v4, 28, v3
	v_lshlrev_b64_e32 v[4:5], v4, v[54:55]
	s_delay_alu instid0(VALU_DEP_1)
	v_dual_sub_nc_u32 v3, 29, v3 :: v_dual_bitop2_b32 v54, 7, v4 bitop3:0x40
; %bb.587:                              ;   in Loop: Header=BB6_128 Depth=2
	s_or_b32 exec_lo, exec_lo, s43
	v_lshlrev_b32_e32 v2, 24, v2
	s_delay_alu instid0(VALU_DEP_2) | instskip(NEXT) | instid1(VALU_DEP_3)
	v_lshlrev_b32_e32 v4, 20, v54
	v_lshl_add_u32 v3, v3, 23, 0x3c000000
	s_delay_alu instid0(VALU_DEP_3) | instskip(NEXT) | instid1(VALU_DEP_1)
	v_and_b32_e32 v2, 0x80000000, v2
	v_or3_b32 v3, v4, v2, v3
.LBB6_588:                              ;   in Loop: Header=BB6_128 Depth=2
	s_or_b32 exec_lo, exec_lo, s42
.LBB6_589:                              ;   in Loop: Header=BB6_128 Depth=2
	s_delay_alu instid0(SALU_CYCLE_1)
	s_or_b32 exec_lo, exec_lo, s41
.LBB6_590:                              ;   in Loop: Header=BB6_128 Depth=2
	s_delay_alu instid0(SALU_CYCLE_1) | instskip(NEXT) | instid1(VALU_DEP_1)
	s_or_b32 exec_lo, exec_lo, s10
	v_mul_f32_e32 v3, s40, v3
                                        ; implicit-def: $vgpr26
	s_mov_b32 s10, exec_lo
	s_delay_alu instid0(VALU_DEP_1) | instskip(SKIP_1) | instid1(VALU_DEP_2)
	v_and_b32_e32 v54, 0x7f800000, v3
	v_lshrrev_b32_e32 v2, 24, v3
	v_cmpx_ne_u64_e32 0x7f800000, v[54:55]
	s_xor_b32 s41, exec_lo, s10
	s_cbranch_execz .LBB6_604
; %bb.591:                              ;   in Loop: Header=BB6_128 Depth=2
	v_and_b32_e32 v54, 0x7fffffff, v3
	v_and_b32_e32 v2, 0x80, v2
                                        ; implicit-def: $vgpr26
	s_mov_b32 s10, exec_lo
	s_delay_alu instid0(VALU_DEP_2)
	v_cmpx_gt_u64_e32 0x43e00001, v[54:55]
	s_xor_b32 s42, exec_lo, s10
	s_cbranch_execz .LBB6_601
; %bb.592:                              ;   in Loop: Header=BB6_128 Depth=2
	v_mov_b32_e32 v26, 0
	s_mov_b32 s43, exec_lo
	v_cmpx_ne_u32_e32 0, v3
	s_cbranch_execz .LBB6_600
; %bb.593:                              ;   in Loop: Header=BB6_128 Depth=2
	v_bfe_u32 v4, v3, 23, 8
	v_and_b32_e32 v3, 0x7fffff, v3
	s_mov_b32 s44, exec_lo
	s_delay_alu instid0(VALU_DEP_2) | instskip(NEXT) | instid1(VALU_DEP_2)
	v_cmp_gt_u32_e32 vcc_lo, 0x7a, v4
	v_or_b32_e32 v8, 0x800000, v3
	v_sub_nc_u32_e32 v5, 0x79, v4
	s_delay_alu instid0(VALU_DEP_1) | instskip(SKIP_1) | instid1(VALU_DEP_2)
	v_cndmask_b32_e32 v5, 0, v5, vcc_lo
	v_cmp_eq_u32_e32 vcc_lo, 0, v4
	v_cndmask_b32_e64 v5, v5, 0x78, vcc_lo
	s_delay_alu instid0(VALU_DEP_1) | instskip(SKIP_1) | instid1(VALU_DEP_2)
	v_dual_cndmask_b32 v54, v8, v3, vcc_lo :: v_dual_add_nc_u32 v6, 20, v5
	v_add_nc_u32_e32 v9, 19, v5
	v_lshrrev_b64 v[14:15], v5, v[54:55]
	s_delay_alu instid0(VALU_DEP_3) | instskip(NEXT) | instid1(VALU_DEP_3)
	v_lshlrev_b64_e64 v[6:7], v6, -1
	v_lshlrev_b64_e64 v[8:9], v9, 1
	s_delay_alu instid0(VALU_DEP_3) | instskip(NEXT) | instid1(VALU_DEP_3)
	v_mov_b64_e32 v[16:17], v[14:15]
	v_bfi_b32 v7, v7, 0, 0
	s_delay_alu instid0(VALU_DEP_4) | instskip(NEXT) | instid1(VALU_DEP_1)
	v_bfi_b32 v6, v6, 0, v54
	v_cmpx_eq_u64_e64 v[6:7], v[8:9]
; %bb.594:                              ;   in Loop: Header=BB6_128 Depth=2
	v_bfe_u32 v54, v14, 20, 1
	s_delay_alu instid0(VALU_DEP_1) | instskip(NEXT) | instid1(VALU_DEP_1)
	v_add_nc_u64_e32 v[6:7], v[14:15], v[54:55]
	v_add_nc_u64_e32 v[16:17], -1, v[6:7]
; %bb.595:                              ;   in Loop: Header=BB6_128 Depth=2
	s_or_b32 exec_lo, exec_lo, s44
	v_add_nc_u32_e32 v3, 0xffffff81, v4
	v_lshrrev_b32_e32 v4, 23, v14
	s_mov_b32 s10, exec_lo
	s_delay_alu instid0(VALU_DEP_2) | instskip(NEXT) | instid1(VALU_DEP_1)
	v_cndmask_b32_e64 v3, v3, 0xffffff82, vcc_lo
	v_add3_u32 v4, v5, v3, v4
	v_and_b32_e32 v3, 0xfffff, v16
	s_delay_alu instid0(VALU_DEP_1) | instskip(NEXT) | instid1(VALU_DEP_1)
	v_dual_add_nc_u32 v5, 6, v4 :: v_dual_add_nc_u32 v54, v3, v14
                                        ; implicit-def: $vgpr14_vgpr15
                                        ; implicit-def: $vgpr3
	v_cmpx_ne_u32_e32 0, v5
	s_xor_b32 s10, exec_lo, s10
; %bb.596:                              ;   in Loop: Header=BB6_128 Depth=2
	s_delay_alu instid0(VALU_DEP_2) | instskip(SKIP_2) | instid1(VALU_DEP_2)
	v_cmp_lt_u64_e32 vcc_lo, 0xffffff, v[54:55]
	v_add_nc_u32_e32 v3, 7, v4
	v_cndmask_b32_e64 v4, 0, 1, vcc_lo
	v_cndmask_b32_e32 v3, v5, v3, vcc_lo
	s_delay_alu instid0(VALU_DEP_2)
	v_lshrrev_b64 v[14:15], v4, v[54:55]
; %bb.597:                              ;   in Loop: Header=BB6_128 Depth=2
	s_and_not1_saveexec_b32 s10, s10
; %bb.598:                              ;   in Loop: Header=BB6_128 Depth=2
	v_mov_b64_e32 v[14:15], v[54:55]
	v_bfe_u32 v3, v54, 23, 1
; %bb.599:                              ;   in Loop: Header=BB6_128 Depth=2
	s_or_b32 exec_lo, exec_lo, s10
	s_delay_alu instid0(VALU_DEP_2) | instskip(NEXT) | instid1(VALU_DEP_2)
	v_lshrrev_b64 v[4:5], 20, v[14:15]
	v_cmp_gt_i32_e32 vcc_lo, 16, v3
	v_min_i32_e32 v6, 15, v3
	v_cmp_eq_u32_e64 s10, 0, v3
	s_delay_alu instid0(VALU_DEP_2) | instskip(SKIP_1) | instid1(VALU_DEP_2)
	v_dual_cndmask_b32 v5, 0, v5 :: v_dual_lshlrev_b32 v6, 3, v6
	v_cndmask_b32_e32 v4, 7, v4, vcc_lo
	v_and_b32_e32 v6, 0xf8, v6
	s_delay_alu instid0(VALU_DEP_2) | instskip(NEXT) | instid1(VALU_DEP_2)
	v_cmp_eq_u64_e32 vcc_lo, 0, v[4:5]
	v_and_or_b32 v3, v4, 7, v6
	s_and_b32 s10, s10, vcc_lo
	s_delay_alu instid0(VALU_DEP_1) | instid1(SALU_CYCLE_1)
	v_cndmask_b32_e64 v3, v3, 0, s10
	s_delay_alu instid0(VALU_DEP_1)
	v_or_b32_e32 v26, v3, v2
.LBB6_600:                              ;   in Loop: Header=BB6_128 Depth=2
	s_or_b32 exec_lo, exec_lo, s43
                                        ; implicit-def: $vgpr2
.LBB6_601:                              ;   in Loop: Header=BB6_128 Depth=2
	s_and_not1_saveexec_b32 s10, s42
; %bb.602:                              ;   in Loop: Header=BB6_128 Depth=2
	v_or_b32_e32 v26, 0x7e, v2
; %bb.603:                              ;   in Loop: Header=BB6_128 Depth=2
	s_or_b32 exec_lo, exec_lo, s10
                                        ; implicit-def: $vgpr2
.LBB6_604:                              ;   in Loop: Header=BB6_128 Depth=2
	s_and_not1_saveexec_b32 s10, s41
; %bb.605:                              ;   in Loop: Header=BB6_128 Depth=2
	v_or_b32_e32 v26, 0x7f, v2
; %bb.606:                              ;   in Loop: Header=BB6_128 Depth=2
	s_or_b32 exec_lo, exec_lo, s10
	v_and_b32_e32 v3, 0xff, v11
	v_dual_mov_b32 v54, v11 :: v_dual_mov_b32 v2, 0
	s_mov_b32 s10, exec_lo
	s_delay_alu instid0(VALU_DEP_2)
	v_cmpx_ne_u16_e32 0, v3
	s_cbranch_execz .LBB6_612
; %bb.607:                              ;   in Loop: Header=BB6_128 Depth=2
	v_bfrev_b32_e32 v2, 1
	s_mov_b32 s41, exec_lo
	v_cmpx_ne_u16_e32 0x80, v3
	s_cbranch_execz .LBB6_611
; %bb.608:                              ;   in Loop: Header=BB6_128 Depth=2
	v_and_b32_e32 v3, 0x7f, v11
	v_mov_b32_e32 v2, 0x7f800001
	s_mov_b32 s42, exec_lo
	s_delay_alu instid0(VALU_DEP_2)
	v_cmpx_ne_u32_e32 0x7f, v3
	s_cbranch_execz .LBB6_610
; %bb.609:                              ;   in Loop: Header=BB6_128 Depth=2
	v_and_b32_e32 v2, 7, v11
	v_cmp_gt_u32_e32 vcc_lo, 8, v3
	s_delay_alu instid0(VALU_DEP_2) | instskip(NEXT) | instid1(VALU_DEP_1)
	v_clz_i32_u32_e32 v2, v2
	v_min_u32_e32 v2, 32, v2
	v_lshrrev_b32_e32 v4, 3, v3
	s_delay_alu instid0(VALU_DEP_2) | instskip(SKIP_1) | instid1(VALU_DEP_1)
	v_subrev_nc_u32_e32 v5, 28, v2
	v_sub_nc_u32_e32 v2, 29, v2
	v_dual_cndmask_b32 v4, v4, v2, vcc_lo :: v_dual_cndmask_b32 v2, 0, v5, vcc_lo
	s_delay_alu instid0(VALU_DEP_1) | instskip(NEXT) | instid1(VALU_DEP_2)
	v_lshl_add_u32 v4, v4, 23, 0x3c000000
	v_lshlrev_b64_e32 v[2:3], v2, v[54:55]
	v_lshlrev_b32_e32 v3, 24, v54
	s_delay_alu instid0(VALU_DEP_1) | instskip(NEXT) | instid1(VALU_DEP_3)
	v_and_b32_e32 v3, 0x80000000, v3
	v_lshlrev_b32_e32 v2, 20, v2
	s_delay_alu instid0(VALU_DEP_1) | instskip(NEXT) | instid1(VALU_DEP_1)
	v_and_b32_e32 v2, 0x700000, v2
	v_or3_b32 v2, v2, v3, v4
.LBB6_610:                              ;   in Loop: Header=BB6_128 Depth=2
	s_or_b32 exec_lo, exec_lo, s42
.LBB6_611:                              ;   in Loop: Header=BB6_128 Depth=2
	s_delay_alu instid0(SALU_CYCLE_1)
	s_or_b32 exec_lo, exec_lo, s41
.LBB6_612:                              ;   in Loop: Header=BB6_128 Depth=2
	s_delay_alu instid0(SALU_CYCLE_1) | instskip(NEXT) | instid1(VALU_DEP_1)
	s_or_b32 exec_lo, exec_lo, s10
	v_dual_mul_f32 v3, s40, v2 :: v_dual_mov_b32 v5, v55
                                        ; implicit-def: $vgpr42
	s_mov_b32 s10, exec_lo
	s_delay_alu instid0(VALU_DEP_1) | instskip(SKIP_1) | instid1(VALU_DEP_2)
	v_and_b32_e32 v4, 0x7f800000, v3
	v_lshrrev_b32_e32 v2, 24, v3
	v_cmpx_ne_u64_e32 0x7f800000, v[4:5]
	s_xor_b32 s41, exec_lo, s10
	s_cbranch_execz .LBB6_626
; %bb.613:                              ;   in Loop: Header=BB6_128 Depth=2
	v_and_b32_e32 v4, 0x7fffffff, v3
	v_mov_b32_e32 v5, v55
	v_and_b32_e32 v2, 0x80, v2
                                        ; implicit-def: $vgpr42
	s_mov_b32 s10, exec_lo
	s_delay_alu instid0(VALU_DEP_2)
	v_cmpx_gt_u64_e32 0x43e00001, v[4:5]
	s_xor_b32 s42, exec_lo, s10
	s_cbranch_execz .LBB6_623
; %bb.614:                              ;   in Loop: Header=BB6_128 Depth=2
	v_mov_b32_e32 v42, 0
	s_mov_b32 s43, exec_lo
	v_cmpx_ne_u32_e32 0, v3
	s_cbranch_execz .LBB6_622
; %bb.615:                              ;   in Loop: Header=BB6_128 Depth=2
	v_bfe_u32 v4, v3, 23, 8
	v_and_b32_e32 v3, 0x7fffff, v3
	v_mov_b32_e32 v9, v55
	s_delay_alu instid0(VALU_DEP_3) | instskip(NEXT) | instid1(VALU_DEP_3)
	v_cmp_gt_u32_e32 vcc_lo, 0x7a, v4
	v_or_b32_e32 v8, 0x800000, v3
	v_sub_nc_u32_e32 v5, 0x79, v4
	s_delay_alu instid0(VALU_DEP_1) | instskip(SKIP_1) | instid1(VALU_DEP_2)
	v_cndmask_b32_e32 v5, 0, v5, vcc_lo
	v_cmp_eq_u32_e32 vcc_lo, 0, v4
	v_cndmask_b32_e64 v5, v5, 0x78, vcc_lo
	s_delay_alu instid0(VALU_DEP_1) | instskip(SKIP_1) | instid1(VALU_DEP_2)
	v_dual_cndmask_b32 v8, v8, v3, vcc_lo :: v_dual_add_nc_u32 v6, 20, v5
	v_add_nc_u32_e32 v14, 19, v5
	v_lshlrev_b64_e64 v[6:7], v6, -1
	s_delay_alu instid0(VALU_DEP_2) | instskip(NEXT) | instid1(VALU_DEP_4)
	v_lshlrev_b64_e64 v[16:17], v14, 1
	v_lshrrev_b64 v[14:15], v5, v[8:9]
	s_delay_alu instid0(VALU_DEP_3) | instskip(NEXT) | instid1(VALU_DEP_4)
	v_bfi_b32 v7, v7, 0, 0
	v_bfi_b32 v6, v6, 0, v8
	s_delay_alu instid0(VALU_DEP_1) | instskip(NEXT) | instid1(VALU_DEP_4)
	v_cmp_eq_u64_e64 s10, v[6:7], v[16:17]
	v_mov_b64_e32 v[16:17], v[14:15]
	s_and_saveexec_b32 s44, s10
; %bb.616:                              ;   in Loop: Header=BB6_128 Depth=2
	v_bfe_u32 v6, v14, 20, 1
	v_mov_b32_e32 v7, v55
	s_delay_alu instid0(VALU_DEP_1) | instskip(NEXT) | instid1(VALU_DEP_1)
	v_add_nc_u64_e32 v[6:7], v[14:15], v[6:7]
	v_add_nc_u64_e32 v[16:17], -1, v[6:7]
; %bb.617:                              ;   in Loop: Header=BB6_128 Depth=2
	s_or_b32 exec_lo, exec_lo, s44
	v_add_nc_u32_e32 v3, 0xffffff81, v4
	v_lshrrev_b32_e32 v4, 23, v14
	s_mov_b32 s10, exec_lo
	v_mov_b32_e32 v15, v55
	s_delay_alu instid0(VALU_DEP_3) | instskip(NEXT) | instid1(VALU_DEP_1)
	v_cndmask_b32_e64 v3, v3, 0xffffff82, vcc_lo
	v_add3_u32 v4, v5, v3, v4
	v_and_b32_e32 v3, 0xfffff, v16
	s_delay_alu instid0(VALU_DEP_1) | instskip(NEXT) | instid1(VALU_DEP_1)
	v_dual_add_nc_u32 v5, 6, v4 :: v_dual_add_nc_u32 v14, v3, v14
                                        ; implicit-def: $vgpr3
	v_cmpx_ne_u32_e32 0, v5
	s_xor_b32 s10, exec_lo, s10
; %bb.618:                              ;   in Loop: Header=BB6_128 Depth=2
	s_delay_alu instid0(VALU_DEP_2) | instskip(SKIP_2) | instid1(VALU_DEP_2)
	v_cmp_lt_u64_e32 vcc_lo, 0xffffff, v[14:15]
	v_add_nc_u32_e32 v3, 7, v4
	v_cndmask_b32_e64 v4, 0, 1, vcc_lo
	v_cndmask_b32_e32 v3, v5, v3, vcc_lo
	s_delay_alu instid0(VALU_DEP_2)
	v_lshrrev_b64 v[14:15], v4, v[14:15]
; %bb.619:                              ;   in Loop: Header=BB6_128 Depth=2
	s_and_not1_saveexec_b32 s10, s10
; %bb.620:                              ;   in Loop: Header=BB6_128 Depth=2
	s_delay_alu instid0(VALU_DEP_1)
	v_bfe_u32 v3, v14, 23, 1
; %bb.621:                              ;   in Loop: Header=BB6_128 Depth=2
	s_or_b32 exec_lo, exec_lo, s10
	s_delay_alu instid0(VALU_DEP_2) | instskip(NEXT) | instid1(VALU_DEP_2)
	v_lshrrev_b64 v[4:5], 20, v[14:15]
	v_cmp_gt_i32_e32 vcc_lo, 16, v3
	v_min_i32_e32 v6, 15, v3
	v_cmp_eq_u32_e64 s10, 0, v3
	s_delay_alu instid0(VALU_DEP_2) | instskip(SKIP_1) | instid1(VALU_DEP_2)
	v_dual_cndmask_b32 v5, 0, v5 :: v_dual_lshlrev_b32 v6, 3, v6
	v_cndmask_b32_e32 v4, 7, v4, vcc_lo
	v_and_b32_e32 v6, 0xf8, v6
	s_delay_alu instid0(VALU_DEP_2) | instskip(NEXT) | instid1(VALU_DEP_2)
	v_cmp_eq_u64_e32 vcc_lo, 0, v[4:5]
	v_and_or_b32 v3, v4, 7, v6
	s_and_b32 s10, s10, vcc_lo
	s_delay_alu instid0(VALU_DEP_1) | instid1(SALU_CYCLE_1)
	v_cndmask_b32_e64 v3, v3, 0, s10
	s_delay_alu instid0(VALU_DEP_1)
	v_or_b32_e32 v42, v3, v2
.LBB6_622:                              ;   in Loop: Header=BB6_128 Depth=2
	s_or_b32 exec_lo, exec_lo, s43
                                        ; implicit-def: $vgpr2
.LBB6_623:                              ;   in Loop: Header=BB6_128 Depth=2
	s_and_not1_saveexec_b32 s10, s42
; %bb.624:                              ;   in Loop: Header=BB6_128 Depth=2
	v_or_b32_e32 v42, 0x7e, v2
; %bb.625:                              ;   in Loop: Header=BB6_128 Depth=2
	s_or_b32 exec_lo, exec_lo, s10
                                        ; implicit-def: $vgpr2
.LBB6_626:                              ;   in Loop: Header=BB6_128 Depth=2
	s_and_not1_saveexec_b32 s10, s41
; %bb.627:                              ;   in Loop: Header=BB6_128 Depth=2
	v_or_b32_e32 v42, 0x7f, v2
; %bb.628:                              ;   in Loop: Header=BB6_128 Depth=2
	s_or_b32 exec_lo, exec_lo, s10
	v_lshrrev_b16 v3, 8, v54
	v_mov_b32_e32 v2, 0
	s_mov_b32 s10, exec_lo
	s_delay_alu instid0(VALU_DEP_2)
	v_cmpx_ne_u16_e32 0, v3
	s_cbranch_execz .LBB6_636
; %bb.629:                              ;   in Loop: Header=BB6_128 Depth=2
	v_bfrev_b32_e32 v2, 1
	s_mov_b32 s41, exec_lo
	v_cmpx_ne_u16_e32 0x80, v3
	s_cbranch_execz .LBB6_635
; %bb.630:                              ;   in Loop: Header=BB6_128 Depth=2
	v_and_b32_e32 v4, 0xffff, v3
	v_mov_b32_e32 v2, 0x7f800001
	s_mov_b32 s42, exec_lo
	s_delay_alu instid0(VALU_DEP_2) | instskip(NEXT) | instid1(VALU_DEP_1)
	v_and_b32_e32 v3, 0x7f, v4
	v_cmpx_ne_u32_e32 0x7f, v3
	s_cbranch_execz .LBB6_634
; %bb.631:                              ;   in Loop: Header=BB6_128 Depth=2
	v_dual_mov_b32 v15, v55 :: v_dual_bitop2_b32 v14, 7, v4 bitop3:0x40
	v_lshrrev_b32_e32 v2, 3, v3
	s_mov_b32 s43, exec_lo
	v_cmpx_gt_u32_e32 8, v3
; %bb.632:                              ;   in Loop: Header=BB6_128 Depth=2
	s_delay_alu instid0(VALU_DEP_3) | instskip(NEXT) | instid1(VALU_DEP_1)
	v_clz_i32_u32_e32 v2, v14
	v_min_u32_e32 v2, 32, v2
	s_delay_alu instid0(VALU_DEP_1) | instskip(NEXT) | instid1(VALU_DEP_1)
	v_subrev_nc_u32_e32 v3, 28, v2
	v_lshlrev_b64_e32 v[4:5], v3, v[14:15]
	s_delay_alu instid0(VALU_DEP_1)
	v_dual_sub_nc_u32 v2, 29, v2 :: v_dual_bitop2_b32 v14, 7, v4 bitop3:0x40
; %bb.633:                              ;   in Loop: Header=BB6_128 Depth=2
	s_or_b32 exec_lo, exec_lo, s43
	v_lshlrev_b32_e32 v3, 16, v54
	s_delay_alu instid0(VALU_DEP_2) | instskip(NEXT) | instid1(VALU_DEP_3)
	v_lshlrev_b32_e32 v4, 20, v14
	v_lshl_add_u32 v2, v2, 23, 0x3c000000
	s_delay_alu instid0(VALU_DEP_3) | instskip(NEXT) | instid1(VALU_DEP_1)
	v_and_b32_e32 v3, 0x80000000, v3
	v_or3_b32 v2, v4, v3, v2
.LBB6_634:                              ;   in Loop: Header=BB6_128 Depth=2
	s_or_b32 exec_lo, exec_lo, s42
.LBB6_635:                              ;   in Loop: Header=BB6_128 Depth=2
	s_delay_alu instid0(SALU_CYCLE_1)
	s_or_b32 exec_lo, exec_lo, s41
.LBB6_636:                              ;   in Loop: Header=BB6_128 Depth=2
	s_delay_alu instid0(SALU_CYCLE_1) | instskip(NEXT) | instid1(VALU_DEP_1)
	s_or_b32 exec_lo, exec_lo, s10
	v_mul_f32_e32 v3, s40, v2
                                        ; implicit-def: $vgpr44
	s_mov_b32 s10, exec_lo
	s_delay_alu instid0(VALU_DEP_1) | instskip(SKIP_1) | instid1(VALU_DEP_2)
	v_and_b32_e32 v54, 0x7f800000, v3
	v_lshrrev_b32_e32 v2, 24, v3
	v_cmpx_ne_u64_e32 0x7f800000, v[54:55]
	s_xor_b32 s41, exec_lo, s10
	s_cbranch_execz .LBB6_650
; %bb.637:                              ;   in Loop: Header=BB6_128 Depth=2
	v_and_b32_e32 v54, 0x7fffffff, v3
	v_and_b32_e32 v2, 0x80, v2
                                        ; implicit-def: $vgpr44
	s_mov_b32 s10, exec_lo
	s_delay_alu instid0(VALU_DEP_2)
	v_cmpx_gt_u64_e32 0x43e00001, v[54:55]
	s_xor_b32 s42, exec_lo, s10
	s_cbranch_execz .LBB6_647
; %bb.638:                              ;   in Loop: Header=BB6_128 Depth=2
	v_mov_b32_e32 v44, 0
	s_mov_b32 s43, exec_lo
	v_cmpx_ne_u32_e32 0, v3
	s_cbranch_execz .LBB6_646
; %bb.639:                              ;   in Loop: Header=BB6_128 Depth=2
	v_bfe_u32 v4, v3, 23, 8
	v_and_b32_e32 v3, 0x7fffff, v3
	s_mov_b32 s44, exec_lo
	s_delay_alu instid0(VALU_DEP_2) | instskip(NEXT) | instid1(VALU_DEP_2)
	v_cmp_gt_u32_e32 vcc_lo, 0x7a, v4
	v_or_b32_e32 v8, 0x800000, v3
	v_sub_nc_u32_e32 v5, 0x79, v4
	s_delay_alu instid0(VALU_DEP_1) | instskip(SKIP_1) | instid1(VALU_DEP_2)
	v_cndmask_b32_e32 v5, 0, v5, vcc_lo
	v_cmp_eq_u32_e32 vcc_lo, 0, v4
	v_cndmask_b32_e64 v5, v5, 0x78, vcc_lo
	s_delay_alu instid0(VALU_DEP_1) | instskip(SKIP_1) | instid1(VALU_DEP_2)
	v_dual_cndmask_b32 v54, v8, v3, vcc_lo :: v_dual_add_nc_u32 v6, 20, v5
	v_add_nc_u32_e32 v9, 19, v5
	v_lshrrev_b64 v[14:15], v5, v[54:55]
	s_delay_alu instid0(VALU_DEP_3) | instskip(NEXT) | instid1(VALU_DEP_3)
	v_lshlrev_b64_e64 v[6:7], v6, -1
	v_lshlrev_b64_e64 v[8:9], v9, 1
	s_delay_alu instid0(VALU_DEP_3) | instskip(NEXT) | instid1(VALU_DEP_3)
	v_mov_b64_e32 v[16:17], v[14:15]
	v_bfi_b32 v7, v7, 0, 0
	s_delay_alu instid0(VALU_DEP_4) | instskip(NEXT) | instid1(VALU_DEP_1)
	v_bfi_b32 v6, v6, 0, v54
	v_cmpx_eq_u64_e64 v[6:7], v[8:9]
; %bb.640:                              ;   in Loop: Header=BB6_128 Depth=2
	v_bfe_u32 v54, v14, 20, 1
	s_delay_alu instid0(VALU_DEP_1) | instskip(NEXT) | instid1(VALU_DEP_1)
	v_add_nc_u64_e32 v[6:7], v[14:15], v[54:55]
	v_add_nc_u64_e32 v[16:17], -1, v[6:7]
; %bb.641:                              ;   in Loop: Header=BB6_128 Depth=2
	s_or_b32 exec_lo, exec_lo, s44
	v_add_nc_u32_e32 v3, 0xffffff81, v4
	v_lshrrev_b32_e32 v4, 23, v14
	s_mov_b32 s10, exec_lo
	s_delay_alu instid0(VALU_DEP_2) | instskip(NEXT) | instid1(VALU_DEP_1)
	v_cndmask_b32_e64 v3, v3, 0xffffff82, vcc_lo
	v_add3_u32 v4, v5, v3, v4
	v_and_b32_e32 v3, 0xfffff, v16
	s_delay_alu instid0(VALU_DEP_1) | instskip(NEXT) | instid1(VALU_DEP_1)
	v_dual_add_nc_u32 v5, 6, v4 :: v_dual_add_nc_u32 v54, v3, v14
                                        ; implicit-def: $vgpr14_vgpr15
                                        ; implicit-def: $vgpr3
	v_cmpx_ne_u32_e32 0, v5
	s_xor_b32 s10, exec_lo, s10
; %bb.642:                              ;   in Loop: Header=BB6_128 Depth=2
	s_delay_alu instid0(VALU_DEP_2) | instskip(SKIP_2) | instid1(VALU_DEP_2)
	v_cmp_lt_u64_e32 vcc_lo, 0xffffff, v[54:55]
	v_add_nc_u32_e32 v3, 7, v4
	v_cndmask_b32_e64 v4, 0, 1, vcc_lo
	v_cndmask_b32_e32 v3, v5, v3, vcc_lo
	s_delay_alu instid0(VALU_DEP_2)
	v_lshrrev_b64 v[14:15], v4, v[54:55]
; %bb.643:                              ;   in Loop: Header=BB6_128 Depth=2
	s_and_not1_saveexec_b32 s10, s10
; %bb.644:                              ;   in Loop: Header=BB6_128 Depth=2
	v_mov_b64_e32 v[14:15], v[54:55]
	v_bfe_u32 v3, v54, 23, 1
; %bb.645:                              ;   in Loop: Header=BB6_128 Depth=2
	s_or_b32 exec_lo, exec_lo, s10
	s_delay_alu instid0(VALU_DEP_2) | instskip(NEXT) | instid1(VALU_DEP_2)
	v_lshrrev_b64 v[4:5], 20, v[14:15]
	v_cmp_gt_i32_e32 vcc_lo, 16, v3
	v_min_i32_e32 v6, 15, v3
	v_cmp_eq_u32_e64 s10, 0, v3
	s_delay_alu instid0(VALU_DEP_2) | instskip(SKIP_1) | instid1(VALU_DEP_2)
	v_dual_cndmask_b32 v5, 0, v5 :: v_dual_lshlrev_b32 v6, 3, v6
	v_cndmask_b32_e32 v4, 7, v4, vcc_lo
	v_and_b32_e32 v6, 0xf8, v6
	s_delay_alu instid0(VALU_DEP_2) | instskip(NEXT) | instid1(VALU_DEP_2)
	v_cmp_eq_u64_e32 vcc_lo, 0, v[4:5]
	v_and_or_b32 v3, v4, 7, v6
	s_and_b32 s10, s10, vcc_lo
	s_delay_alu instid0(VALU_DEP_1) | instid1(SALU_CYCLE_1)
	v_cndmask_b32_e64 v3, v3, 0, s10
	s_delay_alu instid0(VALU_DEP_1)
	v_or_b32_e32 v44, v3, v2
.LBB6_646:                              ;   in Loop: Header=BB6_128 Depth=2
	s_or_b32 exec_lo, exec_lo, s43
                                        ; implicit-def: $vgpr2
.LBB6_647:                              ;   in Loop: Header=BB6_128 Depth=2
	s_and_not1_saveexec_b32 s10, s42
; %bb.648:                              ;   in Loop: Header=BB6_128 Depth=2
	v_or_b32_e32 v44, 0x7e, v2
; %bb.649:                              ;   in Loop: Header=BB6_128 Depth=2
	s_or_b32 exec_lo, exec_lo, s10
                                        ; implicit-def: $vgpr2
.LBB6_650:                              ;   in Loop: Header=BB6_128 Depth=2
	s_and_not1_saveexec_b32 s10, s41
; %bb.651:                              ;   in Loop: Header=BB6_128 Depth=2
	v_or_b32_e32 v44, 0x7f, v2
; %bb.652:                              ;   in Loop: Header=BB6_128 Depth=2
	s_or_b32 exec_lo, exec_lo, s10
	v_dual_mov_b32 v3, 0 :: v_dual_lshrrev_b32 v2, 16, v11
	s_mov_b32 s10, exec_lo
	s_delay_alu instid0(VALU_DEP_1) | instskip(NEXT) | instid1(VALU_DEP_1)
	v_and_b32_e32 v4, 0xff, v2
	v_cmpx_ne_u16_e32 0, v4
	s_cbranch_execz .LBB6_660
; %bb.653:                              ;   in Loop: Header=BB6_128 Depth=2
	v_bfrev_b32_e32 v3, 1
	s_mov_b32 s41, exec_lo
	v_cmpx_ne_u16_e32 0x80, v4
	s_cbranch_execz .LBB6_659
; %bb.654:                              ;   in Loop: Header=BB6_128 Depth=2
	v_bfe_u32 v4, v11, 16, 7
	v_mov_b32_e32 v3, 0x7f800001
	s_mov_b32 s42, exec_lo
	s_delay_alu instid0(VALU_DEP_2)
	v_cmpx_ne_u32_e32 0x7f, v4
	s_cbranch_execz .LBB6_658
; %bb.655:                              ;   in Loop: Header=BB6_128 Depth=2
	v_dual_lshrrev_b32 v3, 3, v4 :: v_dual_bitop2_b32 v54, 7, v2 bitop3:0x40
	s_mov_b32 s43, exec_lo
	v_cmpx_gt_u32_e32 8, v4
; %bb.656:                              ;   in Loop: Header=BB6_128 Depth=2
	s_delay_alu instid0(VALU_DEP_2) | instskip(NEXT) | instid1(VALU_DEP_1)
	v_clz_i32_u32_e32 v3, v54
	v_min_u32_e32 v3, 32, v3
	s_delay_alu instid0(VALU_DEP_1) | instskip(NEXT) | instid1(VALU_DEP_1)
	v_subrev_nc_u32_e32 v4, 28, v3
	v_lshlrev_b64_e32 v[4:5], v4, v[54:55]
	s_delay_alu instid0(VALU_DEP_1)
	v_dual_sub_nc_u32 v3, 29, v3 :: v_dual_bitop2_b32 v54, 7, v4 bitop3:0x40
; %bb.657:                              ;   in Loop: Header=BB6_128 Depth=2
	s_or_b32 exec_lo, exec_lo, s43
	v_lshlrev_b32_e32 v2, 24, v2
	s_delay_alu instid0(VALU_DEP_2) | instskip(NEXT) | instid1(VALU_DEP_3)
	v_lshlrev_b32_e32 v4, 20, v54
	v_lshl_add_u32 v3, v3, 23, 0x3c000000
	s_delay_alu instid0(VALU_DEP_3) | instskip(NEXT) | instid1(VALU_DEP_1)
	v_and_b32_e32 v2, 0x80000000, v2
	v_or3_b32 v3, v4, v2, v3
.LBB6_658:                              ;   in Loop: Header=BB6_128 Depth=2
	s_or_b32 exec_lo, exec_lo, s42
.LBB6_659:                              ;   in Loop: Header=BB6_128 Depth=2
	s_delay_alu instid0(SALU_CYCLE_1)
	s_or_b32 exec_lo, exec_lo, s41
.LBB6_660:                              ;   in Loop: Header=BB6_128 Depth=2
	s_delay_alu instid0(SALU_CYCLE_1) | instskip(NEXT) | instid1(VALU_DEP_1)
	s_or_b32 exec_lo, exec_lo, s10
	v_mul_f32_e32 v3, s40, v3
                                        ; implicit-def: $vgpr43
	s_mov_b32 s10, exec_lo
	s_delay_alu instid0(VALU_DEP_1) | instskip(SKIP_1) | instid1(VALU_DEP_2)
	v_and_b32_e32 v54, 0x7f800000, v3
	v_lshrrev_b32_e32 v2, 24, v3
	v_cmpx_ne_u64_e32 0x7f800000, v[54:55]
	s_xor_b32 s41, exec_lo, s10
	s_cbranch_execz .LBB6_674
; %bb.661:                              ;   in Loop: Header=BB6_128 Depth=2
	v_and_b32_e32 v54, 0x7fffffff, v3
	v_and_b32_e32 v2, 0x80, v2
                                        ; implicit-def: $vgpr43
	s_mov_b32 s10, exec_lo
	s_delay_alu instid0(VALU_DEP_2)
	v_cmpx_gt_u64_e32 0x43e00001, v[54:55]
	s_xor_b32 s42, exec_lo, s10
	s_cbranch_execz .LBB6_671
; %bb.662:                              ;   in Loop: Header=BB6_128 Depth=2
	v_mov_b32_e32 v43, 0
	s_mov_b32 s43, exec_lo
	v_cmpx_ne_u32_e32 0, v3
	s_cbranch_execz .LBB6_670
; %bb.663:                              ;   in Loop: Header=BB6_128 Depth=2
	v_bfe_u32 v4, v3, 23, 8
	v_and_b32_e32 v3, 0x7fffff, v3
	s_mov_b32 s44, exec_lo
	s_delay_alu instid0(VALU_DEP_2) | instskip(NEXT) | instid1(VALU_DEP_2)
	v_cmp_gt_u32_e32 vcc_lo, 0x7a, v4
	v_or_b32_e32 v8, 0x800000, v3
	v_sub_nc_u32_e32 v5, 0x79, v4
	s_delay_alu instid0(VALU_DEP_1) | instskip(SKIP_1) | instid1(VALU_DEP_2)
	v_cndmask_b32_e32 v5, 0, v5, vcc_lo
	v_cmp_eq_u32_e32 vcc_lo, 0, v4
	v_cndmask_b32_e64 v5, v5, 0x78, vcc_lo
	s_delay_alu instid0(VALU_DEP_1) | instskip(SKIP_1) | instid1(VALU_DEP_2)
	v_dual_cndmask_b32 v54, v8, v3, vcc_lo :: v_dual_add_nc_u32 v6, 20, v5
	v_add_nc_u32_e32 v9, 19, v5
	v_lshrrev_b64 v[14:15], v5, v[54:55]
	s_delay_alu instid0(VALU_DEP_3) | instskip(NEXT) | instid1(VALU_DEP_3)
	v_lshlrev_b64_e64 v[6:7], v6, -1
	v_lshlrev_b64_e64 v[8:9], v9, 1
	s_delay_alu instid0(VALU_DEP_3) | instskip(NEXT) | instid1(VALU_DEP_3)
	v_mov_b64_e32 v[16:17], v[14:15]
	v_bfi_b32 v7, v7, 0, 0
	s_delay_alu instid0(VALU_DEP_4) | instskip(NEXT) | instid1(VALU_DEP_1)
	v_bfi_b32 v6, v6, 0, v54
	v_cmpx_eq_u64_e64 v[6:7], v[8:9]
; %bb.664:                              ;   in Loop: Header=BB6_128 Depth=2
	v_bfe_u32 v54, v14, 20, 1
	s_delay_alu instid0(VALU_DEP_1) | instskip(NEXT) | instid1(VALU_DEP_1)
	v_add_nc_u64_e32 v[6:7], v[14:15], v[54:55]
	v_add_nc_u64_e32 v[16:17], -1, v[6:7]
; %bb.665:                              ;   in Loop: Header=BB6_128 Depth=2
	s_or_b32 exec_lo, exec_lo, s44
	v_add_nc_u32_e32 v3, 0xffffff81, v4
	v_lshrrev_b32_e32 v4, 23, v14
	s_mov_b32 s10, exec_lo
	s_delay_alu instid0(VALU_DEP_2) | instskip(NEXT) | instid1(VALU_DEP_1)
	v_cndmask_b32_e64 v3, v3, 0xffffff82, vcc_lo
	v_add3_u32 v4, v5, v3, v4
	v_and_b32_e32 v3, 0xfffff, v16
	s_delay_alu instid0(VALU_DEP_1) | instskip(NEXT) | instid1(VALU_DEP_1)
	v_dual_add_nc_u32 v5, 6, v4 :: v_dual_add_nc_u32 v54, v3, v14
                                        ; implicit-def: $vgpr14_vgpr15
                                        ; implicit-def: $vgpr3
	v_cmpx_ne_u32_e32 0, v5
	s_xor_b32 s10, exec_lo, s10
; %bb.666:                              ;   in Loop: Header=BB6_128 Depth=2
	s_delay_alu instid0(VALU_DEP_2) | instskip(SKIP_2) | instid1(VALU_DEP_2)
	v_cmp_lt_u64_e32 vcc_lo, 0xffffff, v[54:55]
	v_add_nc_u32_e32 v3, 7, v4
	v_cndmask_b32_e64 v4, 0, 1, vcc_lo
	v_cndmask_b32_e32 v3, v5, v3, vcc_lo
	s_delay_alu instid0(VALU_DEP_2)
	v_lshrrev_b64 v[14:15], v4, v[54:55]
; %bb.667:                              ;   in Loop: Header=BB6_128 Depth=2
	s_and_not1_saveexec_b32 s10, s10
; %bb.668:                              ;   in Loop: Header=BB6_128 Depth=2
	v_mov_b64_e32 v[14:15], v[54:55]
	v_bfe_u32 v3, v54, 23, 1
; %bb.669:                              ;   in Loop: Header=BB6_128 Depth=2
	s_or_b32 exec_lo, exec_lo, s10
	s_delay_alu instid0(VALU_DEP_2) | instskip(NEXT) | instid1(VALU_DEP_2)
	v_lshrrev_b64 v[4:5], 20, v[14:15]
	v_cmp_gt_i32_e32 vcc_lo, 16, v3
	v_min_i32_e32 v6, 15, v3
	v_cmp_eq_u32_e64 s10, 0, v3
	s_delay_alu instid0(VALU_DEP_2) | instskip(SKIP_1) | instid1(VALU_DEP_2)
	v_dual_cndmask_b32 v5, 0, v5 :: v_dual_lshlrev_b32 v6, 3, v6
	v_cndmask_b32_e32 v4, 7, v4, vcc_lo
	v_and_b32_e32 v6, 0xf8, v6
	s_delay_alu instid0(VALU_DEP_2) | instskip(NEXT) | instid1(VALU_DEP_2)
	v_cmp_eq_u64_e32 vcc_lo, 0, v[4:5]
	v_and_or_b32 v3, v4, 7, v6
	s_and_b32 s10, s10, vcc_lo
	s_delay_alu instid0(VALU_DEP_1) | instid1(SALU_CYCLE_1)
	v_cndmask_b32_e64 v3, v3, 0, s10
	s_delay_alu instid0(VALU_DEP_1)
	v_or_b32_e32 v43, v3, v2
.LBB6_670:                              ;   in Loop: Header=BB6_128 Depth=2
	s_or_b32 exec_lo, exec_lo, s43
                                        ; implicit-def: $vgpr2
.LBB6_671:                              ;   in Loop: Header=BB6_128 Depth=2
	s_and_not1_saveexec_b32 s10, s42
; %bb.672:                              ;   in Loop: Header=BB6_128 Depth=2
	v_or_b32_e32 v43, 0x7e, v2
; %bb.673:                              ;   in Loop: Header=BB6_128 Depth=2
	s_or_b32 exec_lo, exec_lo, s10
                                        ; implicit-def: $vgpr2
.LBB6_674:                              ;   in Loop: Header=BB6_128 Depth=2
	s_and_not1_saveexec_b32 s10, s41
; %bb.675:                              ;   in Loop: Header=BB6_128 Depth=2
	v_or_b32_e32 v43, 0x7f, v2
; %bb.676:                              ;   in Loop: Header=BB6_128 Depth=2
	s_or_b32 exec_lo, exec_lo, s10
	v_mov_b32_e32 v3, 0
	s_mov_b32 s10, exec_lo
	v_cmpx_lt_u64_e64 s[14:15], v[10:11]
	s_cbranch_execz .LBB6_684
; %bb.677:                              ;   in Loop: Header=BB6_128 Depth=2
	v_lshrrev_b32_e32 v2, 24, v11
	v_bfrev_b32_e32 v3, 1
	s_mov_b32 s41, exec_lo
	s_delay_alu instid0(VALU_DEP_2)
	v_cmpx_ne_u32_e32 0x80, v2
	s_cbranch_execz .LBB6_683
; %bb.678:                              ;   in Loop: Header=BB6_128 Depth=2
	v_bfe_u32 v4, v11, 24, 7
	v_mov_b32_e32 v3, 0x7f800001
	s_mov_b32 s42, exec_lo
	s_delay_alu instid0(VALU_DEP_2)
	v_cmpx_ne_u32_e32 0x7f, v4
	s_cbranch_execz .LBB6_682
; %bb.679:                              ;   in Loop: Header=BB6_128 Depth=2
	v_dual_lshrrev_b32 v3, 3, v4 :: v_dual_bitop2_b32 v54, 7, v2 bitop3:0x40
	s_mov_b32 s43, exec_lo
	v_cmpx_gt_u32_e32 8, v4
; %bb.680:                              ;   in Loop: Header=BB6_128 Depth=2
	s_delay_alu instid0(VALU_DEP_2) | instskip(NEXT) | instid1(VALU_DEP_1)
	v_clz_i32_u32_e32 v3, v54
	v_min_u32_e32 v3, 32, v3
	s_delay_alu instid0(VALU_DEP_1) | instskip(NEXT) | instid1(VALU_DEP_1)
	v_subrev_nc_u32_e32 v4, 28, v3
	v_lshlrev_b64_e32 v[4:5], v4, v[54:55]
	s_delay_alu instid0(VALU_DEP_1)
	v_dual_sub_nc_u32 v3, 29, v3 :: v_dual_bitop2_b32 v54, 7, v4 bitop3:0x40
; %bb.681:                              ;   in Loop: Header=BB6_128 Depth=2
	s_or_b32 exec_lo, exec_lo, s43
	v_lshlrev_b32_e32 v2, 24, v2
	s_delay_alu instid0(VALU_DEP_2) | instskip(NEXT) | instid1(VALU_DEP_3)
	v_lshlrev_b32_e32 v4, 20, v54
	v_lshl_add_u32 v3, v3, 23, 0x3c000000
	s_delay_alu instid0(VALU_DEP_3) | instskip(NEXT) | instid1(VALU_DEP_1)
	v_and_b32_e32 v2, 0x80000000, v2
	v_or3_b32 v3, v4, v2, v3
.LBB6_682:                              ;   in Loop: Header=BB6_128 Depth=2
	s_or_b32 exec_lo, exec_lo, s42
.LBB6_683:                              ;   in Loop: Header=BB6_128 Depth=2
	s_delay_alu instid0(SALU_CYCLE_1)
	s_or_b32 exec_lo, exec_lo, s41
.LBB6_684:                              ;   in Loop: Header=BB6_128 Depth=2
	s_delay_alu instid0(SALU_CYCLE_1) | instskip(NEXT) | instid1(VALU_DEP_1)
	s_or_b32 exec_lo, exec_lo, s10
	v_mul_f32_e32 v3, s40, v3
                                        ; implicit-def: $vgpr53
	s_mov_b32 s10, exec_lo
	s_delay_alu instid0(VALU_DEP_1) | instskip(SKIP_1) | instid1(VALU_DEP_2)
	v_and_b32_e32 v54, 0x7f800000, v3
	v_lshrrev_b32_e32 v2, 24, v3
	v_cmpx_ne_u64_e32 0x7f800000, v[54:55]
	s_xor_b32 s41, exec_lo, s10
	s_cbranch_execz .LBB6_698
; %bb.685:                              ;   in Loop: Header=BB6_128 Depth=2
	v_and_b32_e32 v54, 0x7fffffff, v3
	v_and_b32_e32 v2, 0x80, v2
                                        ; implicit-def: $vgpr53
	s_mov_b32 s10, exec_lo
	s_delay_alu instid0(VALU_DEP_2)
	v_cmpx_gt_u64_e32 0x43e00001, v[54:55]
	s_xor_b32 s42, exec_lo, s10
	s_cbranch_execz .LBB6_695
; %bb.686:                              ;   in Loop: Header=BB6_128 Depth=2
	v_mov_b32_e32 v53, 0
	s_mov_b32 s43, exec_lo
	v_cmpx_ne_u32_e32 0, v3
	s_cbranch_execz .LBB6_694
; %bb.687:                              ;   in Loop: Header=BB6_128 Depth=2
	v_bfe_u32 v4, v3, 23, 8
	v_and_b32_e32 v3, 0x7fffff, v3
	s_mov_b32 s44, exec_lo
	s_delay_alu instid0(VALU_DEP_2) | instskip(NEXT) | instid1(VALU_DEP_2)
	v_cmp_gt_u32_e32 vcc_lo, 0x7a, v4
	v_or_b32_e32 v8, 0x800000, v3
	v_sub_nc_u32_e32 v5, 0x79, v4
	s_delay_alu instid0(VALU_DEP_1) | instskip(SKIP_1) | instid1(VALU_DEP_2)
	v_cndmask_b32_e32 v5, 0, v5, vcc_lo
	v_cmp_eq_u32_e32 vcc_lo, 0, v4
	v_cndmask_b32_e64 v5, v5, 0x78, vcc_lo
	s_delay_alu instid0(VALU_DEP_1) | instskip(SKIP_1) | instid1(VALU_DEP_2)
	v_dual_cndmask_b32 v54, v8, v3, vcc_lo :: v_dual_add_nc_u32 v6, 20, v5
	v_add_nc_u32_e32 v9, 19, v5
	v_lshrrev_b64 v[10:11], v5, v[54:55]
	s_delay_alu instid0(VALU_DEP_3) | instskip(NEXT) | instid1(VALU_DEP_3)
	v_lshlrev_b64_e64 v[6:7], v6, -1
	v_lshlrev_b64_e64 v[8:9], v9, 1
	s_delay_alu instid0(VALU_DEP_3) | instskip(NEXT) | instid1(VALU_DEP_3)
	v_mov_b64_e32 v[14:15], v[10:11]
	v_bfi_b32 v7, v7, 0, 0
	s_delay_alu instid0(VALU_DEP_4) | instskip(NEXT) | instid1(VALU_DEP_1)
	v_bfi_b32 v6, v6, 0, v54
	v_cmpx_eq_u64_e64 v[6:7], v[8:9]
; %bb.688:                              ;   in Loop: Header=BB6_128 Depth=2
	v_bfe_u32 v54, v10, 20, 1
	s_delay_alu instid0(VALU_DEP_1) | instskip(NEXT) | instid1(VALU_DEP_1)
	v_add_nc_u64_e32 v[6:7], v[10:11], v[54:55]
	v_add_nc_u64_e32 v[14:15], -1, v[6:7]
; %bb.689:                              ;   in Loop: Header=BB6_128 Depth=2
	s_or_b32 exec_lo, exec_lo, s44
	v_add_nc_u32_e32 v3, 0xffffff81, v4
	v_lshrrev_b32_e32 v4, 23, v10
	s_mov_b32 s10, exec_lo
	s_delay_alu instid0(VALU_DEP_2) | instskip(NEXT) | instid1(VALU_DEP_1)
	v_cndmask_b32_e64 v3, v3, 0xffffff82, vcc_lo
	v_add3_u32 v4, v5, v3, v4
	v_and_b32_e32 v3, 0xfffff, v14
	s_delay_alu instid0(VALU_DEP_1) | instskip(NEXT) | instid1(VALU_DEP_1)
	v_dual_add_nc_u32 v5, 6, v4 :: v_dual_add_nc_u32 v54, v3, v10
                                        ; implicit-def: $vgpr10_vgpr11
                                        ; implicit-def: $vgpr3
	v_cmpx_ne_u32_e32 0, v5
	s_xor_b32 s10, exec_lo, s10
; %bb.690:                              ;   in Loop: Header=BB6_128 Depth=2
	s_delay_alu instid0(VALU_DEP_2) | instskip(SKIP_2) | instid1(VALU_DEP_2)
	v_cmp_lt_u64_e32 vcc_lo, 0xffffff, v[54:55]
	v_add_nc_u32_e32 v3, 7, v4
	v_cndmask_b32_e64 v4, 0, 1, vcc_lo
	v_cndmask_b32_e32 v3, v5, v3, vcc_lo
	s_delay_alu instid0(VALU_DEP_2)
	v_lshrrev_b64 v[10:11], v4, v[54:55]
; %bb.691:                              ;   in Loop: Header=BB6_128 Depth=2
	s_and_not1_saveexec_b32 s10, s10
; %bb.692:                              ;   in Loop: Header=BB6_128 Depth=2
	v_mov_b64_e32 v[10:11], v[54:55]
	v_bfe_u32 v3, v54, 23, 1
; %bb.693:                              ;   in Loop: Header=BB6_128 Depth=2
	s_or_b32 exec_lo, exec_lo, s10
	s_delay_alu instid0(VALU_DEP_2) | instskip(NEXT) | instid1(VALU_DEP_2)
	v_lshrrev_b64 v[4:5], 20, v[10:11]
	v_cmp_gt_i32_e32 vcc_lo, 16, v3
	v_min_i32_e32 v6, 15, v3
	v_cmp_eq_u32_e64 s10, 0, v3
	s_delay_alu instid0(VALU_DEP_2) | instskip(SKIP_1) | instid1(VALU_DEP_2)
	v_dual_cndmask_b32 v5, 0, v5 :: v_dual_lshlrev_b32 v6, 3, v6
	v_cndmask_b32_e32 v4, 7, v4, vcc_lo
	v_and_b32_e32 v6, 0xf8, v6
	s_delay_alu instid0(VALU_DEP_2) | instskip(NEXT) | instid1(VALU_DEP_2)
	v_cmp_eq_u64_e32 vcc_lo, 0, v[4:5]
	v_and_or_b32 v3, v4, 7, v6
	s_and_b32 s10, s10, vcc_lo
	s_delay_alu instid0(VALU_DEP_1) | instid1(SALU_CYCLE_1)
	v_cndmask_b32_e64 v3, v3, 0, s10
	s_delay_alu instid0(VALU_DEP_1)
	v_or_b32_e32 v53, v3, v2
.LBB6_694:                              ;   in Loop: Header=BB6_128 Depth=2
	s_or_b32 exec_lo, exec_lo, s43
                                        ; implicit-def: $vgpr2
.LBB6_695:                              ;   in Loop: Header=BB6_128 Depth=2
	s_and_not1_saveexec_b32 s10, s42
; %bb.696:                              ;   in Loop: Header=BB6_128 Depth=2
	v_or_b32_e32 v53, 0x7e, v2
; %bb.697:                              ;   in Loop: Header=BB6_128 Depth=2
	s_or_b32 exec_lo, exec_lo, s10
                                        ; implicit-def: $vgpr2
.LBB6_698:                              ;   in Loop: Header=BB6_128 Depth=2
	s_and_not1_saveexec_b32 s10, s41
; %bb.699:                              ;   in Loop: Header=BB6_128 Depth=2
	v_or_b32_e32 v53, 0x7f, v2
; %bb.700:                              ;   in Loop: Header=BB6_128 Depth=2
	s_or_b32 exec_lo, exec_lo, s10
	v_and_b32_e32 v3, 0xff, v12
	v_mov_b32_e32 v2, 0
	s_mov_b32 s10, exec_lo
	s_delay_alu instid0(VALU_DEP_2)
	v_cmpx_ne_u16_e32 0, v3
	s_cbranch_execz .LBB6_706
; %bb.701:                              ;   in Loop: Header=BB6_128 Depth=2
	v_bfrev_b32_e32 v2, 1
	s_mov_b32 s41, exec_lo
	v_cmpx_ne_u16_e32 0x80, v3
	s_cbranch_execz .LBB6_705
; %bb.702:                              ;   in Loop: Header=BB6_128 Depth=2
	v_and_b32_e32 v3, 0x7f, v12
	v_mov_b32_e32 v2, 0x7f800001
	s_mov_b32 s42, exec_lo
	s_delay_alu instid0(VALU_DEP_2)
	v_cmpx_ne_u32_e32 0x7f, v3
	s_cbranch_execz .LBB6_704
; %bb.703:                              ;   in Loop: Header=BB6_128 Depth=2
	v_dual_lshrrev_b32 v4, 3, v3 :: v_dual_bitop2_b32 v2, 7, v12 bitop3:0x40
	v_cmp_gt_u32_e32 vcc_lo, 8, v3
	s_delay_alu instid0(VALU_DEP_2) | instskip(NEXT) | instid1(VALU_DEP_1)
	v_clz_i32_u32_e32 v2, v2
	v_min_u32_e32 v2, 32, v2
	s_delay_alu instid0(VALU_DEP_1) | instskip(SKIP_1) | instid1(VALU_DEP_1)
	v_subrev_nc_u32_e32 v5, 28, v2
	v_sub_nc_u32_e32 v2, 29, v2
	v_dual_cndmask_b32 v4, v4, v2, vcc_lo :: v_dual_cndmask_b32 v2, 0, v5, vcc_lo
	s_delay_alu instid0(VALU_DEP_1) | instskip(NEXT) | instid1(VALU_DEP_2)
	v_lshl_add_u32 v4, v4, 23, 0x3c000000
	v_lshlrev_b64_e32 v[2:3], v2, v[12:13]
	v_lshlrev_b32_e32 v3, 24, v12
	s_delay_alu instid0(VALU_DEP_1) | instskip(NEXT) | instid1(VALU_DEP_3)
	v_and_b32_e32 v3, 0x80000000, v3
	v_lshlrev_b32_e32 v2, 20, v2
	s_delay_alu instid0(VALU_DEP_1) | instskip(NEXT) | instid1(VALU_DEP_1)
	v_and_b32_e32 v2, 0x700000, v2
	v_or3_b32 v2, v2, v3, v4
.LBB6_704:                              ;   in Loop: Header=BB6_128 Depth=2
	s_or_b32 exec_lo, exec_lo, s42
.LBB6_705:                              ;   in Loop: Header=BB6_128 Depth=2
	s_delay_alu instid0(SALU_CYCLE_1)
	s_or_b32 exec_lo, exec_lo, s41
.LBB6_706:                              ;   in Loop: Header=BB6_128 Depth=2
	s_delay_alu instid0(SALU_CYCLE_1) | instskip(NEXT) | instid1(VALU_DEP_1)
	s_or_b32 exec_lo, exec_lo, s10
	v_mul_f32_e32 v3, s40, v2
                                        ; implicit-def: $vgpr35
	s_mov_b32 s10, exec_lo
	s_delay_alu instid0(VALU_DEP_1) | instskip(SKIP_1) | instid1(VALU_DEP_2)
	v_and_b32_e32 v54, 0x7f800000, v3
	v_lshrrev_b32_e32 v2, 24, v3
	v_cmpx_ne_u64_e32 0x7f800000, v[54:55]
	s_xor_b32 s41, exec_lo, s10
	s_cbranch_execz .LBB6_720
; %bb.707:                              ;   in Loop: Header=BB6_128 Depth=2
	v_and_b32_e32 v54, 0x7fffffff, v3
	v_and_b32_e32 v2, 0x80, v2
                                        ; implicit-def: $vgpr35
	s_mov_b32 s10, exec_lo
	s_delay_alu instid0(VALU_DEP_2)
	v_cmpx_gt_u64_e32 0x43e00001, v[54:55]
	s_xor_b32 s42, exec_lo, s10
	s_cbranch_execz .LBB6_717
; %bb.708:                              ;   in Loop: Header=BB6_128 Depth=2
	v_mov_b32_e32 v35, 0
	s_mov_b32 s43, exec_lo
	v_cmpx_ne_u32_e32 0, v3
	s_cbranch_execz .LBB6_716
; %bb.709:                              ;   in Loop: Header=BB6_128 Depth=2
	v_bfe_u32 v4, v3, 23, 8
	v_and_b32_e32 v3, 0x7fffff, v3
	s_mov_b32 s44, exec_lo
	s_delay_alu instid0(VALU_DEP_2) | instskip(NEXT) | instid1(VALU_DEP_2)
	v_cmp_gt_u32_e32 vcc_lo, 0x7a, v4
	v_or_b32_e32 v8, 0x800000, v3
	v_sub_nc_u32_e32 v5, 0x79, v4
	s_delay_alu instid0(VALU_DEP_1) | instskip(SKIP_1) | instid1(VALU_DEP_2)
	v_cndmask_b32_e32 v5, 0, v5, vcc_lo
	v_cmp_eq_u32_e32 vcc_lo, 0, v4
	v_cndmask_b32_e64 v5, v5, 0x78, vcc_lo
	s_delay_alu instid0(VALU_DEP_1) | instskip(SKIP_1) | instid1(VALU_DEP_2)
	v_dual_cndmask_b32 v54, v8, v3, vcc_lo :: v_dual_add_nc_u32 v6, 20, v5
	v_add_nc_u32_e32 v9, 19, v5
	v_lshrrev_b64 v[10:11], v5, v[54:55]
	s_delay_alu instid0(VALU_DEP_3) | instskip(NEXT) | instid1(VALU_DEP_3)
	v_lshlrev_b64_e64 v[6:7], v6, -1
	v_lshlrev_b64_e64 v[8:9], v9, 1
	s_delay_alu instid0(VALU_DEP_3) | instskip(NEXT) | instid1(VALU_DEP_3)
	v_mov_b64_e32 v[14:15], v[10:11]
	v_bfi_b32 v7, v7, 0, 0
	s_delay_alu instid0(VALU_DEP_4) | instskip(NEXT) | instid1(VALU_DEP_1)
	v_bfi_b32 v6, v6, 0, v54
	v_cmpx_eq_u64_e64 v[6:7], v[8:9]
; %bb.710:                              ;   in Loop: Header=BB6_128 Depth=2
	v_bfe_u32 v54, v10, 20, 1
	s_delay_alu instid0(VALU_DEP_1) | instskip(NEXT) | instid1(VALU_DEP_1)
	v_add_nc_u64_e32 v[6:7], v[10:11], v[54:55]
	v_add_nc_u64_e32 v[14:15], -1, v[6:7]
; %bb.711:                              ;   in Loop: Header=BB6_128 Depth=2
	s_or_b32 exec_lo, exec_lo, s44
	v_add_nc_u32_e32 v3, 0xffffff81, v4
	v_lshrrev_b32_e32 v4, 23, v10
	s_mov_b32 s10, exec_lo
	s_delay_alu instid0(VALU_DEP_2) | instskip(NEXT) | instid1(VALU_DEP_1)
	v_cndmask_b32_e64 v3, v3, 0xffffff82, vcc_lo
	v_add3_u32 v4, v5, v3, v4
	v_and_b32_e32 v3, 0xfffff, v14
	s_delay_alu instid0(VALU_DEP_1) | instskip(NEXT) | instid1(VALU_DEP_1)
	v_dual_add_nc_u32 v5, 6, v4 :: v_dual_add_nc_u32 v54, v3, v10
                                        ; implicit-def: $vgpr10_vgpr11
                                        ; implicit-def: $vgpr3
	v_cmpx_ne_u32_e32 0, v5
	s_xor_b32 s10, exec_lo, s10
; %bb.712:                              ;   in Loop: Header=BB6_128 Depth=2
	s_delay_alu instid0(VALU_DEP_2) | instskip(SKIP_2) | instid1(VALU_DEP_2)
	v_cmp_lt_u64_e32 vcc_lo, 0xffffff, v[54:55]
	v_add_nc_u32_e32 v3, 7, v4
	v_cndmask_b32_e64 v4, 0, 1, vcc_lo
	v_cndmask_b32_e32 v3, v5, v3, vcc_lo
	s_delay_alu instid0(VALU_DEP_2)
	v_lshrrev_b64 v[10:11], v4, v[54:55]
; %bb.713:                              ;   in Loop: Header=BB6_128 Depth=2
	s_and_not1_saveexec_b32 s10, s10
; %bb.714:                              ;   in Loop: Header=BB6_128 Depth=2
	v_mov_b64_e32 v[10:11], v[54:55]
	v_bfe_u32 v3, v54, 23, 1
; %bb.715:                              ;   in Loop: Header=BB6_128 Depth=2
	s_or_b32 exec_lo, exec_lo, s10
	s_delay_alu instid0(VALU_DEP_2) | instskip(NEXT) | instid1(VALU_DEP_2)
	v_lshrrev_b64 v[4:5], 20, v[10:11]
	v_cmp_gt_i32_e32 vcc_lo, 16, v3
	v_min_i32_e32 v6, 15, v3
	v_cmp_eq_u32_e64 s10, 0, v3
	s_delay_alu instid0(VALU_DEP_2) | instskip(SKIP_1) | instid1(VALU_DEP_2)
	v_dual_cndmask_b32 v5, 0, v5 :: v_dual_lshlrev_b32 v6, 3, v6
	v_cndmask_b32_e32 v4, 7, v4, vcc_lo
	v_and_b32_e32 v6, 0xf8, v6
	s_delay_alu instid0(VALU_DEP_2) | instskip(NEXT) | instid1(VALU_DEP_2)
	v_cmp_eq_u64_e32 vcc_lo, 0, v[4:5]
	v_and_or_b32 v3, v4, 7, v6
	s_and_b32 s10, s10, vcc_lo
	s_delay_alu instid0(VALU_DEP_1) | instid1(SALU_CYCLE_1)
	v_cndmask_b32_e64 v3, v3, 0, s10
	s_delay_alu instid0(VALU_DEP_1)
	v_or_b32_e32 v35, v3, v2
.LBB6_716:                              ;   in Loop: Header=BB6_128 Depth=2
	s_or_b32 exec_lo, exec_lo, s43
                                        ; implicit-def: $vgpr2
.LBB6_717:                              ;   in Loop: Header=BB6_128 Depth=2
	s_and_not1_saveexec_b32 s10, s42
; %bb.718:                              ;   in Loop: Header=BB6_128 Depth=2
	v_or_b32_e32 v35, 0x7e, v2
; %bb.719:                              ;   in Loop: Header=BB6_128 Depth=2
	s_or_b32 exec_lo, exec_lo, s10
                                        ; implicit-def: $vgpr2
.LBB6_720:                              ;   in Loop: Header=BB6_128 Depth=2
	s_and_not1_saveexec_b32 s10, s41
; %bb.721:                              ;   in Loop: Header=BB6_128 Depth=2
	v_or_b32_e32 v35, 0x7f, v2
; %bb.722:                              ;   in Loop: Header=BB6_128 Depth=2
	s_or_b32 exec_lo, exec_lo, s10
	v_lshrrev_b16 v3, 8, v12
	v_mov_b32_e32 v2, 0
	s_mov_b32 s10, exec_lo
	s_delay_alu instid0(VALU_DEP_2)
	v_cmpx_ne_u16_e32 0, v3
	s_cbranch_execz .LBB6_730
; %bb.723:                              ;   in Loop: Header=BB6_128 Depth=2
	v_bfrev_b32_e32 v2, 1
	s_mov_b32 s41, exec_lo
	v_cmpx_ne_u16_e32 0x80, v3
	s_cbranch_execz .LBB6_729
; %bb.724:                              ;   in Loop: Header=BB6_128 Depth=2
	v_and_b32_e32 v4, 0xffff, v3
	v_mov_b32_e32 v2, 0x7f800001
	s_mov_b32 s42, exec_lo
	s_delay_alu instid0(VALU_DEP_2) | instskip(NEXT) | instid1(VALU_DEP_1)
	v_and_b32_e32 v3, 0x7f, v4
	v_cmpx_ne_u32_e32 0x7f, v3
	s_cbranch_execz .LBB6_728
; %bb.725:                              ;   in Loop: Header=BB6_128 Depth=2
	v_dual_lshrrev_b32 v2, 3, v3 :: v_dual_bitop2_b32 v54, 7, v4 bitop3:0x40
	s_mov_b32 s43, exec_lo
	v_cmpx_gt_u32_e32 8, v3
; %bb.726:                              ;   in Loop: Header=BB6_128 Depth=2
	s_delay_alu instid0(VALU_DEP_2) | instskip(NEXT) | instid1(VALU_DEP_1)
	v_clz_i32_u32_e32 v2, v54
	v_min_u32_e32 v2, 32, v2
	s_delay_alu instid0(VALU_DEP_1) | instskip(NEXT) | instid1(VALU_DEP_1)
	v_subrev_nc_u32_e32 v3, 28, v2
	v_lshlrev_b64_e32 v[4:5], v3, v[54:55]
	s_delay_alu instid0(VALU_DEP_1)
	v_dual_sub_nc_u32 v2, 29, v2 :: v_dual_bitop2_b32 v54, 7, v4 bitop3:0x40
; %bb.727:                              ;   in Loop: Header=BB6_128 Depth=2
	s_or_b32 exec_lo, exec_lo, s43
	s_delay_alu instid0(VALU_DEP_1) | instskip(NEXT) | instid1(VALU_DEP_2)
	v_dual_lshlrev_b32 v3, 16, v12 :: v_dual_lshlrev_b32 v4, 20, v54
	v_lshl_add_u32 v2, v2, 23, 0x3c000000
	s_delay_alu instid0(VALU_DEP_2) | instskip(NEXT) | instid1(VALU_DEP_1)
	v_and_b32_e32 v3, 0x80000000, v3
	v_or3_b32 v2, v4, v3, v2
.LBB6_728:                              ;   in Loop: Header=BB6_128 Depth=2
	s_or_b32 exec_lo, exec_lo, s42
.LBB6_729:                              ;   in Loop: Header=BB6_128 Depth=2
	s_delay_alu instid0(SALU_CYCLE_1)
	s_or_b32 exec_lo, exec_lo, s41
.LBB6_730:                              ;   in Loop: Header=BB6_128 Depth=2
	s_delay_alu instid0(SALU_CYCLE_1) | instskip(NEXT) | instid1(VALU_DEP_1)
	s_or_b32 exec_lo, exec_lo, s10
	v_mul_f32_e32 v3, s40, v2
                                        ; implicit-def: $vgpr126
	s_mov_b32 s10, exec_lo
	s_delay_alu instid0(VALU_DEP_1) | instskip(SKIP_1) | instid1(VALU_DEP_2)
	v_and_b32_e32 v54, 0x7f800000, v3
	v_lshrrev_b32_e32 v2, 24, v3
	v_cmpx_ne_u64_e32 0x7f800000, v[54:55]
	s_xor_b32 s41, exec_lo, s10
	s_cbranch_execz .LBB6_744
; %bb.731:                              ;   in Loop: Header=BB6_128 Depth=2
	v_and_b32_e32 v54, 0x7fffffff, v3
	v_and_b32_e32 v2, 0x80, v2
                                        ; implicit-def: $vgpr126
	s_mov_b32 s10, exec_lo
	s_delay_alu instid0(VALU_DEP_2)
	v_cmpx_gt_u64_e32 0x43e00001, v[54:55]
	s_xor_b32 s42, exec_lo, s10
	s_cbranch_execz .LBB6_741
; %bb.732:                              ;   in Loop: Header=BB6_128 Depth=2
	v_mov_b32_e32 v126, 0
	s_mov_b32 s43, exec_lo
	v_cmpx_ne_u32_e32 0, v3
	s_cbranch_execz .LBB6_740
; %bb.733:                              ;   in Loop: Header=BB6_128 Depth=2
	v_bfe_u32 v4, v3, 23, 8
	v_and_b32_e32 v3, 0x7fffff, v3
	s_mov_b32 s44, exec_lo
	s_delay_alu instid0(VALU_DEP_2) | instskip(NEXT) | instid1(VALU_DEP_2)
	v_cmp_gt_u32_e32 vcc_lo, 0x7a, v4
	v_or_b32_e32 v8, 0x800000, v3
	v_sub_nc_u32_e32 v5, 0x79, v4
	s_delay_alu instid0(VALU_DEP_1) | instskip(SKIP_1) | instid1(VALU_DEP_2)
	v_cndmask_b32_e32 v5, 0, v5, vcc_lo
	v_cmp_eq_u32_e32 vcc_lo, 0, v4
	v_cndmask_b32_e64 v5, v5, 0x78, vcc_lo
	s_delay_alu instid0(VALU_DEP_1) | instskip(SKIP_1) | instid1(VALU_DEP_2)
	v_dual_cndmask_b32 v54, v8, v3, vcc_lo :: v_dual_add_nc_u32 v6, 20, v5
	v_add_nc_u32_e32 v9, 19, v5
	v_lshrrev_b64 v[10:11], v5, v[54:55]
	s_delay_alu instid0(VALU_DEP_3) | instskip(NEXT) | instid1(VALU_DEP_3)
	v_lshlrev_b64_e64 v[6:7], v6, -1
	v_lshlrev_b64_e64 v[8:9], v9, 1
	s_delay_alu instid0(VALU_DEP_3) | instskip(NEXT) | instid1(VALU_DEP_3)
	v_mov_b64_e32 v[14:15], v[10:11]
	v_bfi_b32 v7, v7, 0, 0
	s_delay_alu instid0(VALU_DEP_4) | instskip(NEXT) | instid1(VALU_DEP_1)
	v_bfi_b32 v6, v6, 0, v54
	v_cmpx_eq_u64_e64 v[6:7], v[8:9]
; %bb.734:                              ;   in Loop: Header=BB6_128 Depth=2
	v_bfe_u32 v54, v10, 20, 1
	s_delay_alu instid0(VALU_DEP_1) | instskip(NEXT) | instid1(VALU_DEP_1)
	v_add_nc_u64_e32 v[6:7], v[10:11], v[54:55]
	v_add_nc_u64_e32 v[14:15], -1, v[6:7]
; %bb.735:                              ;   in Loop: Header=BB6_128 Depth=2
	s_or_b32 exec_lo, exec_lo, s44
	v_add_nc_u32_e32 v3, 0xffffff81, v4
	v_lshrrev_b32_e32 v4, 23, v10
	s_mov_b32 s10, exec_lo
	s_delay_alu instid0(VALU_DEP_2) | instskip(NEXT) | instid1(VALU_DEP_1)
	v_cndmask_b32_e64 v3, v3, 0xffffff82, vcc_lo
	v_add3_u32 v4, v5, v3, v4
	v_and_b32_e32 v3, 0xfffff, v14
	s_delay_alu instid0(VALU_DEP_1) | instskip(NEXT) | instid1(VALU_DEP_1)
	v_dual_add_nc_u32 v5, 6, v4 :: v_dual_add_nc_u32 v54, v3, v10
                                        ; implicit-def: $vgpr10_vgpr11
                                        ; implicit-def: $vgpr3
	v_cmpx_ne_u32_e32 0, v5
	s_xor_b32 s10, exec_lo, s10
; %bb.736:                              ;   in Loop: Header=BB6_128 Depth=2
	s_delay_alu instid0(VALU_DEP_2) | instskip(SKIP_2) | instid1(VALU_DEP_2)
	v_cmp_lt_u64_e32 vcc_lo, 0xffffff, v[54:55]
	v_add_nc_u32_e32 v3, 7, v4
	v_cndmask_b32_e64 v4, 0, 1, vcc_lo
	v_cndmask_b32_e32 v3, v5, v3, vcc_lo
	s_delay_alu instid0(VALU_DEP_2)
	v_lshrrev_b64 v[10:11], v4, v[54:55]
; %bb.737:                              ;   in Loop: Header=BB6_128 Depth=2
	s_and_not1_saveexec_b32 s10, s10
; %bb.738:                              ;   in Loop: Header=BB6_128 Depth=2
	v_mov_b64_e32 v[10:11], v[54:55]
	v_bfe_u32 v3, v54, 23, 1
; %bb.739:                              ;   in Loop: Header=BB6_128 Depth=2
	s_or_b32 exec_lo, exec_lo, s10
	s_delay_alu instid0(VALU_DEP_2) | instskip(NEXT) | instid1(VALU_DEP_2)
	v_lshrrev_b64 v[4:5], 20, v[10:11]
	v_cmp_gt_i32_e32 vcc_lo, 16, v3
	v_min_i32_e32 v6, 15, v3
	v_cmp_eq_u32_e64 s10, 0, v3
	s_delay_alu instid0(VALU_DEP_2) | instskip(SKIP_1) | instid1(VALU_DEP_2)
	v_dual_cndmask_b32 v5, 0, v5 :: v_dual_lshlrev_b32 v6, 3, v6
	v_cndmask_b32_e32 v4, 7, v4, vcc_lo
	v_and_b32_e32 v6, 0xf8, v6
	s_delay_alu instid0(VALU_DEP_2) | instskip(NEXT) | instid1(VALU_DEP_2)
	v_cmp_eq_u64_e32 vcc_lo, 0, v[4:5]
	v_and_or_b32 v3, v4, 7, v6
	s_and_b32 s10, s10, vcc_lo
	s_delay_alu instid0(VALU_DEP_1) | instid1(SALU_CYCLE_1)
	v_cndmask_b32_e64 v3, v3, 0, s10
	s_delay_alu instid0(VALU_DEP_1)
	v_or_b32_e32 v126, v3, v2
.LBB6_740:                              ;   in Loop: Header=BB6_128 Depth=2
	s_or_b32 exec_lo, exec_lo, s43
                                        ; implicit-def: $vgpr2
.LBB6_741:                              ;   in Loop: Header=BB6_128 Depth=2
	s_and_not1_saveexec_b32 s10, s42
; %bb.742:                              ;   in Loop: Header=BB6_128 Depth=2
	v_or_b32_e32 v126, 0x7e, v2
; %bb.743:                              ;   in Loop: Header=BB6_128 Depth=2
	s_or_b32 exec_lo, exec_lo, s10
                                        ; implicit-def: $vgpr2
.LBB6_744:                              ;   in Loop: Header=BB6_128 Depth=2
	s_and_not1_saveexec_b32 s10, s41
; %bb.745:                              ;   in Loop: Header=BB6_128 Depth=2
	v_or_b32_e32 v126, 0x7f, v2
; %bb.746:                              ;   in Loop: Header=BB6_128 Depth=2
	s_or_b32 exec_lo, exec_lo, s10
	v_dual_mov_b32 v3, 0 :: v_dual_lshrrev_b32 v2, 16, v12
	s_mov_b32 s10, exec_lo
	s_delay_alu instid0(VALU_DEP_1) | instskip(NEXT) | instid1(VALU_DEP_1)
	v_and_b32_e32 v4, 0xff, v2
	v_cmpx_ne_u16_e32 0, v4
	s_cbranch_execz .LBB6_754
; %bb.747:                              ;   in Loop: Header=BB6_128 Depth=2
	v_bfrev_b32_e32 v3, 1
	s_mov_b32 s41, exec_lo
	v_cmpx_ne_u16_e32 0x80, v4
	s_cbranch_execz .LBB6_753
; %bb.748:                              ;   in Loop: Header=BB6_128 Depth=2
	v_bfe_u32 v4, v12, 16, 7
	v_mov_b32_e32 v3, 0x7f800001
	s_mov_b32 s42, exec_lo
	s_delay_alu instid0(VALU_DEP_2)
	v_cmpx_ne_u32_e32 0x7f, v4
	s_cbranch_execz .LBB6_752
; %bb.749:                              ;   in Loop: Header=BB6_128 Depth=2
	v_dual_lshrrev_b32 v3, 3, v4 :: v_dual_bitop2_b32 v54, 7, v2 bitop3:0x40
	s_mov_b32 s43, exec_lo
	v_cmpx_gt_u32_e32 8, v4
; %bb.750:                              ;   in Loop: Header=BB6_128 Depth=2
	s_delay_alu instid0(VALU_DEP_2) | instskip(NEXT) | instid1(VALU_DEP_1)
	v_clz_i32_u32_e32 v3, v54
	v_min_u32_e32 v3, 32, v3
	s_delay_alu instid0(VALU_DEP_1) | instskip(NEXT) | instid1(VALU_DEP_1)
	v_subrev_nc_u32_e32 v4, 28, v3
	v_lshlrev_b64_e32 v[4:5], v4, v[54:55]
	s_delay_alu instid0(VALU_DEP_1)
	v_dual_sub_nc_u32 v3, 29, v3 :: v_dual_bitop2_b32 v54, 7, v4 bitop3:0x40
; %bb.751:                              ;   in Loop: Header=BB6_128 Depth=2
	s_or_b32 exec_lo, exec_lo, s43
	v_lshlrev_b32_e32 v2, 24, v2
	s_delay_alu instid0(VALU_DEP_2) | instskip(NEXT) | instid1(VALU_DEP_3)
	v_lshlrev_b32_e32 v4, 20, v54
	v_lshl_add_u32 v3, v3, 23, 0x3c000000
	s_delay_alu instid0(VALU_DEP_3) | instskip(NEXT) | instid1(VALU_DEP_1)
	v_and_b32_e32 v2, 0x80000000, v2
	v_or3_b32 v3, v4, v2, v3
.LBB6_752:                              ;   in Loop: Header=BB6_128 Depth=2
	s_or_b32 exec_lo, exec_lo, s42
.LBB6_753:                              ;   in Loop: Header=BB6_128 Depth=2
	s_delay_alu instid0(SALU_CYCLE_1)
	s_or_b32 exec_lo, exec_lo, s41
.LBB6_754:                              ;   in Loop: Header=BB6_128 Depth=2
	s_delay_alu instid0(SALU_CYCLE_1) | instskip(NEXT) | instid1(VALU_DEP_1)
	s_or_b32 exec_lo, exec_lo, s10
	v_mul_f32_e32 v3, s40, v3
                                        ; implicit-def: $vgpr41
	s_mov_b32 s10, exec_lo
	s_delay_alu instid0(VALU_DEP_1) | instskip(SKIP_1) | instid1(VALU_DEP_2)
	v_and_b32_e32 v54, 0x7f800000, v3
	v_lshrrev_b32_e32 v2, 24, v3
	v_cmpx_ne_u64_e32 0x7f800000, v[54:55]
	s_xor_b32 s41, exec_lo, s10
	s_cbranch_execz .LBB6_768
; %bb.755:                              ;   in Loop: Header=BB6_128 Depth=2
	v_and_b32_e32 v54, 0x7fffffff, v3
	v_and_b32_e32 v2, 0x80, v2
                                        ; implicit-def: $vgpr41
	s_mov_b32 s10, exec_lo
	s_delay_alu instid0(VALU_DEP_2)
	v_cmpx_gt_u64_e32 0x43e00001, v[54:55]
	s_xor_b32 s42, exec_lo, s10
	s_cbranch_execz .LBB6_765
; %bb.756:                              ;   in Loop: Header=BB6_128 Depth=2
	v_mov_b32_e32 v41, 0
	s_mov_b32 s43, exec_lo
	v_cmpx_ne_u32_e32 0, v3
	s_cbranch_execz .LBB6_764
; %bb.757:                              ;   in Loop: Header=BB6_128 Depth=2
	v_bfe_u32 v4, v3, 23, 8
	v_and_b32_e32 v3, 0x7fffff, v3
	s_mov_b32 s44, exec_lo
	s_delay_alu instid0(VALU_DEP_2) | instskip(NEXT) | instid1(VALU_DEP_2)
	v_cmp_gt_u32_e32 vcc_lo, 0x7a, v4
	v_or_b32_e32 v8, 0x800000, v3
	v_sub_nc_u32_e32 v5, 0x79, v4
	s_delay_alu instid0(VALU_DEP_1) | instskip(SKIP_1) | instid1(VALU_DEP_2)
	v_cndmask_b32_e32 v5, 0, v5, vcc_lo
	v_cmp_eq_u32_e32 vcc_lo, 0, v4
	v_cndmask_b32_e64 v5, v5, 0x78, vcc_lo
	s_delay_alu instid0(VALU_DEP_1) | instskip(SKIP_1) | instid1(VALU_DEP_2)
	v_dual_cndmask_b32 v54, v8, v3, vcc_lo :: v_dual_add_nc_u32 v6, 20, v5
	v_add_nc_u32_e32 v9, 19, v5
	v_lshrrev_b64 v[10:11], v5, v[54:55]
	s_delay_alu instid0(VALU_DEP_3) | instskip(NEXT) | instid1(VALU_DEP_3)
	v_lshlrev_b64_e64 v[6:7], v6, -1
	v_lshlrev_b64_e64 v[8:9], v9, 1
	s_delay_alu instid0(VALU_DEP_3) | instskip(NEXT) | instid1(VALU_DEP_3)
	v_mov_b64_e32 v[14:15], v[10:11]
	v_bfi_b32 v7, v7, 0, 0
	s_delay_alu instid0(VALU_DEP_4) | instskip(NEXT) | instid1(VALU_DEP_1)
	v_bfi_b32 v6, v6, 0, v54
	v_cmpx_eq_u64_e64 v[6:7], v[8:9]
; %bb.758:                              ;   in Loop: Header=BB6_128 Depth=2
	v_bfe_u32 v54, v10, 20, 1
	s_delay_alu instid0(VALU_DEP_1) | instskip(NEXT) | instid1(VALU_DEP_1)
	v_add_nc_u64_e32 v[6:7], v[10:11], v[54:55]
	v_add_nc_u64_e32 v[14:15], -1, v[6:7]
; %bb.759:                              ;   in Loop: Header=BB6_128 Depth=2
	s_or_b32 exec_lo, exec_lo, s44
	v_add_nc_u32_e32 v3, 0xffffff81, v4
	v_lshrrev_b32_e32 v4, 23, v10
	s_mov_b32 s10, exec_lo
	s_delay_alu instid0(VALU_DEP_2) | instskip(NEXT) | instid1(VALU_DEP_1)
	v_cndmask_b32_e64 v3, v3, 0xffffff82, vcc_lo
	v_add3_u32 v4, v5, v3, v4
	v_and_b32_e32 v3, 0xfffff, v14
	s_delay_alu instid0(VALU_DEP_1) | instskip(NEXT) | instid1(VALU_DEP_1)
	v_dual_add_nc_u32 v5, 6, v4 :: v_dual_add_nc_u32 v54, v3, v10
                                        ; implicit-def: $vgpr10_vgpr11
                                        ; implicit-def: $vgpr3
	v_cmpx_ne_u32_e32 0, v5
	s_xor_b32 s10, exec_lo, s10
; %bb.760:                              ;   in Loop: Header=BB6_128 Depth=2
	s_delay_alu instid0(VALU_DEP_2) | instskip(SKIP_2) | instid1(VALU_DEP_2)
	v_cmp_lt_u64_e32 vcc_lo, 0xffffff, v[54:55]
	v_add_nc_u32_e32 v3, 7, v4
	v_cndmask_b32_e64 v4, 0, 1, vcc_lo
	v_cndmask_b32_e32 v3, v5, v3, vcc_lo
	s_delay_alu instid0(VALU_DEP_2)
	v_lshrrev_b64 v[10:11], v4, v[54:55]
; %bb.761:                              ;   in Loop: Header=BB6_128 Depth=2
	s_and_not1_saveexec_b32 s10, s10
; %bb.762:                              ;   in Loop: Header=BB6_128 Depth=2
	v_mov_b64_e32 v[10:11], v[54:55]
	v_bfe_u32 v3, v54, 23, 1
; %bb.763:                              ;   in Loop: Header=BB6_128 Depth=2
	s_or_b32 exec_lo, exec_lo, s10
	s_delay_alu instid0(VALU_DEP_2) | instskip(NEXT) | instid1(VALU_DEP_2)
	v_lshrrev_b64 v[4:5], 20, v[10:11]
	v_cmp_gt_i32_e32 vcc_lo, 16, v3
	v_min_i32_e32 v6, 15, v3
	v_cmp_eq_u32_e64 s10, 0, v3
	s_delay_alu instid0(VALU_DEP_2) | instskip(SKIP_1) | instid1(VALU_DEP_2)
	v_dual_cndmask_b32 v5, 0, v5 :: v_dual_lshlrev_b32 v6, 3, v6
	v_cndmask_b32_e32 v4, 7, v4, vcc_lo
	v_and_b32_e32 v6, 0xf8, v6
	s_delay_alu instid0(VALU_DEP_2) | instskip(NEXT) | instid1(VALU_DEP_2)
	v_cmp_eq_u64_e32 vcc_lo, 0, v[4:5]
	v_and_or_b32 v3, v4, 7, v6
	s_and_b32 s10, s10, vcc_lo
	s_delay_alu instid0(VALU_DEP_1) | instid1(SALU_CYCLE_1)
	v_cndmask_b32_e64 v3, v3, 0, s10
	s_delay_alu instid0(VALU_DEP_1)
	v_or_b32_e32 v41, v3, v2
.LBB6_764:                              ;   in Loop: Header=BB6_128 Depth=2
	s_or_b32 exec_lo, exec_lo, s43
                                        ; implicit-def: $vgpr2
.LBB6_765:                              ;   in Loop: Header=BB6_128 Depth=2
	s_and_not1_saveexec_b32 s10, s42
; %bb.766:                              ;   in Loop: Header=BB6_128 Depth=2
	v_or_b32_e32 v41, 0x7e, v2
; %bb.767:                              ;   in Loop: Header=BB6_128 Depth=2
	s_or_b32 exec_lo, exec_lo, s10
                                        ; implicit-def: $vgpr2
.LBB6_768:                              ;   in Loop: Header=BB6_128 Depth=2
	s_and_not1_saveexec_b32 s10, s41
; %bb.769:                              ;   in Loop: Header=BB6_128 Depth=2
	v_or_b32_e32 v41, 0x7f, v2
; %bb.770:                              ;   in Loop: Header=BB6_128 Depth=2
	s_or_b32 exec_lo, exec_lo, s10
	v_mov_b32_e32 v3, 0
	s_mov_b32 s10, exec_lo
	v_cmpx_lt_u32_e32 0xffffff, v12
	s_cbranch_execz .LBB6_778
; %bb.771:                              ;   in Loop: Header=BB6_128 Depth=2
	v_lshrrev_b32_e32 v2, 24, v12
	v_bfrev_b32_e32 v3, 1
	s_mov_b32 s41, exec_lo
	s_delay_alu instid0(VALU_DEP_2)
	v_cmpx_ne_u32_e32 0x80, v2
	s_cbranch_execz .LBB6_777
; %bb.772:                              ;   in Loop: Header=BB6_128 Depth=2
	v_bfe_u32 v4, v12, 24, 7
	v_mov_b32_e32 v3, 0x7f800001
	s_mov_b32 s42, exec_lo
	s_delay_alu instid0(VALU_DEP_2)
	v_cmpx_ne_u32_e32 0x7f, v4
	s_cbranch_execz .LBB6_776
; %bb.773:                              ;   in Loop: Header=BB6_128 Depth=2
	v_dual_lshrrev_b32 v3, 3, v4 :: v_dual_bitop2_b32 v54, 7, v2 bitop3:0x40
	s_mov_b32 s43, exec_lo
	v_cmpx_gt_u32_e32 8, v4
; %bb.774:                              ;   in Loop: Header=BB6_128 Depth=2
	s_delay_alu instid0(VALU_DEP_2) | instskip(NEXT) | instid1(VALU_DEP_1)
	v_clz_i32_u32_e32 v3, v54
	v_min_u32_e32 v3, 32, v3
	s_delay_alu instid0(VALU_DEP_1) | instskip(NEXT) | instid1(VALU_DEP_1)
	v_subrev_nc_u32_e32 v4, 28, v3
	v_lshlrev_b64_e32 v[4:5], v4, v[54:55]
	s_delay_alu instid0(VALU_DEP_1)
	v_dual_sub_nc_u32 v3, 29, v3 :: v_dual_bitop2_b32 v54, 7, v4 bitop3:0x40
; %bb.775:                              ;   in Loop: Header=BB6_128 Depth=2
	s_or_b32 exec_lo, exec_lo, s43
	v_lshlrev_b32_e32 v2, 24, v2
	s_delay_alu instid0(VALU_DEP_2) | instskip(NEXT) | instid1(VALU_DEP_3)
	v_lshlrev_b32_e32 v4, 20, v54
	v_lshl_add_u32 v3, v3, 23, 0x3c000000
	s_delay_alu instid0(VALU_DEP_3) | instskip(NEXT) | instid1(VALU_DEP_1)
	v_and_b32_e32 v2, 0x80000000, v2
	v_or3_b32 v3, v4, v2, v3
.LBB6_776:                              ;   in Loop: Header=BB6_128 Depth=2
	s_or_b32 exec_lo, exec_lo, s42
.LBB6_777:                              ;   in Loop: Header=BB6_128 Depth=2
	s_delay_alu instid0(SALU_CYCLE_1)
	s_or_b32 exec_lo, exec_lo, s41
.LBB6_778:                              ;   in Loop: Header=BB6_128 Depth=2
	s_delay_alu instid0(SALU_CYCLE_1) | instskip(NEXT) | instid1(VALU_DEP_1)
	s_or_b32 exec_lo, exec_lo, s10
	v_mul_f32_e32 v3, s40, v3
                                        ; implicit-def: $vgpr67
	s_mov_b32 s10, exec_lo
	s_delay_alu instid0(VALU_DEP_1) | instskip(SKIP_1) | instid1(VALU_DEP_2)
	v_and_b32_e32 v54, 0x7f800000, v3
	v_lshrrev_b32_e32 v2, 24, v3
	v_cmpx_ne_u64_e32 0x7f800000, v[54:55]
	s_xor_b32 s41, exec_lo, s10
	s_cbranch_execz .LBB6_792
; %bb.779:                              ;   in Loop: Header=BB6_128 Depth=2
	v_and_b32_e32 v54, 0x7fffffff, v3
	v_and_b32_e32 v2, 0x80, v2
                                        ; implicit-def: $vgpr67
	s_mov_b32 s10, exec_lo
	s_delay_alu instid0(VALU_DEP_2)
	v_cmpx_gt_u64_e32 0x43e00001, v[54:55]
	s_xor_b32 s42, exec_lo, s10
	s_cbranch_execz .LBB6_789
; %bb.780:                              ;   in Loop: Header=BB6_128 Depth=2
	v_mov_b32_e32 v67, 0
	s_mov_b32 s43, exec_lo
	v_cmpx_ne_u32_e32 0, v3
	s_cbranch_execz .LBB6_788
; %bb.781:                              ;   in Loop: Header=BB6_128 Depth=2
	v_bfe_u32 v4, v3, 23, 8
	v_and_b32_e32 v3, 0x7fffff, v3
	s_mov_b32 s44, exec_lo
	s_delay_alu instid0(VALU_DEP_2) | instskip(NEXT) | instid1(VALU_DEP_2)
	v_cmp_gt_u32_e32 vcc_lo, 0x7a, v4
	v_or_b32_e32 v8, 0x800000, v3
	v_sub_nc_u32_e32 v5, 0x79, v4
	s_delay_alu instid0(VALU_DEP_1) | instskip(SKIP_1) | instid1(VALU_DEP_2)
	v_cndmask_b32_e32 v5, 0, v5, vcc_lo
	v_cmp_eq_u32_e32 vcc_lo, 0, v4
	v_cndmask_b32_e64 v5, v5, 0x78, vcc_lo
	s_delay_alu instid0(VALU_DEP_1) | instskip(SKIP_1) | instid1(VALU_DEP_2)
	v_dual_cndmask_b32 v54, v8, v3, vcc_lo :: v_dual_add_nc_u32 v6, 20, v5
	v_add_nc_u32_e32 v9, 19, v5
	v_lshrrev_b64 v[10:11], v5, v[54:55]
	s_delay_alu instid0(VALU_DEP_3) | instskip(NEXT) | instid1(VALU_DEP_3)
	v_lshlrev_b64_e64 v[6:7], v6, -1
	v_lshlrev_b64_e64 v[8:9], v9, 1
	s_delay_alu instid0(VALU_DEP_3) | instskip(NEXT) | instid1(VALU_DEP_3)
	v_mov_b64_e32 v[14:15], v[10:11]
	v_bfi_b32 v7, v7, 0, 0
	s_delay_alu instid0(VALU_DEP_4) | instskip(NEXT) | instid1(VALU_DEP_1)
	v_bfi_b32 v6, v6, 0, v54
	v_cmpx_eq_u64_e64 v[6:7], v[8:9]
; %bb.782:                              ;   in Loop: Header=BB6_128 Depth=2
	v_bfe_u32 v54, v10, 20, 1
	s_delay_alu instid0(VALU_DEP_1) | instskip(NEXT) | instid1(VALU_DEP_1)
	v_add_nc_u64_e32 v[6:7], v[10:11], v[54:55]
	v_add_nc_u64_e32 v[14:15], -1, v[6:7]
; %bb.783:                              ;   in Loop: Header=BB6_128 Depth=2
	s_or_b32 exec_lo, exec_lo, s44
	v_add_nc_u32_e32 v3, 0xffffff81, v4
	v_lshrrev_b32_e32 v4, 23, v10
	s_mov_b32 s10, exec_lo
	s_delay_alu instid0(VALU_DEP_2) | instskip(NEXT) | instid1(VALU_DEP_1)
	v_cndmask_b32_e64 v3, v3, 0xffffff82, vcc_lo
	v_add3_u32 v4, v5, v3, v4
	v_and_b32_e32 v3, 0xfffff, v14
	s_delay_alu instid0(VALU_DEP_1) | instskip(NEXT) | instid1(VALU_DEP_1)
	v_dual_add_nc_u32 v5, 6, v4 :: v_dual_add_nc_u32 v54, v3, v10
                                        ; implicit-def: $vgpr10_vgpr11
                                        ; implicit-def: $vgpr3
	v_cmpx_ne_u32_e32 0, v5
	s_xor_b32 s10, exec_lo, s10
; %bb.784:                              ;   in Loop: Header=BB6_128 Depth=2
	s_delay_alu instid0(VALU_DEP_2) | instskip(SKIP_2) | instid1(VALU_DEP_2)
	v_cmp_lt_u64_e32 vcc_lo, 0xffffff, v[54:55]
	v_add_nc_u32_e32 v3, 7, v4
	v_cndmask_b32_e64 v4, 0, 1, vcc_lo
	v_cndmask_b32_e32 v3, v5, v3, vcc_lo
	s_delay_alu instid0(VALU_DEP_2)
	v_lshrrev_b64 v[10:11], v4, v[54:55]
; %bb.785:                              ;   in Loop: Header=BB6_128 Depth=2
	s_and_not1_saveexec_b32 s10, s10
; %bb.786:                              ;   in Loop: Header=BB6_128 Depth=2
	v_mov_b64_e32 v[10:11], v[54:55]
	v_bfe_u32 v3, v54, 23, 1
; %bb.787:                              ;   in Loop: Header=BB6_128 Depth=2
	s_or_b32 exec_lo, exec_lo, s10
	s_delay_alu instid0(VALU_DEP_2) | instskip(NEXT) | instid1(VALU_DEP_2)
	v_lshrrev_b64 v[4:5], 20, v[10:11]
	v_cmp_gt_i32_e32 vcc_lo, 16, v3
	v_min_i32_e32 v6, 15, v3
	v_cmp_eq_u32_e64 s10, 0, v3
	s_delay_alu instid0(VALU_DEP_2) | instskip(SKIP_1) | instid1(VALU_DEP_2)
	v_dual_cndmask_b32 v5, 0, v5 :: v_dual_lshlrev_b32 v6, 3, v6
	v_cndmask_b32_e32 v4, 7, v4, vcc_lo
	v_and_b32_e32 v6, 0xf8, v6
	s_delay_alu instid0(VALU_DEP_2) | instskip(NEXT) | instid1(VALU_DEP_2)
	v_cmp_eq_u64_e32 vcc_lo, 0, v[4:5]
	v_and_or_b32 v3, v4, 7, v6
	s_and_b32 s10, s10, vcc_lo
	s_delay_alu instid0(VALU_DEP_1) | instid1(SALU_CYCLE_1)
	v_cndmask_b32_e64 v3, v3, 0, s10
	s_delay_alu instid0(VALU_DEP_1)
	v_or_b32_e32 v67, v3, v2
.LBB6_788:                              ;   in Loop: Header=BB6_128 Depth=2
	s_or_b32 exec_lo, exec_lo, s43
                                        ; implicit-def: $vgpr2
.LBB6_789:                              ;   in Loop: Header=BB6_128 Depth=2
	s_and_not1_saveexec_b32 s10, s42
; %bb.790:                              ;   in Loop: Header=BB6_128 Depth=2
	v_or_b32_e32 v67, 0x7e, v2
; %bb.791:                              ;   in Loop: Header=BB6_128 Depth=2
	s_or_b32 exec_lo, exec_lo, s10
                                        ; implicit-def: $vgpr2
.LBB6_792:                              ;   in Loop: Header=BB6_128 Depth=2
	s_and_not1_saveexec_b32 s10, s41
; %bb.793:                              ;   in Loop: Header=BB6_128 Depth=2
	v_or_b32_e32 v67, 0x7f, v2
; %bb.794:                              ;   in Loop: Header=BB6_128 Depth=2
	s_or_b32 exec_lo, exec_lo, s10
	v_and_b32_e32 v3, 0xff, v13
	v_dual_mov_b32 v54, v13 :: v_dual_mov_b32 v2, 0
	s_mov_b32 s10, exec_lo
	s_delay_alu instid0(VALU_DEP_2)
	v_cmpx_ne_u16_e32 0, v3
	s_cbranch_execz .LBB6_800
; %bb.795:                              ;   in Loop: Header=BB6_128 Depth=2
	v_bfrev_b32_e32 v2, 1
	s_mov_b32 s41, exec_lo
	v_cmpx_ne_u16_e32 0x80, v3
	s_cbranch_execz .LBB6_799
; %bb.796:                              ;   in Loop: Header=BB6_128 Depth=2
	v_and_b32_e32 v3, 0x7f, v13
	v_mov_b32_e32 v2, 0x7f800001
	s_mov_b32 s42, exec_lo
	s_delay_alu instid0(VALU_DEP_2)
	v_cmpx_ne_u32_e32 0x7f, v3
	s_cbranch_execz .LBB6_798
; %bb.797:                              ;   in Loop: Header=BB6_128 Depth=2
	v_dual_lshrrev_b32 v4, 3, v3 :: v_dual_bitop2_b32 v2, 7, v13 bitop3:0x40
	v_cmp_gt_u32_e32 vcc_lo, 8, v3
	s_delay_alu instid0(VALU_DEP_2) | instskip(NEXT) | instid1(VALU_DEP_1)
	v_clz_i32_u32_e32 v2, v2
	v_min_u32_e32 v2, 32, v2
	s_delay_alu instid0(VALU_DEP_1) | instskip(SKIP_1) | instid1(VALU_DEP_1)
	v_subrev_nc_u32_e32 v5, 28, v2
	v_sub_nc_u32_e32 v2, 29, v2
	v_dual_cndmask_b32 v4, v4, v2, vcc_lo :: v_dual_cndmask_b32 v2, 0, v5, vcc_lo
	s_delay_alu instid0(VALU_DEP_1) | instskip(NEXT) | instid1(VALU_DEP_2)
	v_lshl_add_u32 v4, v4, 23, 0x3c000000
	v_lshlrev_b64_e32 v[2:3], v2, v[54:55]
	v_lshlrev_b32_e32 v3, 24, v54
	s_delay_alu instid0(VALU_DEP_1) | instskip(NEXT) | instid1(VALU_DEP_3)
	v_and_b32_e32 v3, 0x80000000, v3
	v_lshlrev_b32_e32 v2, 20, v2
	s_delay_alu instid0(VALU_DEP_1) | instskip(NEXT) | instid1(VALU_DEP_1)
	v_and_b32_e32 v2, 0x700000, v2
	v_or3_b32 v2, v2, v3, v4
.LBB6_798:                              ;   in Loop: Header=BB6_128 Depth=2
	s_or_b32 exec_lo, exec_lo, s42
.LBB6_799:                              ;   in Loop: Header=BB6_128 Depth=2
	s_delay_alu instid0(SALU_CYCLE_1)
	s_or_b32 exec_lo, exec_lo, s41
.LBB6_800:                              ;   in Loop: Header=BB6_128 Depth=2
	s_delay_alu instid0(SALU_CYCLE_1) | instskip(NEXT) | instid1(VALU_DEP_1)
	s_or_b32 exec_lo, exec_lo, s10
	v_dual_mul_f32 v3, s40, v2 :: v_dual_mov_b32 v5, v55
                                        ; implicit-def: $vgpr120
	s_mov_b32 s10, exec_lo
	s_delay_alu instid0(VALU_DEP_1) | instskip(SKIP_1) | instid1(VALU_DEP_2)
	v_and_b32_e32 v4, 0x7f800000, v3
	v_lshrrev_b32_e32 v2, 24, v3
	v_cmpx_ne_u64_e32 0x7f800000, v[4:5]
	s_xor_b32 s41, exec_lo, s10
	s_cbranch_execz .LBB6_814
; %bb.801:                              ;   in Loop: Header=BB6_128 Depth=2
	v_and_b32_e32 v4, 0x7fffffff, v3
	v_mov_b32_e32 v5, v55
	v_and_b32_e32 v2, 0x80, v2
                                        ; implicit-def: $vgpr120
	s_mov_b32 s10, exec_lo
	s_delay_alu instid0(VALU_DEP_2)
	v_cmpx_gt_u64_e32 0x43e00001, v[4:5]
	s_xor_b32 s42, exec_lo, s10
	s_cbranch_execz .LBB6_811
; %bb.802:                              ;   in Loop: Header=BB6_128 Depth=2
	v_mov_b32_e32 v120, 0
	s_mov_b32 s43, exec_lo
	v_cmpx_ne_u32_e32 0, v3
	s_cbranch_execz .LBB6_810
; %bb.803:                              ;   in Loop: Header=BB6_128 Depth=2
	v_bfe_u32 v4, v3, 23, 8
	v_and_b32_e32 v3, 0x7fffff, v3
	v_mov_b32_e32 v9, v55
	s_delay_alu instid0(VALU_DEP_3) | instskip(NEXT) | instid1(VALU_DEP_3)
	v_cmp_gt_u32_e32 vcc_lo, 0x7a, v4
	v_or_b32_e32 v8, 0x800000, v3
	v_sub_nc_u32_e32 v5, 0x79, v4
	s_delay_alu instid0(VALU_DEP_1) | instskip(SKIP_1) | instid1(VALU_DEP_2)
	v_cndmask_b32_e32 v5, 0, v5, vcc_lo
	v_cmp_eq_u32_e32 vcc_lo, 0, v4
	v_cndmask_b32_e64 v5, v5, 0x78, vcc_lo
	s_delay_alu instid0(VALU_DEP_1) | instskip(SKIP_1) | instid1(VALU_DEP_2)
	v_dual_cndmask_b32 v8, v8, v3, vcc_lo :: v_dual_add_nc_u32 v6, 20, v5
	v_add_nc_u32_e32 v10, 19, v5
	v_lshlrev_b64_e64 v[6:7], v6, -1
	s_delay_alu instid0(VALU_DEP_2) | instskip(NEXT) | instid1(VALU_DEP_4)
	v_lshlrev_b64_e64 v[14:15], v10, 1
	v_lshrrev_b64 v[10:11], v5, v[8:9]
	s_delay_alu instid0(VALU_DEP_3) | instskip(NEXT) | instid1(VALU_DEP_4)
	v_bfi_b32 v7, v7, 0, 0
	v_bfi_b32 v6, v6, 0, v8
	s_delay_alu instid0(VALU_DEP_1) | instskip(NEXT) | instid1(VALU_DEP_4)
	v_cmp_eq_u64_e64 s10, v[6:7], v[14:15]
	v_mov_b64_e32 v[14:15], v[10:11]
	s_and_saveexec_b32 s44, s10
; %bb.804:                              ;   in Loop: Header=BB6_128 Depth=2
	v_bfe_u32 v6, v10, 20, 1
	v_mov_b32_e32 v7, v55
	s_delay_alu instid0(VALU_DEP_1) | instskip(NEXT) | instid1(VALU_DEP_1)
	v_add_nc_u64_e32 v[6:7], v[10:11], v[6:7]
	v_add_nc_u64_e32 v[14:15], -1, v[6:7]
; %bb.805:                              ;   in Loop: Header=BB6_128 Depth=2
	s_or_b32 exec_lo, exec_lo, s44
	v_add_nc_u32_e32 v3, 0xffffff81, v4
	v_lshrrev_b32_e32 v4, 23, v10
	s_mov_b32 s10, exec_lo
	v_mov_b32_e32 v11, v55
	s_delay_alu instid0(VALU_DEP_3) | instskip(NEXT) | instid1(VALU_DEP_1)
	v_cndmask_b32_e64 v3, v3, 0xffffff82, vcc_lo
	v_add3_u32 v4, v5, v3, v4
	v_and_b32_e32 v3, 0xfffff, v14
	s_delay_alu instid0(VALU_DEP_1) | instskip(NEXT) | instid1(VALU_DEP_1)
	v_dual_add_nc_u32 v5, 6, v4 :: v_dual_add_nc_u32 v10, v3, v10
                                        ; implicit-def: $vgpr3
	v_cmpx_ne_u32_e32 0, v5
	s_xor_b32 s10, exec_lo, s10
; %bb.806:                              ;   in Loop: Header=BB6_128 Depth=2
	s_delay_alu instid0(VALU_DEP_2) | instskip(SKIP_2) | instid1(VALU_DEP_2)
	v_cmp_lt_u64_e32 vcc_lo, 0xffffff, v[10:11]
	v_add_nc_u32_e32 v3, 7, v4
	v_cndmask_b32_e64 v4, 0, 1, vcc_lo
	v_cndmask_b32_e32 v3, v5, v3, vcc_lo
	s_delay_alu instid0(VALU_DEP_2)
	v_lshrrev_b64 v[10:11], v4, v[10:11]
; %bb.807:                              ;   in Loop: Header=BB6_128 Depth=2
	s_and_not1_saveexec_b32 s10, s10
; %bb.808:                              ;   in Loop: Header=BB6_128 Depth=2
	s_delay_alu instid0(VALU_DEP_1)
	v_bfe_u32 v3, v10, 23, 1
; %bb.809:                              ;   in Loop: Header=BB6_128 Depth=2
	s_or_b32 exec_lo, exec_lo, s10
	s_delay_alu instid0(VALU_DEP_2) | instskip(NEXT) | instid1(VALU_DEP_2)
	v_lshrrev_b64 v[4:5], 20, v[10:11]
	v_cmp_gt_i32_e32 vcc_lo, 16, v3
	v_min_i32_e32 v6, 15, v3
	v_cmp_eq_u32_e64 s10, 0, v3
	s_delay_alu instid0(VALU_DEP_2) | instskip(SKIP_1) | instid1(VALU_DEP_2)
	v_dual_cndmask_b32 v5, 0, v5 :: v_dual_lshlrev_b32 v6, 3, v6
	v_cndmask_b32_e32 v4, 7, v4, vcc_lo
	v_and_b32_e32 v6, 0xf8, v6
	s_delay_alu instid0(VALU_DEP_2) | instskip(NEXT) | instid1(VALU_DEP_2)
	v_cmp_eq_u64_e32 vcc_lo, 0, v[4:5]
	v_and_or_b32 v3, v4, 7, v6
	s_and_b32 s10, s10, vcc_lo
	s_delay_alu instid0(VALU_DEP_1) | instid1(SALU_CYCLE_1)
	v_cndmask_b32_e64 v3, v3, 0, s10
	s_delay_alu instid0(VALU_DEP_1)
	v_or_b32_e32 v120, v3, v2
.LBB6_810:                              ;   in Loop: Header=BB6_128 Depth=2
	s_or_b32 exec_lo, exec_lo, s43
                                        ; implicit-def: $vgpr2
.LBB6_811:                              ;   in Loop: Header=BB6_128 Depth=2
	s_and_not1_saveexec_b32 s10, s42
; %bb.812:                              ;   in Loop: Header=BB6_128 Depth=2
	v_or_b32_e32 v120, 0x7e, v2
; %bb.813:                              ;   in Loop: Header=BB6_128 Depth=2
	s_or_b32 exec_lo, exec_lo, s10
                                        ; implicit-def: $vgpr2
.LBB6_814:                              ;   in Loop: Header=BB6_128 Depth=2
	s_and_not1_saveexec_b32 s10, s41
; %bb.815:                              ;   in Loop: Header=BB6_128 Depth=2
	v_or_b32_e32 v120, 0x7f, v2
; %bb.816:                              ;   in Loop: Header=BB6_128 Depth=2
	s_or_b32 exec_lo, exec_lo, s10
	v_lshrrev_b16 v3, 8, v54
	v_mov_b32_e32 v2, 0
	s_mov_b32 s10, exec_lo
	s_delay_alu instid0(VALU_DEP_2)
	v_cmpx_ne_u16_e32 0, v3
	s_cbranch_execz .LBB6_824
; %bb.817:                              ;   in Loop: Header=BB6_128 Depth=2
	v_bfrev_b32_e32 v2, 1
	s_mov_b32 s41, exec_lo
	v_cmpx_ne_u16_e32 0x80, v3
	s_cbranch_execz .LBB6_823
; %bb.818:                              ;   in Loop: Header=BB6_128 Depth=2
	v_and_b32_e32 v4, 0xffff, v3
	v_mov_b32_e32 v2, 0x7f800001
	s_mov_b32 s42, exec_lo
	s_delay_alu instid0(VALU_DEP_2) | instskip(NEXT) | instid1(VALU_DEP_1)
	v_and_b32_e32 v3, 0x7f, v4
	v_cmpx_ne_u32_e32 0x7f, v3
	s_cbranch_execz .LBB6_822
; %bb.819:                              ;   in Loop: Header=BB6_128 Depth=2
	v_dual_mov_b32 v11, v55 :: v_dual_bitop2_b32 v10, 7, v4 bitop3:0x40
	v_lshrrev_b32_e32 v2, 3, v3
	s_mov_b32 s43, exec_lo
	v_cmpx_gt_u32_e32 8, v3
; %bb.820:                              ;   in Loop: Header=BB6_128 Depth=2
	s_delay_alu instid0(VALU_DEP_3) | instskip(NEXT) | instid1(VALU_DEP_1)
	v_clz_i32_u32_e32 v2, v10
	v_min_u32_e32 v2, 32, v2
	s_delay_alu instid0(VALU_DEP_1) | instskip(NEXT) | instid1(VALU_DEP_1)
	v_subrev_nc_u32_e32 v3, 28, v2
	v_lshlrev_b64_e32 v[4:5], v3, v[10:11]
	s_delay_alu instid0(VALU_DEP_1)
	v_dual_sub_nc_u32 v2, 29, v2 :: v_dual_bitop2_b32 v10, 7, v4 bitop3:0x40
; %bb.821:                              ;   in Loop: Header=BB6_128 Depth=2
	s_or_b32 exec_lo, exec_lo, s43
	v_lshlrev_b32_e32 v3, 16, v54
	s_delay_alu instid0(VALU_DEP_2) | instskip(NEXT) | instid1(VALU_DEP_3)
	v_lshlrev_b32_e32 v4, 20, v10
	v_lshl_add_u32 v2, v2, 23, 0x3c000000
	s_delay_alu instid0(VALU_DEP_3) | instskip(NEXT) | instid1(VALU_DEP_1)
	v_and_b32_e32 v3, 0x80000000, v3
	v_or3_b32 v2, v4, v3, v2
.LBB6_822:                              ;   in Loop: Header=BB6_128 Depth=2
	s_or_b32 exec_lo, exec_lo, s42
.LBB6_823:                              ;   in Loop: Header=BB6_128 Depth=2
	s_delay_alu instid0(SALU_CYCLE_1)
	s_or_b32 exec_lo, exec_lo, s41
.LBB6_824:                              ;   in Loop: Header=BB6_128 Depth=2
	s_delay_alu instid0(SALU_CYCLE_1) | instskip(NEXT) | instid1(VALU_DEP_1)
	s_or_b32 exec_lo, exec_lo, s10
	v_mul_f32_e32 v3, s40, v2
                                        ; implicit-def: $vgpr122
	s_mov_b32 s10, exec_lo
	s_delay_alu instid0(VALU_DEP_1) | instskip(SKIP_1) | instid1(VALU_DEP_2)
	v_and_b32_e32 v54, 0x7f800000, v3
	v_lshrrev_b32_e32 v2, 24, v3
	v_cmpx_ne_u64_e32 0x7f800000, v[54:55]
	s_xor_b32 s41, exec_lo, s10
	s_cbranch_execz .LBB6_838
; %bb.825:                              ;   in Loop: Header=BB6_128 Depth=2
	v_and_b32_e32 v54, 0x7fffffff, v3
	v_and_b32_e32 v2, 0x80, v2
                                        ; implicit-def: $vgpr122
	s_mov_b32 s10, exec_lo
	s_delay_alu instid0(VALU_DEP_2)
	v_cmpx_gt_u64_e32 0x43e00001, v[54:55]
	s_xor_b32 s42, exec_lo, s10
	s_cbranch_execz .LBB6_835
; %bb.826:                              ;   in Loop: Header=BB6_128 Depth=2
	v_mov_b32_e32 v122, 0
	s_mov_b32 s43, exec_lo
	v_cmpx_ne_u32_e32 0, v3
	s_cbranch_execz .LBB6_834
; %bb.827:                              ;   in Loop: Header=BB6_128 Depth=2
	v_bfe_u32 v4, v3, 23, 8
	v_and_b32_e32 v3, 0x7fffff, v3
	s_mov_b32 s44, exec_lo
	s_delay_alu instid0(VALU_DEP_2) | instskip(NEXT) | instid1(VALU_DEP_2)
	v_cmp_gt_u32_e32 vcc_lo, 0x7a, v4
	v_or_b32_e32 v8, 0x800000, v3
	v_sub_nc_u32_e32 v5, 0x79, v4
	s_delay_alu instid0(VALU_DEP_1) | instskip(SKIP_1) | instid1(VALU_DEP_2)
	v_cndmask_b32_e32 v5, 0, v5, vcc_lo
	v_cmp_eq_u32_e32 vcc_lo, 0, v4
	v_cndmask_b32_e64 v5, v5, 0x78, vcc_lo
	s_delay_alu instid0(VALU_DEP_1) | instskip(SKIP_1) | instid1(VALU_DEP_2)
	v_dual_cndmask_b32 v54, v8, v3, vcc_lo :: v_dual_add_nc_u32 v6, 20, v5
	v_add_nc_u32_e32 v9, 19, v5
	v_lshrrev_b64 v[10:11], v5, v[54:55]
	s_delay_alu instid0(VALU_DEP_3) | instskip(NEXT) | instid1(VALU_DEP_3)
	v_lshlrev_b64_e64 v[6:7], v6, -1
	v_lshlrev_b64_e64 v[8:9], v9, 1
	s_delay_alu instid0(VALU_DEP_3) | instskip(NEXT) | instid1(VALU_DEP_3)
	v_mov_b64_e32 v[14:15], v[10:11]
	v_bfi_b32 v7, v7, 0, 0
	s_delay_alu instid0(VALU_DEP_4) | instskip(NEXT) | instid1(VALU_DEP_1)
	v_bfi_b32 v6, v6, 0, v54
	v_cmpx_eq_u64_e64 v[6:7], v[8:9]
; %bb.828:                              ;   in Loop: Header=BB6_128 Depth=2
	v_bfe_u32 v54, v10, 20, 1
	s_delay_alu instid0(VALU_DEP_1) | instskip(NEXT) | instid1(VALU_DEP_1)
	v_add_nc_u64_e32 v[6:7], v[10:11], v[54:55]
	v_add_nc_u64_e32 v[14:15], -1, v[6:7]
; %bb.829:                              ;   in Loop: Header=BB6_128 Depth=2
	s_or_b32 exec_lo, exec_lo, s44
	v_add_nc_u32_e32 v3, 0xffffff81, v4
	v_lshrrev_b32_e32 v4, 23, v10
	s_mov_b32 s10, exec_lo
	s_delay_alu instid0(VALU_DEP_2) | instskip(NEXT) | instid1(VALU_DEP_1)
	v_cndmask_b32_e64 v3, v3, 0xffffff82, vcc_lo
	v_add3_u32 v4, v5, v3, v4
	v_and_b32_e32 v3, 0xfffff, v14
	s_delay_alu instid0(VALU_DEP_1) | instskip(NEXT) | instid1(VALU_DEP_1)
	v_dual_add_nc_u32 v5, 6, v4 :: v_dual_add_nc_u32 v54, v3, v10
                                        ; implicit-def: $vgpr10_vgpr11
                                        ; implicit-def: $vgpr3
	v_cmpx_ne_u32_e32 0, v5
	s_xor_b32 s10, exec_lo, s10
; %bb.830:                              ;   in Loop: Header=BB6_128 Depth=2
	s_delay_alu instid0(VALU_DEP_2) | instskip(SKIP_2) | instid1(VALU_DEP_2)
	v_cmp_lt_u64_e32 vcc_lo, 0xffffff, v[54:55]
	v_add_nc_u32_e32 v3, 7, v4
	v_cndmask_b32_e64 v4, 0, 1, vcc_lo
	v_cndmask_b32_e32 v3, v5, v3, vcc_lo
	s_delay_alu instid0(VALU_DEP_2)
	v_lshrrev_b64 v[10:11], v4, v[54:55]
; %bb.831:                              ;   in Loop: Header=BB6_128 Depth=2
	s_and_not1_saveexec_b32 s10, s10
; %bb.832:                              ;   in Loop: Header=BB6_128 Depth=2
	v_mov_b64_e32 v[10:11], v[54:55]
	v_bfe_u32 v3, v54, 23, 1
; %bb.833:                              ;   in Loop: Header=BB6_128 Depth=2
	s_or_b32 exec_lo, exec_lo, s10
	s_delay_alu instid0(VALU_DEP_2) | instskip(NEXT) | instid1(VALU_DEP_2)
	v_lshrrev_b64 v[4:5], 20, v[10:11]
	v_cmp_gt_i32_e32 vcc_lo, 16, v3
	v_min_i32_e32 v6, 15, v3
	v_cmp_eq_u32_e64 s10, 0, v3
	s_delay_alu instid0(VALU_DEP_2) | instskip(SKIP_1) | instid1(VALU_DEP_2)
	v_dual_cndmask_b32 v5, 0, v5 :: v_dual_lshlrev_b32 v6, 3, v6
	v_cndmask_b32_e32 v4, 7, v4, vcc_lo
	v_and_b32_e32 v6, 0xf8, v6
	s_delay_alu instid0(VALU_DEP_2) | instskip(NEXT) | instid1(VALU_DEP_2)
	v_cmp_eq_u64_e32 vcc_lo, 0, v[4:5]
	v_and_or_b32 v3, v4, 7, v6
	s_and_b32 s10, s10, vcc_lo
	s_delay_alu instid0(VALU_DEP_1) | instid1(SALU_CYCLE_1)
	v_cndmask_b32_e64 v3, v3, 0, s10
	s_delay_alu instid0(VALU_DEP_1)
	v_or_b32_e32 v122, v3, v2
.LBB6_834:                              ;   in Loop: Header=BB6_128 Depth=2
	s_or_b32 exec_lo, exec_lo, s43
                                        ; implicit-def: $vgpr2
.LBB6_835:                              ;   in Loop: Header=BB6_128 Depth=2
	s_and_not1_saveexec_b32 s10, s42
; %bb.836:                              ;   in Loop: Header=BB6_128 Depth=2
	v_or_b32_e32 v122, 0x7e, v2
; %bb.837:                              ;   in Loop: Header=BB6_128 Depth=2
	s_or_b32 exec_lo, exec_lo, s10
                                        ; implicit-def: $vgpr2
.LBB6_838:                              ;   in Loop: Header=BB6_128 Depth=2
	s_and_not1_saveexec_b32 s10, s41
; %bb.839:                              ;   in Loop: Header=BB6_128 Depth=2
	v_or_b32_e32 v122, 0x7f, v2
; %bb.840:                              ;   in Loop: Header=BB6_128 Depth=2
	s_or_b32 exec_lo, exec_lo, s10
	v_dual_mov_b32 v3, 0 :: v_dual_lshrrev_b32 v2, 16, v13
	s_mov_b32 s10, exec_lo
	s_delay_alu instid0(VALU_DEP_1) | instskip(NEXT) | instid1(VALU_DEP_1)
	v_and_b32_e32 v4, 0xff, v2
	v_cmpx_ne_u16_e32 0, v4
	s_cbranch_execz .LBB6_848
; %bb.841:                              ;   in Loop: Header=BB6_128 Depth=2
	v_bfrev_b32_e32 v3, 1
	s_mov_b32 s41, exec_lo
	v_cmpx_ne_u16_e32 0x80, v4
	s_cbranch_execz .LBB6_847
; %bb.842:                              ;   in Loop: Header=BB6_128 Depth=2
	v_bfe_u32 v4, v13, 16, 7
	v_mov_b32_e32 v3, 0x7f800001
	s_mov_b32 s42, exec_lo
	s_delay_alu instid0(VALU_DEP_2)
	v_cmpx_ne_u32_e32 0x7f, v4
	s_cbranch_execz .LBB6_846
; %bb.843:                              ;   in Loop: Header=BB6_128 Depth=2
	v_dual_lshrrev_b32 v3, 3, v4 :: v_dual_bitop2_b32 v54, 7, v2 bitop3:0x40
	s_mov_b32 s43, exec_lo
	s_delay_alu instid0(VALU_DEP_1)
	v_mov_b64_e32 v[10:11], v[54:55]
	v_cmpx_gt_u32_e32 8, v4
; %bb.844:                              ;   in Loop: Header=BB6_128 Depth=2
	v_clz_i32_u32_e32 v3, v54
	s_delay_alu instid0(VALU_DEP_1) | instskip(NEXT) | instid1(VALU_DEP_1)
	v_min_u32_e32 v3, 32, v3
	v_subrev_nc_u32_e32 v4, 28, v3
	s_delay_alu instid0(VALU_DEP_1) | instskip(NEXT) | instid1(VALU_DEP_1)
	v_lshlrev_b64_e32 v[4:5], v4, v[54:55]
	v_dual_sub_nc_u32 v3, 29, v3 :: v_dual_bitop2_b32 v10, 7, v4 bitop3:0x40
; %bb.845:                              ;   in Loop: Header=BB6_128 Depth=2
	s_or_b32 exec_lo, exec_lo, s43
	v_lshlrev_b32_e32 v2, 24, v2
	s_delay_alu instid0(VALU_DEP_2) | instskip(NEXT) | instid1(VALU_DEP_3)
	v_lshlrev_b32_e32 v4, 20, v10
	v_lshl_add_u32 v3, v3, 23, 0x3c000000
	s_delay_alu instid0(VALU_DEP_3) | instskip(NEXT) | instid1(VALU_DEP_1)
	v_and_b32_e32 v2, 0x80000000, v2
	v_or3_b32 v3, v4, v2, v3
.LBB6_846:                              ;   in Loop: Header=BB6_128 Depth=2
	s_or_b32 exec_lo, exec_lo, s42
.LBB6_847:                              ;   in Loop: Header=BB6_128 Depth=2
	s_delay_alu instid0(SALU_CYCLE_1)
	s_or_b32 exec_lo, exec_lo, s41
.LBB6_848:                              ;   in Loop: Header=BB6_128 Depth=2
	s_delay_alu instid0(SALU_CYCLE_1) | instskip(NEXT) | instid1(VALU_DEP_1)
	s_or_b32 exec_lo, exec_lo, s10
	v_mul_f32_e32 v3, s40, v3
                                        ; implicit-def: $vgpr34
	s_mov_b32 s10, exec_lo
	s_delay_alu instid0(VALU_DEP_1) | instskip(SKIP_1) | instid1(VALU_DEP_2)
	v_and_b32_e32 v54, 0x7f800000, v3
	v_lshrrev_b32_e32 v2, 24, v3
	v_cmpx_ne_u64_e32 0x7f800000, v[54:55]
	s_xor_b32 s41, exec_lo, s10
	s_cbranch_execz .LBB6_862
; %bb.849:                              ;   in Loop: Header=BB6_128 Depth=2
	v_and_b32_e32 v54, 0x7fffffff, v3
	v_and_b32_e32 v2, 0x80, v2
                                        ; implicit-def: $vgpr34
	s_mov_b32 s10, exec_lo
	s_delay_alu instid0(VALU_DEP_2)
	v_cmpx_gt_u64_e32 0x43e00001, v[54:55]
	s_xor_b32 s42, exec_lo, s10
	s_cbranch_execz .LBB6_859
; %bb.850:                              ;   in Loop: Header=BB6_128 Depth=2
	v_mov_b32_e32 v34, 0
	s_mov_b32 s43, exec_lo
	v_cmpx_ne_u32_e32 0, v3
	s_cbranch_execz .LBB6_858
; %bb.851:                              ;   in Loop: Header=BB6_128 Depth=2
	v_bfe_u32 v4, v3, 23, 8
	v_and_b32_e32 v3, 0x7fffff, v3
	s_mov_b32 s44, exec_lo
	s_delay_alu instid0(VALU_DEP_2) | instskip(NEXT) | instid1(VALU_DEP_2)
	v_cmp_gt_u32_e32 vcc_lo, 0x7a, v4
	v_or_b32_e32 v8, 0x800000, v3
	v_sub_nc_u32_e32 v5, 0x79, v4
	s_delay_alu instid0(VALU_DEP_1) | instskip(SKIP_1) | instid1(VALU_DEP_2)
	v_cndmask_b32_e32 v5, 0, v5, vcc_lo
	v_cmp_eq_u32_e32 vcc_lo, 0, v4
	v_cndmask_b32_e64 v5, v5, 0x78, vcc_lo
	s_delay_alu instid0(VALU_DEP_1) | instskip(SKIP_1) | instid1(VALU_DEP_2)
	v_dual_cndmask_b32 v54, v8, v3, vcc_lo :: v_dual_add_nc_u32 v6, 20, v5
	v_add_nc_u32_e32 v9, 19, v5
	v_lshrrev_b64 v[10:11], v5, v[54:55]
	s_delay_alu instid0(VALU_DEP_3) | instskip(NEXT) | instid1(VALU_DEP_3)
	v_lshlrev_b64_e64 v[6:7], v6, -1
	v_lshlrev_b64_e64 v[8:9], v9, 1
	s_delay_alu instid0(VALU_DEP_3) | instskip(NEXT) | instid1(VALU_DEP_3)
	v_mov_b64_e32 v[14:15], v[10:11]
	v_bfi_b32 v7, v7, 0, 0
	s_delay_alu instid0(VALU_DEP_4) | instskip(NEXT) | instid1(VALU_DEP_1)
	v_bfi_b32 v6, v6, 0, v54
	v_cmpx_eq_u64_e64 v[6:7], v[8:9]
; %bb.852:                              ;   in Loop: Header=BB6_128 Depth=2
	v_bfe_u32 v54, v10, 20, 1
	s_delay_alu instid0(VALU_DEP_1) | instskip(NEXT) | instid1(VALU_DEP_1)
	v_add_nc_u64_e32 v[6:7], v[10:11], v[54:55]
	v_add_nc_u64_e32 v[14:15], -1, v[6:7]
; %bb.853:                              ;   in Loop: Header=BB6_128 Depth=2
	s_or_b32 exec_lo, exec_lo, s44
	v_add_nc_u32_e32 v3, 0xffffff81, v4
	v_lshrrev_b32_e32 v4, 23, v10
	s_mov_b32 s10, exec_lo
	s_delay_alu instid0(VALU_DEP_2) | instskip(NEXT) | instid1(VALU_DEP_1)
	v_cndmask_b32_e64 v3, v3, 0xffffff82, vcc_lo
	v_add3_u32 v4, v5, v3, v4
	v_and_b32_e32 v3, 0xfffff, v14
	s_delay_alu instid0(VALU_DEP_1) | instskip(NEXT) | instid1(VALU_DEP_1)
	v_dual_add_nc_u32 v5, 6, v4 :: v_dual_add_nc_u32 v54, v3, v10
                                        ; implicit-def: $vgpr10_vgpr11
                                        ; implicit-def: $vgpr3
	v_cmpx_ne_u32_e32 0, v5
	s_xor_b32 s10, exec_lo, s10
; %bb.854:                              ;   in Loop: Header=BB6_128 Depth=2
	s_delay_alu instid0(VALU_DEP_2) | instskip(SKIP_2) | instid1(VALU_DEP_2)
	v_cmp_lt_u64_e32 vcc_lo, 0xffffff, v[54:55]
	v_add_nc_u32_e32 v3, 7, v4
	v_cndmask_b32_e64 v4, 0, 1, vcc_lo
	v_cndmask_b32_e32 v3, v5, v3, vcc_lo
	s_delay_alu instid0(VALU_DEP_2)
	v_lshrrev_b64 v[10:11], v4, v[54:55]
; %bb.855:                              ;   in Loop: Header=BB6_128 Depth=2
	s_and_not1_saveexec_b32 s10, s10
; %bb.856:                              ;   in Loop: Header=BB6_128 Depth=2
	v_mov_b64_e32 v[10:11], v[54:55]
	v_bfe_u32 v3, v54, 23, 1
; %bb.857:                              ;   in Loop: Header=BB6_128 Depth=2
	s_or_b32 exec_lo, exec_lo, s10
	s_delay_alu instid0(VALU_DEP_2) | instskip(NEXT) | instid1(VALU_DEP_2)
	v_lshrrev_b64 v[4:5], 20, v[10:11]
	v_cmp_gt_i32_e32 vcc_lo, 16, v3
	v_min_i32_e32 v6, 15, v3
	v_cmp_eq_u32_e64 s10, 0, v3
	s_delay_alu instid0(VALU_DEP_2) | instskip(SKIP_1) | instid1(VALU_DEP_2)
	v_dual_cndmask_b32 v5, 0, v5 :: v_dual_lshlrev_b32 v6, 3, v6
	v_cndmask_b32_e32 v4, 7, v4, vcc_lo
	v_and_b32_e32 v6, 0xf8, v6
	s_delay_alu instid0(VALU_DEP_2) | instskip(NEXT) | instid1(VALU_DEP_2)
	v_cmp_eq_u64_e32 vcc_lo, 0, v[4:5]
	v_and_or_b32 v3, v4, 7, v6
	s_and_b32 s10, s10, vcc_lo
	s_delay_alu instid0(VALU_DEP_1) | instid1(SALU_CYCLE_1)
	v_cndmask_b32_e64 v3, v3, 0, s10
	s_delay_alu instid0(VALU_DEP_1)
	v_or_b32_e32 v34, v3, v2
.LBB6_858:                              ;   in Loop: Header=BB6_128 Depth=2
	s_or_b32 exec_lo, exec_lo, s43
                                        ; implicit-def: $vgpr2
.LBB6_859:                              ;   in Loop: Header=BB6_128 Depth=2
	s_and_not1_saveexec_b32 s10, s42
; %bb.860:                              ;   in Loop: Header=BB6_128 Depth=2
	v_or_b32_e32 v34, 0x7e, v2
; %bb.861:                              ;   in Loop: Header=BB6_128 Depth=2
	s_or_b32 exec_lo, exec_lo, s10
                                        ; implicit-def: $vgpr2
.LBB6_862:                              ;   in Loop: Header=BB6_128 Depth=2
	s_and_not1_saveexec_b32 s10, s41
; %bb.863:                              ;   in Loop: Header=BB6_128 Depth=2
	v_or_b32_e32 v34, 0x7f, v2
; %bb.864:                              ;   in Loop: Header=BB6_128 Depth=2
	s_or_b32 exec_lo, exec_lo, s10
	v_mov_b32_e32 v3, 0
	s_mov_b32 s10, exec_lo
	v_cmpx_lt_u64_e64 s[14:15], v[12:13]
	s_cbranch_execz .LBB6_872
; %bb.865:                              ;   in Loop: Header=BB6_128 Depth=2
	v_lshrrev_b32_e32 v2, 24, v13
	v_bfrev_b32_e32 v3, 1
	s_mov_b32 s41, exec_lo
	s_delay_alu instid0(VALU_DEP_2)
	v_cmpx_ne_u32_e32 0x80, v2
	s_cbranch_execz .LBB6_871
; %bb.866:                              ;   in Loop: Header=BB6_128 Depth=2
	v_bfe_u32 v4, v13, 24, 7
	v_mov_b32_e32 v3, 0x7f800001
	s_mov_b32 s42, exec_lo
	s_delay_alu instid0(VALU_DEP_2)
	v_cmpx_ne_u32_e32 0x7f, v4
	s_cbranch_execz .LBB6_870
; %bb.867:                              ;   in Loop: Header=BB6_128 Depth=2
	v_dual_lshrrev_b32 v3, 3, v4 :: v_dual_bitop2_b32 v54, 7, v2 bitop3:0x40
	s_mov_b32 s43, exec_lo
	s_delay_alu instid0(VALU_DEP_1)
	v_mov_b64_e32 v[10:11], v[54:55]
	v_cmpx_gt_u32_e32 8, v4
; %bb.868:                              ;   in Loop: Header=BB6_128 Depth=2
	v_clz_i32_u32_e32 v3, v54
	s_delay_alu instid0(VALU_DEP_1) | instskip(NEXT) | instid1(VALU_DEP_1)
	v_min_u32_e32 v3, 32, v3
	v_subrev_nc_u32_e32 v4, 28, v3
	s_delay_alu instid0(VALU_DEP_1) | instskip(NEXT) | instid1(VALU_DEP_1)
	v_lshlrev_b64_e32 v[4:5], v4, v[54:55]
	v_dual_sub_nc_u32 v3, 29, v3 :: v_dual_bitop2_b32 v10, 7, v4 bitop3:0x40
; %bb.869:                              ;   in Loop: Header=BB6_128 Depth=2
	s_or_b32 exec_lo, exec_lo, s43
	v_lshlrev_b32_e32 v2, 24, v2
	s_delay_alu instid0(VALU_DEP_2) | instskip(NEXT) | instid1(VALU_DEP_3)
	v_lshlrev_b32_e32 v4, 20, v10
	v_lshl_add_u32 v3, v3, 23, 0x3c000000
	s_delay_alu instid0(VALU_DEP_3) | instskip(NEXT) | instid1(VALU_DEP_1)
	v_and_b32_e32 v2, 0x80000000, v2
	v_or3_b32 v3, v4, v2, v3
.LBB6_870:                              ;   in Loop: Header=BB6_128 Depth=2
	s_or_b32 exec_lo, exec_lo, s42
.LBB6_871:                              ;   in Loop: Header=BB6_128 Depth=2
	s_delay_alu instid0(SALU_CYCLE_1)
	s_or_b32 exec_lo, exec_lo, s41
.LBB6_872:                              ;   in Loop: Header=BB6_128 Depth=2
	s_delay_alu instid0(SALU_CYCLE_1) | instskip(NEXT) | instid1(VALU_DEP_1)
	s_or_b32 exec_lo, exec_lo, s10
	v_mul_f32_e32 v3, s40, v3
                                        ; implicit-def: $vgpr125
	s_mov_b32 s10, exec_lo
	s_delay_alu instid0(VALU_DEP_1) | instskip(SKIP_1) | instid1(VALU_DEP_2)
	v_and_b32_e32 v54, 0x7f800000, v3
	v_lshrrev_b32_e32 v2, 24, v3
	v_cmpx_ne_u64_e32 0x7f800000, v[54:55]
	s_xor_b32 s41, exec_lo, s10
	s_cbranch_execz .LBB6_886
; %bb.873:                              ;   in Loop: Header=BB6_128 Depth=2
	v_and_b32_e32 v54, 0x7fffffff, v3
	v_and_b32_e32 v2, 0x80, v2
                                        ; implicit-def: $vgpr125
	s_mov_b32 s10, exec_lo
	s_delay_alu instid0(VALU_DEP_2)
	v_cmpx_gt_u64_e32 0x43e00001, v[54:55]
	s_xor_b32 s42, exec_lo, s10
	s_cbranch_execz .LBB6_883
; %bb.874:                              ;   in Loop: Header=BB6_128 Depth=2
	v_mov_b32_e32 v125, 0
	s_mov_b32 s43, exec_lo
	v_cmpx_ne_u32_e32 0, v3
	s_cbranch_execz .LBB6_882
; %bb.875:                              ;   in Loop: Header=BB6_128 Depth=2
	v_bfe_u32 v4, v3, 23, 8
	v_and_b32_e32 v3, 0x7fffff, v3
	s_mov_b32 s44, exec_lo
	s_delay_alu instid0(VALU_DEP_2) | instskip(NEXT) | instid1(VALU_DEP_2)
	v_cmp_gt_u32_e32 vcc_lo, 0x7a, v4
	v_or_b32_e32 v8, 0x800000, v3
	v_sub_nc_u32_e32 v5, 0x79, v4
	s_delay_alu instid0(VALU_DEP_1) | instskip(SKIP_1) | instid1(VALU_DEP_2)
	v_cndmask_b32_e32 v5, 0, v5, vcc_lo
	v_cmp_eq_u32_e32 vcc_lo, 0, v4
	v_cndmask_b32_e64 v5, v5, 0x78, vcc_lo
	s_delay_alu instid0(VALU_DEP_1) | instskip(SKIP_1) | instid1(VALU_DEP_2)
	v_dual_cndmask_b32 v54, v8, v3, vcc_lo :: v_dual_add_nc_u32 v6, 20, v5
	v_add_nc_u32_e32 v9, 19, v5
	v_lshrrev_b64 v[10:11], v5, v[54:55]
	s_delay_alu instid0(VALU_DEP_3) | instskip(NEXT) | instid1(VALU_DEP_3)
	v_lshlrev_b64_e64 v[6:7], v6, -1
	v_lshlrev_b64_e64 v[8:9], v9, 1
	s_delay_alu instid0(VALU_DEP_3) | instskip(NEXT) | instid1(VALU_DEP_3)
	v_mov_b64_e32 v[12:13], v[10:11]
	v_bfi_b32 v7, v7, 0, 0
	s_delay_alu instid0(VALU_DEP_4) | instskip(NEXT) | instid1(VALU_DEP_1)
	v_bfi_b32 v6, v6, 0, v54
	v_cmpx_eq_u64_e64 v[6:7], v[8:9]
; %bb.876:                              ;   in Loop: Header=BB6_128 Depth=2
	v_bfe_u32 v54, v10, 20, 1
	s_delay_alu instid0(VALU_DEP_1) | instskip(NEXT) | instid1(VALU_DEP_1)
	v_add_nc_u64_e32 v[6:7], v[10:11], v[54:55]
	v_add_nc_u64_e32 v[12:13], -1, v[6:7]
; %bb.877:                              ;   in Loop: Header=BB6_128 Depth=2
	s_or_b32 exec_lo, exec_lo, s44
	v_add_nc_u32_e32 v3, 0xffffff81, v4
	v_lshrrev_b32_e32 v4, 23, v10
	s_mov_b32 s10, exec_lo
	s_delay_alu instid0(VALU_DEP_2) | instskip(NEXT) | instid1(VALU_DEP_1)
	v_cndmask_b32_e64 v3, v3, 0xffffff82, vcc_lo
	v_add3_u32 v4, v5, v3, v4
	v_and_b32_e32 v3, 0xfffff, v12
	s_delay_alu instid0(VALU_DEP_1) | instskip(NEXT) | instid1(VALU_DEP_1)
	v_dual_add_nc_u32 v5, 6, v4 :: v_dual_add_nc_u32 v54, v3, v10
                                        ; implicit-def: $vgpr10_vgpr11
                                        ; implicit-def: $vgpr3
	v_cmpx_ne_u32_e32 0, v5
	s_xor_b32 s10, exec_lo, s10
; %bb.878:                              ;   in Loop: Header=BB6_128 Depth=2
	s_delay_alu instid0(VALU_DEP_2) | instskip(SKIP_2) | instid1(VALU_DEP_2)
	v_cmp_lt_u64_e32 vcc_lo, 0xffffff, v[54:55]
	v_add_nc_u32_e32 v3, 7, v4
	v_cndmask_b32_e64 v4, 0, 1, vcc_lo
	v_cndmask_b32_e32 v3, v5, v3, vcc_lo
	s_delay_alu instid0(VALU_DEP_2)
	v_lshrrev_b64 v[10:11], v4, v[54:55]
; %bb.879:                              ;   in Loop: Header=BB6_128 Depth=2
	s_and_not1_saveexec_b32 s10, s10
; %bb.880:                              ;   in Loop: Header=BB6_128 Depth=2
	v_mov_b64_e32 v[10:11], v[54:55]
	v_bfe_u32 v3, v54, 23, 1
; %bb.881:                              ;   in Loop: Header=BB6_128 Depth=2
	s_or_b32 exec_lo, exec_lo, s10
	s_delay_alu instid0(VALU_DEP_2) | instskip(NEXT) | instid1(VALU_DEP_2)
	v_lshrrev_b64 v[4:5], 20, v[10:11]
	v_cmp_gt_i32_e32 vcc_lo, 16, v3
	v_min_i32_e32 v6, 15, v3
	v_cmp_eq_u32_e64 s10, 0, v3
	s_delay_alu instid0(VALU_DEP_2) | instskip(SKIP_1) | instid1(VALU_DEP_2)
	v_dual_cndmask_b32 v5, 0, v5 :: v_dual_lshlrev_b32 v6, 3, v6
	v_cndmask_b32_e32 v4, 7, v4, vcc_lo
	v_and_b32_e32 v6, 0xf8, v6
	s_delay_alu instid0(VALU_DEP_2) | instskip(NEXT) | instid1(VALU_DEP_2)
	v_cmp_eq_u64_e32 vcc_lo, 0, v[4:5]
	v_and_or_b32 v3, v4, 7, v6
	s_and_b32 s10, s10, vcc_lo
	s_delay_alu instid0(VALU_DEP_1) | instid1(SALU_CYCLE_1)
	v_cndmask_b32_e64 v3, v3, 0, s10
	s_delay_alu instid0(VALU_DEP_1)
	v_or_b32_e32 v125, v3, v2
.LBB6_882:                              ;   in Loop: Header=BB6_128 Depth=2
	s_or_b32 exec_lo, exec_lo, s43
                                        ; implicit-def: $vgpr2
.LBB6_883:                              ;   in Loop: Header=BB6_128 Depth=2
	s_and_not1_saveexec_b32 s10, s42
; %bb.884:                              ;   in Loop: Header=BB6_128 Depth=2
	v_or_b32_e32 v125, 0x7e, v2
; %bb.885:                              ;   in Loop: Header=BB6_128 Depth=2
	s_or_b32 exec_lo, exec_lo, s10
                                        ; implicit-def: $vgpr2
.LBB6_886:                              ;   in Loop: Header=BB6_128 Depth=2
	s_and_not1_saveexec_b32 s10, s41
; %bb.887:                              ;   in Loop: Header=BB6_128 Depth=2
	v_or_b32_e32 v125, 0x7f, v2
; %bb.888:                              ;   in Loop: Header=BB6_128 Depth=2
	s_or_b32 exec_lo, exec_lo, s10
	global_load_b128 v[10:13], v[102:103], off offset:1024 th:TH_LOAD_NT
	v_mov_b32_e32 v2, 0
	s_mov_b32 s10, exec_lo
	s_wait_loadcnt 0x0
	v_and_b32_e32 v3, 0xff, v10
	s_wait_xcnt 0x0
	s_delay_alu instid0(VALU_DEP_1)
	v_cmpx_ne_u16_e32 0, v3
	s_cbranch_execz .LBB6_894
; %bb.889:                              ;   in Loop: Header=BB6_128 Depth=2
	v_bfrev_b32_e32 v2, 1
	s_mov_b32 s41, exec_lo
	v_cmpx_ne_u16_e32 0x80, v3
	s_cbranch_execz .LBB6_893
; %bb.890:                              ;   in Loop: Header=BB6_128 Depth=2
	v_and_b32_e32 v3, 0x7f, v10
	v_mov_b32_e32 v2, 0x7f800001
	s_mov_b32 s42, exec_lo
	s_delay_alu instid0(VALU_DEP_2)
	v_cmpx_ne_u32_e32 0x7f, v3
	s_cbranch_execz .LBB6_892
; %bb.891:                              ;   in Loop: Header=BB6_128 Depth=2
	v_dual_lshrrev_b32 v4, 3, v3 :: v_dual_bitop2_b32 v2, 7, v10 bitop3:0x40
	v_cmp_gt_u32_e32 vcc_lo, 8, v3
	s_delay_alu instid0(VALU_DEP_2) | instskip(NEXT) | instid1(VALU_DEP_1)
	v_clz_i32_u32_e32 v2, v2
	v_min_u32_e32 v2, 32, v2
	s_delay_alu instid0(VALU_DEP_1) | instskip(SKIP_1) | instid1(VALU_DEP_1)
	v_subrev_nc_u32_e32 v5, 28, v2
	v_sub_nc_u32_e32 v2, 29, v2
	v_dual_cndmask_b32 v4, v4, v2, vcc_lo :: v_dual_cndmask_b32 v2, 0, v5, vcc_lo
	s_delay_alu instid0(VALU_DEP_1) | instskip(NEXT) | instid1(VALU_DEP_2)
	v_lshl_add_u32 v4, v4, 23, 0x3c000000
	v_lshlrev_b64_e32 v[2:3], v2, v[10:11]
	v_lshlrev_b32_e32 v3, 24, v10
	s_delay_alu instid0(VALU_DEP_1) | instskip(NEXT) | instid1(VALU_DEP_3)
	v_and_b32_e32 v3, 0x80000000, v3
	v_lshlrev_b32_e32 v2, 20, v2
	s_delay_alu instid0(VALU_DEP_1) | instskip(NEXT) | instid1(VALU_DEP_1)
	v_and_b32_e32 v2, 0x700000, v2
	v_or3_b32 v2, v2, v3, v4
.LBB6_892:                              ;   in Loop: Header=BB6_128 Depth=2
	s_or_b32 exec_lo, exec_lo, s42
.LBB6_893:                              ;   in Loop: Header=BB6_128 Depth=2
	s_delay_alu instid0(SALU_CYCLE_1)
	s_or_b32 exec_lo, exec_lo, s41
.LBB6_894:                              ;   in Loop: Header=BB6_128 Depth=2
	s_delay_alu instid0(SALU_CYCLE_1) | instskip(NEXT) | instid1(VALU_DEP_1)
	s_or_b32 exec_lo, exec_lo, s10
	v_mul_f32_e32 v3, s40, v2
                                        ; implicit-def: $vgpr107
	s_mov_b32 s10, exec_lo
	s_delay_alu instid0(VALU_DEP_1) | instskip(SKIP_1) | instid1(VALU_DEP_2)
	v_and_b32_e32 v54, 0x7f800000, v3
	v_lshrrev_b32_e32 v2, 24, v3
	v_cmpx_ne_u64_e32 0x7f800000, v[54:55]
	s_xor_b32 s41, exec_lo, s10
	s_cbranch_execz .LBB6_908
; %bb.895:                              ;   in Loop: Header=BB6_128 Depth=2
	v_and_b32_e32 v54, 0x7fffffff, v3
	v_and_b32_e32 v2, 0x80, v2
                                        ; implicit-def: $vgpr107
	s_mov_b32 s10, exec_lo
	s_delay_alu instid0(VALU_DEP_2)
	v_cmpx_gt_u64_e32 0x43e00001, v[54:55]
	s_xor_b32 s42, exec_lo, s10
	s_cbranch_execz .LBB6_905
; %bb.896:                              ;   in Loop: Header=BB6_128 Depth=2
	v_mov_b32_e32 v107, 0
	s_mov_b32 s43, exec_lo
	v_cmpx_ne_u32_e32 0, v3
	s_cbranch_execz .LBB6_904
; %bb.897:                              ;   in Loop: Header=BB6_128 Depth=2
	v_bfe_u32 v4, v3, 23, 8
	v_and_b32_e32 v3, 0x7fffff, v3
	s_mov_b32 s44, exec_lo
	s_delay_alu instid0(VALU_DEP_2) | instskip(NEXT) | instid1(VALU_DEP_2)
	v_cmp_gt_u32_e32 vcc_lo, 0x7a, v4
	v_or_b32_e32 v8, 0x800000, v3
	v_sub_nc_u32_e32 v5, 0x79, v4
	s_delay_alu instid0(VALU_DEP_1) | instskip(SKIP_1) | instid1(VALU_DEP_2)
	v_cndmask_b32_e32 v5, 0, v5, vcc_lo
	v_cmp_eq_u32_e32 vcc_lo, 0, v4
	v_cndmask_b32_e64 v5, v5, 0x78, vcc_lo
	s_delay_alu instid0(VALU_DEP_1) | instskip(SKIP_1) | instid1(VALU_DEP_2)
	v_dual_cndmask_b32 v54, v8, v3, vcc_lo :: v_dual_add_nc_u32 v6, 20, v5
	v_add_nc_u32_e32 v9, 19, v5
	v_lshrrev_b64 v[14:15], v5, v[54:55]
	s_delay_alu instid0(VALU_DEP_3) | instskip(NEXT) | instid1(VALU_DEP_3)
	v_lshlrev_b64_e64 v[6:7], v6, -1
	v_lshlrev_b64_e64 v[8:9], v9, 1
	s_delay_alu instid0(VALU_DEP_3) | instskip(NEXT) | instid1(VALU_DEP_3)
	v_mov_b64_e32 v[16:17], v[14:15]
	v_bfi_b32 v7, v7, 0, 0
	s_delay_alu instid0(VALU_DEP_4) | instskip(NEXT) | instid1(VALU_DEP_1)
	v_bfi_b32 v6, v6, 0, v54
	v_cmpx_eq_u64_e64 v[6:7], v[8:9]
; %bb.898:                              ;   in Loop: Header=BB6_128 Depth=2
	v_bfe_u32 v54, v14, 20, 1
	s_delay_alu instid0(VALU_DEP_1) | instskip(NEXT) | instid1(VALU_DEP_1)
	v_add_nc_u64_e32 v[6:7], v[14:15], v[54:55]
	v_add_nc_u64_e32 v[16:17], -1, v[6:7]
; %bb.899:                              ;   in Loop: Header=BB6_128 Depth=2
	s_or_b32 exec_lo, exec_lo, s44
	v_add_nc_u32_e32 v3, 0xffffff81, v4
	v_lshrrev_b32_e32 v4, 23, v14
	s_mov_b32 s10, exec_lo
	s_delay_alu instid0(VALU_DEP_2) | instskip(NEXT) | instid1(VALU_DEP_1)
	v_cndmask_b32_e64 v3, v3, 0xffffff82, vcc_lo
	v_add3_u32 v4, v5, v3, v4
	v_and_b32_e32 v3, 0xfffff, v16
	s_delay_alu instid0(VALU_DEP_1) | instskip(NEXT) | instid1(VALU_DEP_1)
	v_dual_add_nc_u32 v5, 6, v4 :: v_dual_add_nc_u32 v54, v3, v14
                                        ; implicit-def: $vgpr14_vgpr15
                                        ; implicit-def: $vgpr3
	v_cmpx_ne_u32_e32 0, v5
	s_xor_b32 s10, exec_lo, s10
; %bb.900:                              ;   in Loop: Header=BB6_128 Depth=2
	s_delay_alu instid0(VALU_DEP_2) | instskip(SKIP_2) | instid1(VALU_DEP_2)
	v_cmp_lt_u64_e32 vcc_lo, 0xffffff, v[54:55]
	v_add_nc_u32_e32 v3, 7, v4
	v_cndmask_b32_e64 v4, 0, 1, vcc_lo
	v_cndmask_b32_e32 v3, v5, v3, vcc_lo
	s_delay_alu instid0(VALU_DEP_2)
	v_lshrrev_b64 v[14:15], v4, v[54:55]
; %bb.901:                              ;   in Loop: Header=BB6_128 Depth=2
	s_and_not1_saveexec_b32 s10, s10
; %bb.902:                              ;   in Loop: Header=BB6_128 Depth=2
	v_mov_b64_e32 v[14:15], v[54:55]
	v_bfe_u32 v3, v54, 23, 1
; %bb.903:                              ;   in Loop: Header=BB6_128 Depth=2
	s_or_b32 exec_lo, exec_lo, s10
	s_delay_alu instid0(VALU_DEP_2) | instskip(NEXT) | instid1(VALU_DEP_2)
	v_lshrrev_b64 v[4:5], 20, v[14:15]
	v_cmp_gt_i32_e32 vcc_lo, 16, v3
	v_min_i32_e32 v6, 15, v3
	v_cmp_eq_u32_e64 s10, 0, v3
	s_delay_alu instid0(VALU_DEP_2) | instskip(SKIP_1) | instid1(VALU_DEP_2)
	v_dual_cndmask_b32 v5, 0, v5 :: v_dual_lshlrev_b32 v6, 3, v6
	v_cndmask_b32_e32 v4, 7, v4, vcc_lo
	v_and_b32_e32 v6, 0xf8, v6
	s_delay_alu instid0(VALU_DEP_2) | instskip(NEXT) | instid1(VALU_DEP_2)
	v_cmp_eq_u64_e32 vcc_lo, 0, v[4:5]
	v_and_or_b32 v3, v4, 7, v6
	s_and_b32 s10, s10, vcc_lo
	s_delay_alu instid0(VALU_DEP_1) | instid1(SALU_CYCLE_1)
	v_cndmask_b32_e64 v3, v3, 0, s10
	s_delay_alu instid0(VALU_DEP_1)
	v_or_b32_e32 v107, v3, v2
.LBB6_904:                              ;   in Loop: Header=BB6_128 Depth=2
	s_or_b32 exec_lo, exec_lo, s43
                                        ; implicit-def: $vgpr2
.LBB6_905:                              ;   in Loop: Header=BB6_128 Depth=2
	s_and_not1_saveexec_b32 s10, s42
; %bb.906:                              ;   in Loop: Header=BB6_128 Depth=2
	v_or_b32_e32 v107, 0x7e, v2
; %bb.907:                              ;   in Loop: Header=BB6_128 Depth=2
	s_or_b32 exec_lo, exec_lo, s10
                                        ; implicit-def: $vgpr2
.LBB6_908:                              ;   in Loop: Header=BB6_128 Depth=2
	s_and_not1_saveexec_b32 s10, s41
; %bb.909:                              ;   in Loop: Header=BB6_128 Depth=2
	v_or_b32_e32 v107, 0x7f, v2
; %bb.910:                              ;   in Loop: Header=BB6_128 Depth=2
	s_or_b32 exec_lo, exec_lo, s10
	v_lshrrev_b16 v3, 8, v10
	v_mov_b32_e32 v2, 0
	s_mov_b32 s10, exec_lo
	s_delay_alu instid0(VALU_DEP_2)
	v_cmpx_ne_u16_e32 0, v3
	s_cbranch_execz .LBB6_918
; %bb.911:                              ;   in Loop: Header=BB6_128 Depth=2
	v_bfrev_b32_e32 v2, 1
	s_mov_b32 s41, exec_lo
	v_cmpx_ne_u16_e32 0x80, v3
	s_cbranch_execz .LBB6_917
; %bb.912:                              ;   in Loop: Header=BB6_128 Depth=2
	v_and_b32_e32 v4, 0xffff, v3
	v_mov_b32_e32 v2, 0x7f800001
	s_mov_b32 s42, exec_lo
	s_delay_alu instid0(VALU_DEP_2) | instskip(NEXT) | instid1(VALU_DEP_1)
	v_and_b32_e32 v3, 0x7f, v4
	v_cmpx_ne_u32_e32 0x7f, v3
	s_cbranch_execz .LBB6_916
; %bb.913:                              ;   in Loop: Header=BB6_128 Depth=2
	v_dual_lshrrev_b32 v2, 3, v3 :: v_dual_bitop2_b32 v54, 7, v4 bitop3:0x40
	s_mov_b32 s43, exec_lo
	s_delay_alu instid0(VALU_DEP_1)
	v_mov_b64_e32 v[14:15], v[54:55]
	v_cmpx_gt_u32_e32 8, v3
; %bb.914:                              ;   in Loop: Header=BB6_128 Depth=2
	v_clz_i32_u32_e32 v2, v54
	s_delay_alu instid0(VALU_DEP_1) | instskip(NEXT) | instid1(VALU_DEP_1)
	v_min_u32_e32 v2, 32, v2
	v_subrev_nc_u32_e32 v3, 28, v2
	s_delay_alu instid0(VALU_DEP_1) | instskip(NEXT) | instid1(VALU_DEP_1)
	v_lshlrev_b64_e32 v[4:5], v3, v[54:55]
	v_dual_sub_nc_u32 v2, 29, v2 :: v_dual_bitop2_b32 v14, 7, v4 bitop3:0x40
; %bb.915:                              ;   in Loop: Header=BB6_128 Depth=2
	s_or_b32 exec_lo, exec_lo, s43
	v_lshlrev_b32_e32 v3, 16, v10
	s_delay_alu instid0(VALU_DEP_2) | instskip(NEXT) | instid1(VALU_DEP_3)
	v_lshlrev_b32_e32 v4, 20, v14
	v_lshl_add_u32 v2, v2, 23, 0x3c000000
	s_delay_alu instid0(VALU_DEP_3) | instskip(NEXT) | instid1(VALU_DEP_1)
	v_and_b32_e32 v3, 0x80000000, v3
	v_or3_b32 v2, v4, v3, v2
.LBB6_916:                              ;   in Loop: Header=BB6_128 Depth=2
	s_or_b32 exec_lo, exec_lo, s42
.LBB6_917:                              ;   in Loop: Header=BB6_128 Depth=2
	s_delay_alu instid0(SALU_CYCLE_1)
	s_or_b32 exec_lo, exec_lo, s41
.LBB6_918:                              ;   in Loop: Header=BB6_128 Depth=2
	s_delay_alu instid0(SALU_CYCLE_1) | instskip(NEXT) | instid1(VALU_DEP_1)
	s_or_b32 exec_lo, exec_lo, s10
	v_mul_f32_e32 v3, s40, v2
                                        ; implicit-def: $vgpr110
	s_mov_b32 s10, exec_lo
	s_delay_alu instid0(VALU_DEP_1) | instskip(SKIP_1) | instid1(VALU_DEP_2)
	v_and_b32_e32 v54, 0x7f800000, v3
	v_lshrrev_b32_e32 v2, 24, v3
	v_cmpx_ne_u64_e32 0x7f800000, v[54:55]
	s_xor_b32 s41, exec_lo, s10
	s_cbranch_execz .LBB6_932
; %bb.919:                              ;   in Loop: Header=BB6_128 Depth=2
	v_and_b32_e32 v54, 0x7fffffff, v3
	v_and_b32_e32 v2, 0x80, v2
                                        ; implicit-def: $vgpr110
	s_mov_b32 s10, exec_lo
	s_delay_alu instid0(VALU_DEP_2)
	v_cmpx_gt_u64_e32 0x43e00001, v[54:55]
	s_xor_b32 s42, exec_lo, s10
	s_cbranch_execz .LBB6_929
; %bb.920:                              ;   in Loop: Header=BB6_128 Depth=2
	v_mov_b32_e32 v110, 0
	s_mov_b32 s43, exec_lo
	v_cmpx_ne_u32_e32 0, v3
	s_cbranch_execz .LBB6_928
; %bb.921:                              ;   in Loop: Header=BB6_128 Depth=2
	v_bfe_u32 v4, v3, 23, 8
	v_and_b32_e32 v3, 0x7fffff, v3
	s_mov_b32 s44, exec_lo
	s_delay_alu instid0(VALU_DEP_2) | instskip(NEXT) | instid1(VALU_DEP_2)
	v_cmp_gt_u32_e32 vcc_lo, 0x7a, v4
	v_or_b32_e32 v8, 0x800000, v3
	v_sub_nc_u32_e32 v5, 0x79, v4
	s_delay_alu instid0(VALU_DEP_1) | instskip(SKIP_1) | instid1(VALU_DEP_2)
	v_cndmask_b32_e32 v5, 0, v5, vcc_lo
	v_cmp_eq_u32_e32 vcc_lo, 0, v4
	v_cndmask_b32_e64 v5, v5, 0x78, vcc_lo
	s_delay_alu instid0(VALU_DEP_1) | instskip(SKIP_1) | instid1(VALU_DEP_2)
	v_dual_cndmask_b32 v54, v8, v3, vcc_lo :: v_dual_add_nc_u32 v6, 20, v5
	v_add_nc_u32_e32 v9, 19, v5
	v_lshrrev_b64 v[14:15], v5, v[54:55]
	s_delay_alu instid0(VALU_DEP_3) | instskip(NEXT) | instid1(VALU_DEP_3)
	v_lshlrev_b64_e64 v[6:7], v6, -1
	v_lshlrev_b64_e64 v[8:9], v9, 1
	s_delay_alu instid0(VALU_DEP_3) | instskip(NEXT) | instid1(VALU_DEP_3)
	v_mov_b64_e32 v[16:17], v[14:15]
	v_bfi_b32 v7, v7, 0, 0
	s_delay_alu instid0(VALU_DEP_4) | instskip(NEXT) | instid1(VALU_DEP_1)
	v_bfi_b32 v6, v6, 0, v54
	v_cmpx_eq_u64_e64 v[6:7], v[8:9]
; %bb.922:                              ;   in Loop: Header=BB6_128 Depth=2
	v_bfe_u32 v54, v14, 20, 1
	s_delay_alu instid0(VALU_DEP_1) | instskip(NEXT) | instid1(VALU_DEP_1)
	v_add_nc_u64_e32 v[6:7], v[14:15], v[54:55]
	v_add_nc_u64_e32 v[16:17], -1, v[6:7]
; %bb.923:                              ;   in Loop: Header=BB6_128 Depth=2
	s_or_b32 exec_lo, exec_lo, s44
	v_add_nc_u32_e32 v3, 0xffffff81, v4
	v_lshrrev_b32_e32 v4, 23, v14
	s_mov_b32 s10, exec_lo
	s_delay_alu instid0(VALU_DEP_2) | instskip(NEXT) | instid1(VALU_DEP_1)
	v_cndmask_b32_e64 v3, v3, 0xffffff82, vcc_lo
	v_add3_u32 v4, v5, v3, v4
	v_and_b32_e32 v3, 0xfffff, v16
	s_delay_alu instid0(VALU_DEP_1) | instskip(NEXT) | instid1(VALU_DEP_1)
	v_dual_add_nc_u32 v5, 6, v4 :: v_dual_add_nc_u32 v54, v3, v14
                                        ; implicit-def: $vgpr14_vgpr15
                                        ; implicit-def: $vgpr3
	v_cmpx_ne_u32_e32 0, v5
	s_xor_b32 s10, exec_lo, s10
; %bb.924:                              ;   in Loop: Header=BB6_128 Depth=2
	s_delay_alu instid0(VALU_DEP_2) | instskip(SKIP_2) | instid1(VALU_DEP_2)
	v_cmp_lt_u64_e32 vcc_lo, 0xffffff, v[54:55]
	v_add_nc_u32_e32 v3, 7, v4
	v_cndmask_b32_e64 v4, 0, 1, vcc_lo
	v_cndmask_b32_e32 v3, v5, v3, vcc_lo
	s_delay_alu instid0(VALU_DEP_2)
	v_lshrrev_b64 v[14:15], v4, v[54:55]
; %bb.925:                              ;   in Loop: Header=BB6_128 Depth=2
	s_and_not1_saveexec_b32 s10, s10
; %bb.926:                              ;   in Loop: Header=BB6_128 Depth=2
	v_mov_b64_e32 v[14:15], v[54:55]
	v_bfe_u32 v3, v54, 23, 1
; %bb.927:                              ;   in Loop: Header=BB6_128 Depth=2
	s_or_b32 exec_lo, exec_lo, s10
	s_delay_alu instid0(VALU_DEP_2) | instskip(NEXT) | instid1(VALU_DEP_2)
	v_lshrrev_b64 v[4:5], 20, v[14:15]
	v_cmp_gt_i32_e32 vcc_lo, 16, v3
	v_min_i32_e32 v6, 15, v3
	v_cmp_eq_u32_e64 s10, 0, v3
	s_delay_alu instid0(VALU_DEP_2) | instskip(SKIP_1) | instid1(VALU_DEP_2)
	v_dual_cndmask_b32 v5, 0, v5 :: v_dual_lshlrev_b32 v6, 3, v6
	v_cndmask_b32_e32 v4, 7, v4, vcc_lo
	v_and_b32_e32 v6, 0xf8, v6
	s_delay_alu instid0(VALU_DEP_2) | instskip(NEXT) | instid1(VALU_DEP_2)
	v_cmp_eq_u64_e32 vcc_lo, 0, v[4:5]
	v_and_or_b32 v3, v4, 7, v6
	s_and_b32 s10, s10, vcc_lo
	s_delay_alu instid0(VALU_DEP_1) | instid1(SALU_CYCLE_1)
	v_cndmask_b32_e64 v3, v3, 0, s10
	s_delay_alu instid0(VALU_DEP_1)
	v_or_b32_e32 v110, v3, v2
.LBB6_928:                              ;   in Loop: Header=BB6_128 Depth=2
	s_or_b32 exec_lo, exec_lo, s43
                                        ; implicit-def: $vgpr2
.LBB6_929:                              ;   in Loop: Header=BB6_128 Depth=2
	s_and_not1_saveexec_b32 s10, s42
; %bb.930:                              ;   in Loop: Header=BB6_128 Depth=2
	v_or_b32_e32 v110, 0x7e, v2
; %bb.931:                              ;   in Loop: Header=BB6_128 Depth=2
	s_or_b32 exec_lo, exec_lo, s10
                                        ; implicit-def: $vgpr2
.LBB6_932:                              ;   in Loop: Header=BB6_128 Depth=2
	s_and_not1_saveexec_b32 s10, s41
; %bb.933:                              ;   in Loop: Header=BB6_128 Depth=2
	v_or_b32_e32 v110, 0x7f, v2
; %bb.934:                              ;   in Loop: Header=BB6_128 Depth=2
	s_or_b32 exec_lo, exec_lo, s10
	v_dual_mov_b32 v3, 0 :: v_dual_lshrrev_b32 v2, 16, v10
	s_mov_b32 s10, exec_lo
	s_delay_alu instid0(VALU_DEP_1) | instskip(NEXT) | instid1(VALU_DEP_1)
	v_and_b32_e32 v4, 0xff, v2
	v_cmpx_ne_u16_e32 0, v4
	s_cbranch_execz .LBB6_942
; %bb.935:                              ;   in Loop: Header=BB6_128 Depth=2
	v_bfrev_b32_e32 v3, 1
	s_mov_b32 s41, exec_lo
	v_cmpx_ne_u16_e32 0x80, v4
	s_cbranch_execz .LBB6_941
; %bb.936:                              ;   in Loop: Header=BB6_128 Depth=2
	v_bfe_u32 v4, v10, 16, 7
	v_mov_b32_e32 v3, 0x7f800001
	s_mov_b32 s42, exec_lo
	s_delay_alu instid0(VALU_DEP_2)
	v_cmpx_ne_u32_e32 0x7f, v4
	s_cbranch_execz .LBB6_940
; %bb.937:                              ;   in Loop: Header=BB6_128 Depth=2
	v_dual_lshrrev_b32 v3, 3, v4 :: v_dual_bitop2_b32 v54, 7, v2 bitop3:0x40
	s_mov_b32 s43, exec_lo
	s_delay_alu instid0(VALU_DEP_1)
	v_mov_b64_e32 v[14:15], v[54:55]
	v_cmpx_gt_u32_e32 8, v4
; %bb.938:                              ;   in Loop: Header=BB6_128 Depth=2
	v_clz_i32_u32_e32 v3, v54
	s_delay_alu instid0(VALU_DEP_1) | instskip(NEXT) | instid1(VALU_DEP_1)
	v_min_u32_e32 v3, 32, v3
	v_subrev_nc_u32_e32 v4, 28, v3
	s_delay_alu instid0(VALU_DEP_1) | instskip(NEXT) | instid1(VALU_DEP_1)
	v_lshlrev_b64_e32 v[4:5], v4, v[54:55]
	v_dual_sub_nc_u32 v3, 29, v3 :: v_dual_bitop2_b32 v14, 7, v4 bitop3:0x40
; %bb.939:                              ;   in Loop: Header=BB6_128 Depth=2
	s_or_b32 exec_lo, exec_lo, s43
	v_lshlrev_b32_e32 v2, 24, v2
	s_delay_alu instid0(VALU_DEP_2) | instskip(NEXT) | instid1(VALU_DEP_3)
	v_lshlrev_b32_e32 v4, 20, v14
	v_lshl_add_u32 v3, v3, 23, 0x3c000000
	s_delay_alu instid0(VALU_DEP_3) | instskip(NEXT) | instid1(VALU_DEP_1)
	v_and_b32_e32 v2, 0x80000000, v2
	v_or3_b32 v3, v4, v2, v3
.LBB6_940:                              ;   in Loop: Header=BB6_128 Depth=2
	s_or_b32 exec_lo, exec_lo, s42
.LBB6_941:                              ;   in Loop: Header=BB6_128 Depth=2
	s_delay_alu instid0(SALU_CYCLE_1)
	s_or_b32 exec_lo, exec_lo, s41
.LBB6_942:                              ;   in Loop: Header=BB6_128 Depth=2
	s_delay_alu instid0(SALU_CYCLE_1) | instskip(NEXT) | instid1(VALU_DEP_1)
	s_or_b32 exec_lo, exec_lo, s10
	v_mul_f32_e32 v3, s40, v3
                                        ; implicit-def: $vgpr31
	s_mov_b32 s10, exec_lo
	s_delay_alu instid0(VALU_DEP_1) | instskip(SKIP_1) | instid1(VALU_DEP_2)
	v_and_b32_e32 v54, 0x7f800000, v3
	v_lshrrev_b32_e32 v2, 24, v3
	v_cmpx_ne_u64_e32 0x7f800000, v[54:55]
	s_xor_b32 s41, exec_lo, s10
	s_cbranch_execz .LBB6_956
; %bb.943:                              ;   in Loop: Header=BB6_128 Depth=2
	v_and_b32_e32 v54, 0x7fffffff, v3
	v_and_b32_e32 v2, 0x80, v2
                                        ; implicit-def: $vgpr31
	s_mov_b32 s10, exec_lo
	s_delay_alu instid0(VALU_DEP_2)
	v_cmpx_gt_u64_e32 0x43e00001, v[54:55]
	s_xor_b32 s42, exec_lo, s10
	s_cbranch_execz .LBB6_953
; %bb.944:                              ;   in Loop: Header=BB6_128 Depth=2
	v_mov_b32_e32 v31, 0
	s_mov_b32 s43, exec_lo
	v_cmpx_ne_u32_e32 0, v3
	s_cbranch_execz .LBB6_952
; %bb.945:                              ;   in Loop: Header=BB6_128 Depth=2
	v_bfe_u32 v4, v3, 23, 8
	v_and_b32_e32 v3, 0x7fffff, v3
	s_mov_b32 s44, exec_lo
	s_delay_alu instid0(VALU_DEP_2) | instskip(NEXT) | instid1(VALU_DEP_2)
	v_cmp_gt_u32_e32 vcc_lo, 0x7a, v4
	v_or_b32_e32 v8, 0x800000, v3
	v_sub_nc_u32_e32 v5, 0x79, v4
	s_delay_alu instid0(VALU_DEP_1) | instskip(SKIP_1) | instid1(VALU_DEP_2)
	v_cndmask_b32_e32 v5, 0, v5, vcc_lo
	v_cmp_eq_u32_e32 vcc_lo, 0, v4
	v_cndmask_b32_e64 v5, v5, 0x78, vcc_lo
	s_delay_alu instid0(VALU_DEP_1) | instskip(SKIP_1) | instid1(VALU_DEP_2)
	v_dual_cndmask_b32 v54, v8, v3, vcc_lo :: v_dual_add_nc_u32 v6, 20, v5
	v_add_nc_u32_e32 v9, 19, v5
	v_lshrrev_b64 v[14:15], v5, v[54:55]
	s_delay_alu instid0(VALU_DEP_3) | instskip(NEXT) | instid1(VALU_DEP_3)
	v_lshlrev_b64_e64 v[6:7], v6, -1
	v_lshlrev_b64_e64 v[8:9], v9, 1
	s_delay_alu instid0(VALU_DEP_3) | instskip(NEXT) | instid1(VALU_DEP_3)
	v_mov_b64_e32 v[16:17], v[14:15]
	v_bfi_b32 v7, v7, 0, 0
	s_delay_alu instid0(VALU_DEP_4) | instskip(NEXT) | instid1(VALU_DEP_1)
	v_bfi_b32 v6, v6, 0, v54
	v_cmpx_eq_u64_e64 v[6:7], v[8:9]
; %bb.946:                              ;   in Loop: Header=BB6_128 Depth=2
	v_bfe_u32 v54, v14, 20, 1
	s_delay_alu instid0(VALU_DEP_1) | instskip(NEXT) | instid1(VALU_DEP_1)
	v_add_nc_u64_e32 v[6:7], v[14:15], v[54:55]
	v_add_nc_u64_e32 v[16:17], -1, v[6:7]
; %bb.947:                              ;   in Loop: Header=BB6_128 Depth=2
	s_or_b32 exec_lo, exec_lo, s44
	v_add_nc_u32_e32 v3, 0xffffff81, v4
	v_lshrrev_b32_e32 v4, 23, v14
	s_mov_b32 s10, exec_lo
	s_delay_alu instid0(VALU_DEP_2) | instskip(NEXT) | instid1(VALU_DEP_1)
	v_cndmask_b32_e64 v3, v3, 0xffffff82, vcc_lo
	v_add3_u32 v4, v5, v3, v4
	v_and_b32_e32 v3, 0xfffff, v16
	s_delay_alu instid0(VALU_DEP_1) | instskip(NEXT) | instid1(VALU_DEP_1)
	v_dual_add_nc_u32 v5, 6, v4 :: v_dual_add_nc_u32 v54, v3, v14
                                        ; implicit-def: $vgpr14_vgpr15
                                        ; implicit-def: $vgpr3
	v_cmpx_ne_u32_e32 0, v5
	s_xor_b32 s10, exec_lo, s10
; %bb.948:                              ;   in Loop: Header=BB6_128 Depth=2
	s_delay_alu instid0(VALU_DEP_2) | instskip(SKIP_2) | instid1(VALU_DEP_2)
	v_cmp_lt_u64_e32 vcc_lo, 0xffffff, v[54:55]
	v_add_nc_u32_e32 v3, 7, v4
	v_cndmask_b32_e64 v4, 0, 1, vcc_lo
	v_cndmask_b32_e32 v3, v5, v3, vcc_lo
	s_delay_alu instid0(VALU_DEP_2)
	v_lshrrev_b64 v[14:15], v4, v[54:55]
; %bb.949:                              ;   in Loop: Header=BB6_128 Depth=2
	s_and_not1_saveexec_b32 s10, s10
; %bb.950:                              ;   in Loop: Header=BB6_128 Depth=2
	v_mov_b64_e32 v[14:15], v[54:55]
	v_bfe_u32 v3, v54, 23, 1
; %bb.951:                              ;   in Loop: Header=BB6_128 Depth=2
	s_or_b32 exec_lo, exec_lo, s10
	s_delay_alu instid0(VALU_DEP_2) | instskip(NEXT) | instid1(VALU_DEP_2)
	v_lshrrev_b64 v[4:5], 20, v[14:15]
	v_cmp_gt_i32_e32 vcc_lo, 16, v3
	v_min_i32_e32 v6, 15, v3
	v_cmp_eq_u32_e64 s10, 0, v3
	s_delay_alu instid0(VALU_DEP_2) | instskip(SKIP_1) | instid1(VALU_DEP_2)
	v_dual_cndmask_b32 v5, 0, v5 :: v_dual_lshlrev_b32 v6, 3, v6
	v_cndmask_b32_e32 v4, 7, v4, vcc_lo
	v_and_b32_e32 v6, 0xf8, v6
	s_delay_alu instid0(VALU_DEP_2) | instskip(NEXT) | instid1(VALU_DEP_2)
	v_cmp_eq_u64_e32 vcc_lo, 0, v[4:5]
	v_and_or_b32 v3, v4, 7, v6
	s_and_b32 s10, s10, vcc_lo
	s_delay_alu instid0(VALU_DEP_1) | instid1(SALU_CYCLE_1)
	v_cndmask_b32_e64 v3, v3, 0, s10
	s_delay_alu instid0(VALU_DEP_1)
	v_or_b32_e32 v31, v3, v2
.LBB6_952:                              ;   in Loop: Header=BB6_128 Depth=2
	s_or_b32 exec_lo, exec_lo, s43
                                        ; implicit-def: $vgpr2
.LBB6_953:                              ;   in Loop: Header=BB6_128 Depth=2
	s_and_not1_saveexec_b32 s10, s42
; %bb.954:                              ;   in Loop: Header=BB6_128 Depth=2
	v_or_b32_e32 v31, 0x7e, v2
; %bb.955:                              ;   in Loop: Header=BB6_128 Depth=2
	s_or_b32 exec_lo, exec_lo, s10
                                        ; implicit-def: $vgpr2
.LBB6_956:                              ;   in Loop: Header=BB6_128 Depth=2
	s_and_not1_saveexec_b32 s10, s41
; %bb.957:                              ;   in Loop: Header=BB6_128 Depth=2
	v_or_b32_e32 v31, 0x7f, v2
; %bb.958:                              ;   in Loop: Header=BB6_128 Depth=2
	s_or_b32 exec_lo, exec_lo, s10
	v_mov_b32_e32 v3, 0
	s_mov_b32 s10, exec_lo
	v_cmpx_lt_u32_e32 0xffffff, v10
	s_cbranch_execz .LBB6_966
; %bb.959:                              ;   in Loop: Header=BB6_128 Depth=2
	v_lshrrev_b32_e32 v2, 24, v10
	v_bfrev_b32_e32 v3, 1
	s_mov_b32 s41, exec_lo
	s_delay_alu instid0(VALU_DEP_2)
	v_cmpx_ne_u32_e32 0x80, v2
	s_cbranch_execz .LBB6_965
; %bb.960:                              ;   in Loop: Header=BB6_128 Depth=2
	v_bfe_u32 v4, v10, 24, 7
	v_mov_b32_e32 v3, 0x7f800001
	s_mov_b32 s42, exec_lo
	s_delay_alu instid0(VALU_DEP_2)
	v_cmpx_ne_u32_e32 0x7f, v4
	s_cbranch_execz .LBB6_964
; %bb.961:                              ;   in Loop: Header=BB6_128 Depth=2
	v_dual_lshrrev_b32 v3, 3, v4 :: v_dual_bitop2_b32 v54, 7, v2 bitop3:0x40
	s_mov_b32 s43, exec_lo
	s_delay_alu instid0(VALU_DEP_1)
	v_mov_b64_e32 v[14:15], v[54:55]
	v_cmpx_gt_u32_e32 8, v4
; %bb.962:                              ;   in Loop: Header=BB6_128 Depth=2
	v_clz_i32_u32_e32 v3, v54
	s_delay_alu instid0(VALU_DEP_1) | instskip(NEXT) | instid1(VALU_DEP_1)
	v_min_u32_e32 v3, 32, v3
	v_subrev_nc_u32_e32 v4, 28, v3
	s_delay_alu instid0(VALU_DEP_1) | instskip(NEXT) | instid1(VALU_DEP_1)
	v_lshlrev_b64_e32 v[4:5], v4, v[54:55]
	v_dual_sub_nc_u32 v3, 29, v3 :: v_dual_bitop2_b32 v14, 7, v4 bitop3:0x40
; %bb.963:                              ;   in Loop: Header=BB6_128 Depth=2
	s_or_b32 exec_lo, exec_lo, s43
	v_lshlrev_b32_e32 v2, 24, v2
	s_delay_alu instid0(VALU_DEP_2) | instskip(NEXT) | instid1(VALU_DEP_3)
	v_lshlrev_b32_e32 v4, 20, v14
	v_lshl_add_u32 v3, v3, 23, 0x3c000000
	s_delay_alu instid0(VALU_DEP_3) | instskip(NEXT) | instid1(VALU_DEP_1)
	v_and_b32_e32 v2, 0x80000000, v2
	v_or3_b32 v3, v4, v2, v3
.LBB6_964:                              ;   in Loop: Header=BB6_128 Depth=2
	s_or_b32 exec_lo, exec_lo, s42
.LBB6_965:                              ;   in Loop: Header=BB6_128 Depth=2
	s_delay_alu instid0(SALU_CYCLE_1)
	s_or_b32 exec_lo, exec_lo, s41
.LBB6_966:                              ;   in Loop: Header=BB6_128 Depth=2
	s_delay_alu instid0(SALU_CYCLE_1) | instskip(NEXT) | instid1(VALU_DEP_1)
	s_or_b32 exec_lo, exec_lo, s10
	v_mul_f32_e32 v3, s40, v3
                                        ; implicit-def: $vgpr121
	s_mov_b32 s10, exec_lo
	s_delay_alu instid0(VALU_DEP_1) | instskip(SKIP_1) | instid1(VALU_DEP_2)
	v_and_b32_e32 v54, 0x7f800000, v3
	v_lshrrev_b32_e32 v2, 24, v3
	v_cmpx_ne_u64_e32 0x7f800000, v[54:55]
	s_xor_b32 s41, exec_lo, s10
	s_cbranch_execz .LBB6_980
; %bb.967:                              ;   in Loop: Header=BB6_128 Depth=2
	v_and_b32_e32 v54, 0x7fffffff, v3
	v_and_b32_e32 v2, 0x80, v2
                                        ; implicit-def: $vgpr121
	s_mov_b32 s10, exec_lo
	s_delay_alu instid0(VALU_DEP_2)
	v_cmpx_gt_u64_e32 0x43e00001, v[54:55]
	s_xor_b32 s42, exec_lo, s10
	s_cbranch_execz .LBB6_977
; %bb.968:                              ;   in Loop: Header=BB6_128 Depth=2
	v_mov_b32_e32 v121, 0
	s_mov_b32 s43, exec_lo
	v_cmpx_ne_u32_e32 0, v3
	s_cbranch_execz .LBB6_976
; %bb.969:                              ;   in Loop: Header=BB6_128 Depth=2
	v_bfe_u32 v4, v3, 23, 8
	v_and_b32_e32 v3, 0x7fffff, v3
	s_mov_b32 s44, exec_lo
	s_delay_alu instid0(VALU_DEP_2) | instskip(NEXT) | instid1(VALU_DEP_2)
	v_cmp_gt_u32_e32 vcc_lo, 0x7a, v4
	v_or_b32_e32 v8, 0x800000, v3
	v_sub_nc_u32_e32 v5, 0x79, v4
	s_delay_alu instid0(VALU_DEP_1) | instskip(SKIP_1) | instid1(VALU_DEP_2)
	v_cndmask_b32_e32 v5, 0, v5, vcc_lo
	v_cmp_eq_u32_e32 vcc_lo, 0, v4
	v_cndmask_b32_e64 v5, v5, 0x78, vcc_lo
	s_delay_alu instid0(VALU_DEP_1) | instskip(SKIP_1) | instid1(VALU_DEP_2)
	v_dual_cndmask_b32 v54, v8, v3, vcc_lo :: v_dual_add_nc_u32 v6, 20, v5
	v_add_nc_u32_e32 v9, 19, v5
	v_lshrrev_b64 v[14:15], v5, v[54:55]
	s_delay_alu instid0(VALU_DEP_3) | instskip(NEXT) | instid1(VALU_DEP_3)
	v_lshlrev_b64_e64 v[6:7], v6, -1
	v_lshlrev_b64_e64 v[8:9], v9, 1
	s_delay_alu instid0(VALU_DEP_3) | instskip(NEXT) | instid1(VALU_DEP_3)
	v_mov_b64_e32 v[16:17], v[14:15]
	v_bfi_b32 v7, v7, 0, 0
	s_delay_alu instid0(VALU_DEP_4) | instskip(NEXT) | instid1(VALU_DEP_1)
	v_bfi_b32 v6, v6, 0, v54
	v_cmpx_eq_u64_e64 v[6:7], v[8:9]
; %bb.970:                              ;   in Loop: Header=BB6_128 Depth=2
	v_bfe_u32 v54, v14, 20, 1
	s_delay_alu instid0(VALU_DEP_1) | instskip(NEXT) | instid1(VALU_DEP_1)
	v_add_nc_u64_e32 v[6:7], v[14:15], v[54:55]
	v_add_nc_u64_e32 v[16:17], -1, v[6:7]
; %bb.971:                              ;   in Loop: Header=BB6_128 Depth=2
	s_or_b32 exec_lo, exec_lo, s44
	v_add_nc_u32_e32 v3, 0xffffff81, v4
	v_lshrrev_b32_e32 v4, 23, v14
	s_mov_b32 s10, exec_lo
	s_delay_alu instid0(VALU_DEP_2) | instskip(NEXT) | instid1(VALU_DEP_1)
	v_cndmask_b32_e64 v3, v3, 0xffffff82, vcc_lo
	v_add3_u32 v4, v5, v3, v4
	v_and_b32_e32 v3, 0xfffff, v16
	s_delay_alu instid0(VALU_DEP_1) | instskip(NEXT) | instid1(VALU_DEP_1)
	v_dual_add_nc_u32 v5, 6, v4 :: v_dual_add_nc_u32 v54, v3, v14
                                        ; implicit-def: $vgpr14_vgpr15
                                        ; implicit-def: $vgpr3
	v_cmpx_ne_u32_e32 0, v5
	s_xor_b32 s10, exec_lo, s10
; %bb.972:                              ;   in Loop: Header=BB6_128 Depth=2
	s_delay_alu instid0(VALU_DEP_2) | instskip(SKIP_2) | instid1(VALU_DEP_2)
	v_cmp_lt_u64_e32 vcc_lo, 0xffffff, v[54:55]
	v_add_nc_u32_e32 v3, 7, v4
	v_cndmask_b32_e64 v4, 0, 1, vcc_lo
	v_cndmask_b32_e32 v3, v5, v3, vcc_lo
	s_delay_alu instid0(VALU_DEP_2)
	v_lshrrev_b64 v[14:15], v4, v[54:55]
; %bb.973:                              ;   in Loop: Header=BB6_128 Depth=2
	s_and_not1_saveexec_b32 s10, s10
; %bb.974:                              ;   in Loop: Header=BB6_128 Depth=2
	v_mov_b64_e32 v[14:15], v[54:55]
	v_bfe_u32 v3, v54, 23, 1
; %bb.975:                              ;   in Loop: Header=BB6_128 Depth=2
	s_or_b32 exec_lo, exec_lo, s10
	s_delay_alu instid0(VALU_DEP_2) | instskip(NEXT) | instid1(VALU_DEP_2)
	v_lshrrev_b64 v[4:5], 20, v[14:15]
	v_cmp_gt_i32_e32 vcc_lo, 16, v3
	v_min_i32_e32 v6, 15, v3
	v_cmp_eq_u32_e64 s10, 0, v3
	s_delay_alu instid0(VALU_DEP_2) | instskip(SKIP_1) | instid1(VALU_DEP_2)
	v_dual_cndmask_b32 v5, 0, v5 :: v_dual_lshlrev_b32 v6, 3, v6
	v_cndmask_b32_e32 v4, 7, v4, vcc_lo
	v_and_b32_e32 v6, 0xf8, v6
	s_delay_alu instid0(VALU_DEP_2) | instskip(NEXT) | instid1(VALU_DEP_2)
	v_cmp_eq_u64_e32 vcc_lo, 0, v[4:5]
	v_and_or_b32 v3, v4, 7, v6
	s_and_b32 s10, s10, vcc_lo
	s_delay_alu instid0(VALU_DEP_1) | instid1(SALU_CYCLE_1)
	v_cndmask_b32_e64 v3, v3, 0, s10
	s_delay_alu instid0(VALU_DEP_1)
	v_or_b32_e32 v121, v3, v2
.LBB6_976:                              ;   in Loop: Header=BB6_128 Depth=2
	s_or_b32 exec_lo, exec_lo, s43
                                        ; implicit-def: $vgpr2
.LBB6_977:                              ;   in Loop: Header=BB6_128 Depth=2
	s_and_not1_saveexec_b32 s10, s42
; %bb.978:                              ;   in Loop: Header=BB6_128 Depth=2
	v_or_b32_e32 v121, 0x7e, v2
; %bb.979:                              ;   in Loop: Header=BB6_128 Depth=2
	s_or_b32 exec_lo, exec_lo, s10
                                        ; implicit-def: $vgpr2
.LBB6_980:                              ;   in Loop: Header=BB6_128 Depth=2
	s_and_not1_saveexec_b32 s10, s41
; %bb.981:                              ;   in Loop: Header=BB6_128 Depth=2
	v_or_b32_e32 v121, 0x7f, v2
; %bb.982:                              ;   in Loop: Header=BB6_128 Depth=2
	s_or_b32 exec_lo, exec_lo, s10
	v_and_b32_e32 v3, 0xff, v11
	v_dual_mov_b32 v54, v11 :: v_dual_mov_b32 v2, 0
	s_mov_b32 s10, exec_lo
	s_delay_alu instid0(VALU_DEP_2)
	v_cmpx_ne_u16_e32 0, v3
	s_cbranch_execz .LBB6_988
; %bb.983:                              ;   in Loop: Header=BB6_128 Depth=2
	v_bfrev_b32_e32 v2, 1
	s_mov_b32 s41, exec_lo
	v_cmpx_ne_u16_e32 0x80, v3
	s_cbranch_execz .LBB6_987
; %bb.984:                              ;   in Loop: Header=BB6_128 Depth=2
	v_and_b32_e32 v3, 0x7f, v11
	v_mov_b32_e32 v2, 0x7f800001
	s_mov_b32 s42, exec_lo
	s_delay_alu instid0(VALU_DEP_2)
	v_cmpx_ne_u32_e32 0x7f, v3
	s_cbranch_execz .LBB6_986
; %bb.985:                              ;   in Loop: Header=BB6_128 Depth=2
	v_and_b32_e32 v2, 7, v11
	v_cmp_gt_u32_e32 vcc_lo, 8, v3
	s_delay_alu instid0(VALU_DEP_2) | instskip(NEXT) | instid1(VALU_DEP_1)
	v_clz_i32_u32_e32 v2, v2
	v_min_u32_e32 v2, 32, v2
	v_lshrrev_b32_e32 v4, 3, v3
	s_delay_alu instid0(VALU_DEP_2) | instskip(SKIP_1) | instid1(VALU_DEP_1)
	v_subrev_nc_u32_e32 v5, 28, v2
	v_sub_nc_u32_e32 v2, 29, v2
	v_dual_cndmask_b32 v4, v4, v2, vcc_lo :: v_dual_cndmask_b32 v2, 0, v5, vcc_lo
	s_delay_alu instid0(VALU_DEP_1) | instskip(NEXT) | instid1(VALU_DEP_2)
	v_lshl_add_u32 v4, v4, 23, 0x3c000000
	v_lshlrev_b64_e32 v[2:3], v2, v[54:55]
	v_lshlrev_b32_e32 v3, 24, v54
	s_delay_alu instid0(VALU_DEP_1) | instskip(NEXT) | instid1(VALU_DEP_3)
	v_and_b32_e32 v3, 0x80000000, v3
	v_lshlrev_b32_e32 v2, 20, v2
	s_delay_alu instid0(VALU_DEP_1) | instskip(NEXT) | instid1(VALU_DEP_1)
	v_and_b32_e32 v2, 0x700000, v2
	v_or3_b32 v2, v2, v3, v4
.LBB6_986:                              ;   in Loop: Header=BB6_128 Depth=2
	s_or_b32 exec_lo, exec_lo, s42
.LBB6_987:                              ;   in Loop: Header=BB6_128 Depth=2
	s_delay_alu instid0(SALU_CYCLE_1)
	s_or_b32 exec_lo, exec_lo, s41
.LBB6_988:                              ;   in Loop: Header=BB6_128 Depth=2
	s_delay_alu instid0(SALU_CYCLE_1) | instskip(NEXT) | instid1(VALU_DEP_1)
	s_or_b32 exec_lo, exec_lo, s10
	v_dual_mul_f32 v3, s40, v2 :: v_dual_mov_b32 v5, v55
                                        ; implicit-def: $vgpr104
	s_mov_b32 s10, exec_lo
	s_delay_alu instid0(VALU_DEP_1) | instskip(SKIP_1) | instid1(VALU_DEP_2)
	v_and_b32_e32 v4, 0x7f800000, v3
	v_lshrrev_b32_e32 v2, 24, v3
	v_cmpx_ne_u64_e32 0x7f800000, v[4:5]
	s_xor_b32 s41, exec_lo, s10
	s_cbranch_execz .LBB6_1002
; %bb.989:                              ;   in Loop: Header=BB6_128 Depth=2
	v_and_b32_e32 v4, 0x7fffffff, v3
	v_mov_b32_e32 v5, v55
	v_and_b32_e32 v2, 0x80, v2
                                        ; implicit-def: $vgpr104
	s_mov_b32 s10, exec_lo
	s_delay_alu instid0(VALU_DEP_2)
	v_cmpx_gt_u64_e32 0x43e00001, v[4:5]
	s_xor_b32 s42, exec_lo, s10
	s_cbranch_execz .LBB6_999
; %bb.990:                              ;   in Loop: Header=BB6_128 Depth=2
	v_mov_b32_e32 v104, 0
	s_mov_b32 s43, exec_lo
	v_cmpx_ne_u32_e32 0, v3
	s_cbranch_execz .LBB6_998
; %bb.991:                              ;   in Loop: Header=BB6_128 Depth=2
	v_bfe_u32 v4, v3, 23, 8
	v_and_b32_e32 v3, 0x7fffff, v3
	v_mov_b32_e32 v9, v55
	s_delay_alu instid0(VALU_DEP_3) | instskip(NEXT) | instid1(VALU_DEP_3)
	v_cmp_gt_u32_e32 vcc_lo, 0x7a, v4
	v_or_b32_e32 v8, 0x800000, v3
	v_sub_nc_u32_e32 v5, 0x79, v4
	s_delay_alu instid0(VALU_DEP_1) | instskip(SKIP_1) | instid1(VALU_DEP_2)
	v_cndmask_b32_e32 v5, 0, v5, vcc_lo
	v_cmp_eq_u32_e32 vcc_lo, 0, v4
	v_cndmask_b32_e64 v5, v5, 0x78, vcc_lo
	s_delay_alu instid0(VALU_DEP_1) | instskip(SKIP_1) | instid1(VALU_DEP_2)
	v_dual_cndmask_b32 v8, v8, v3, vcc_lo :: v_dual_add_nc_u32 v6, 20, v5
	v_add_nc_u32_e32 v14, 19, v5
	v_lshlrev_b64_e64 v[6:7], v6, -1
	s_delay_alu instid0(VALU_DEP_2) | instskip(NEXT) | instid1(VALU_DEP_4)
	v_lshlrev_b64_e64 v[16:17], v14, 1
	v_lshrrev_b64 v[14:15], v5, v[8:9]
	s_delay_alu instid0(VALU_DEP_3) | instskip(NEXT) | instid1(VALU_DEP_4)
	v_bfi_b32 v7, v7, 0, 0
	v_bfi_b32 v6, v6, 0, v8
	s_delay_alu instid0(VALU_DEP_1) | instskip(NEXT) | instid1(VALU_DEP_4)
	v_cmp_eq_u64_e64 s10, v[6:7], v[16:17]
	v_mov_b64_e32 v[16:17], v[14:15]
	s_and_saveexec_b32 s44, s10
; %bb.992:                              ;   in Loop: Header=BB6_128 Depth=2
	v_bfe_u32 v6, v14, 20, 1
	v_mov_b32_e32 v7, v55
	s_delay_alu instid0(VALU_DEP_1) | instskip(NEXT) | instid1(VALU_DEP_1)
	v_add_nc_u64_e32 v[6:7], v[14:15], v[6:7]
	v_add_nc_u64_e32 v[16:17], -1, v[6:7]
; %bb.993:                              ;   in Loop: Header=BB6_128 Depth=2
	s_or_b32 exec_lo, exec_lo, s44
	v_add_nc_u32_e32 v3, 0xffffff81, v4
	v_lshrrev_b32_e32 v4, 23, v14
	s_mov_b32 s10, exec_lo
	v_mov_b32_e32 v15, v55
	s_delay_alu instid0(VALU_DEP_3) | instskip(NEXT) | instid1(VALU_DEP_1)
	v_cndmask_b32_e64 v3, v3, 0xffffff82, vcc_lo
	v_add3_u32 v4, v5, v3, v4
	v_and_b32_e32 v3, 0xfffff, v16
	s_delay_alu instid0(VALU_DEP_1) | instskip(NEXT) | instid1(VALU_DEP_1)
	v_dual_add_nc_u32 v5, 6, v4 :: v_dual_add_nc_u32 v14, v3, v14
                                        ; implicit-def: $vgpr3
	v_cmpx_ne_u32_e32 0, v5
	s_xor_b32 s10, exec_lo, s10
; %bb.994:                              ;   in Loop: Header=BB6_128 Depth=2
	s_delay_alu instid0(VALU_DEP_2) | instskip(SKIP_2) | instid1(VALU_DEP_2)
	v_cmp_lt_u64_e32 vcc_lo, 0xffffff, v[14:15]
	v_add_nc_u32_e32 v3, 7, v4
	v_cndmask_b32_e64 v4, 0, 1, vcc_lo
	v_cndmask_b32_e32 v3, v5, v3, vcc_lo
	s_delay_alu instid0(VALU_DEP_2)
	v_lshrrev_b64 v[14:15], v4, v[14:15]
; %bb.995:                              ;   in Loop: Header=BB6_128 Depth=2
	s_and_not1_saveexec_b32 s10, s10
; %bb.996:                              ;   in Loop: Header=BB6_128 Depth=2
	s_delay_alu instid0(VALU_DEP_1)
	v_bfe_u32 v3, v14, 23, 1
; %bb.997:                              ;   in Loop: Header=BB6_128 Depth=2
	s_or_b32 exec_lo, exec_lo, s10
	s_delay_alu instid0(VALU_DEP_2) | instskip(NEXT) | instid1(VALU_DEP_2)
	v_lshrrev_b64 v[4:5], 20, v[14:15]
	v_cmp_gt_i32_e32 vcc_lo, 16, v3
	v_min_i32_e32 v6, 15, v3
	v_cmp_eq_u32_e64 s10, 0, v3
	s_delay_alu instid0(VALU_DEP_2) | instskip(SKIP_1) | instid1(VALU_DEP_2)
	v_dual_cndmask_b32 v5, 0, v5 :: v_dual_lshlrev_b32 v6, 3, v6
	v_cndmask_b32_e32 v4, 7, v4, vcc_lo
	v_and_b32_e32 v6, 0xf8, v6
	s_delay_alu instid0(VALU_DEP_2) | instskip(NEXT) | instid1(VALU_DEP_2)
	v_cmp_eq_u64_e32 vcc_lo, 0, v[4:5]
	v_and_or_b32 v3, v4, 7, v6
	s_and_b32 s10, s10, vcc_lo
	s_delay_alu instid0(VALU_DEP_1) | instid1(SALU_CYCLE_1)
	v_cndmask_b32_e64 v3, v3, 0, s10
	s_delay_alu instid0(VALU_DEP_1)
	v_or_b32_e32 v104, v3, v2
.LBB6_998:                              ;   in Loop: Header=BB6_128 Depth=2
	s_or_b32 exec_lo, exec_lo, s43
                                        ; implicit-def: $vgpr2
.LBB6_999:                              ;   in Loop: Header=BB6_128 Depth=2
	s_and_not1_saveexec_b32 s10, s42
; %bb.1000:                             ;   in Loop: Header=BB6_128 Depth=2
	v_or_b32_e32 v104, 0x7e, v2
; %bb.1001:                             ;   in Loop: Header=BB6_128 Depth=2
	s_or_b32 exec_lo, exec_lo, s10
                                        ; implicit-def: $vgpr2
.LBB6_1002:                             ;   in Loop: Header=BB6_128 Depth=2
	s_and_not1_saveexec_b32 s10, s41
; %bb.1003:                             ;   in Loop: Header=BB6_128 Depth=2
	v_or_b32_e32 v104, 0x7f, v2
; %bb.1004:                             ;   in Loop: Header=BB6_128 Depth=2
	s_or_b32 exec_lo, exec_lo, s10
	v_lshrrev_b16 v3, 8, v54
	v_mov_b32_e32 v2, 0
	s_mov_b32 s10, exec_lo
	s_delay_alu instid0(VALU_DEP_2)
	v_cmpx_ne_u16_e32 0, v3
	s_cbranch_execz .LBB6_1012
; %bb.1005:                             ;   in Loop: Header=BB6_128 Depth=2
	v_bfrev_b32_e32 v2, 1
	s_mov_b32 s41, exec_lo
	v_cmpx_ne_u16_e32 0x80, v3
	s_cbranch_execz .LBB6_1011
; %bb.1006:                             ;   in Loop: Header=BB6_128 Depth=2
	v_and_b32_e32 v4, 0xffff, v3
	v_mov_b32_e32 v2, 0x7f800001
	s_mov_b32 s42, exec_lo
	s_delay_alu instid0(VALU_DEP_2) | instskip(NEXT) | instid1(VALU_DEP_1)
	v_and_b32_e32 v3, 0x7f, v4
	v_cmpx_ne_u32_e32 0x7f, v3
	s_cbranch_execz .LBB6_1010
; %bb.1007:                             ;   in Loop: Header=BB6_128 Depth=2
	v_dual_mov_b32 v15, v55 :: v_dual_bitop2_b32 v14, 7, v4 bitop3:0x40
	v_lshrrev_b32_e32 v2, 3, v3
	s_mov_b32 s43, exec_lo
	v_cmpx_gt_u32_e32 8, v3
; %bb.1008:                             ;   in Loop: Header=BB6_128 Depth=2
	s_delay_alu instid0(VALU_DEP_3) | instskip(NEXT) | instid1(VALU_DEP_1)
	v_clz_i32_u32_e32 v2, v14
	v_min_u32_e32 v2, 32, v2
	s_delay_alu instid0(VALU_DEP_1) | instskip(NEXT) | instid1(VALU_DEP_1)
	v_subrev_nc_u32_e32 v3, 28, v2
	v_lshlrev_b64_e32 v[4:5], v3, v[14:15]
	s_delay_alu instid0(VALU_DEP_1)
	v_dual_sub_nc_u32 v2, 29, v2 :: v_dual_bitop2_b32 v14, 7, v4 bitop3:0x40
; %bb.1009:                             ;   in Loop: Header=BB6_128 Depth=2
	s_or_b32 exec_lo, exec_lo, s43
	v_lshlrev_b32_e32 v3, 16, v54
	s_delay_alu instid0(VALU_DEP_2) | instskip(NEXT) | instid1(VALU_DEP_3)
	v_lshlrev_b32_e32 v4, 20, v14
	v_lshl_add_u32 v2, v2, 23, 0x3c000000
	s_delay_alu instid0(VALU_DEP_3) | instskip(NEXT) | instid1(VALU_DEP_1)
	v_and_b32_e32 v3, 0x80000000, v3
	v_or3_b32 v2, v4, v3, v2
.LBB6_1010:                             ;   in Loop: Header=BB6_128 Depth=2
	s_or_b32 exec_lo, exec_lo, s42
.LBB6_1011:                             ;   in Loop: Header=BB6_128 Depth=2
	s_delay_alu instid0(SALU_CYCLE_1)
	s_or_b32 exec_lo, exec_lo, s41
.LBB6_1012:                             ;   in Loop: Header=BB6_128 Depth=2
	s_delay_alu instid0(SALU_CYCLE_1) | instskip(NEXT) | instid1(VALU_DEP_1)
	s_or_b32 exec_lo, exec_lo, s10
	v_mul_f32_e32 v3, s40, v2
                                        ; implicit-def: $vgpr28
	s_mov_b32 s10, exec_lo
	s_delay_alu instid0(VALU_DEP_1) | instskip(SKIP_1) | instid1(VALU_DEP_2)
	v_and_b32_e32 v54, 0x7f800000, v3
	v_lshrrev_b32_e32 v2, 24, v3
	v_cmpx_ne_u64_e32 0x7f800000, v[54:55]
	s_xor_b32 s41, exec_lo, s10
	s_cbranch_execz .LBB6_1026
; %bb.1013:                             ;   in Loop: Header=BB6_128 Depth=2
	v_and_b32_e32 v54, 0x7fffffff, v3
	v_and_b32_e32 v2, 0x80, v2
                                        ; implicit-def: $vgpr28
	s_mov_b32 s10, exec_lo
	s_delay_alu instid0(VALU_DEP_2)
	v_cmpx_gt_u64_e32 0x43e00001, v[54:55]
	s_xor_b32 s42, exec_lo, s10
	s_cbranch_execz .LBB6_1023
; %bb.1014:                             ;   in Loop: Header=BB6_128 Depth=2
	v_mov_b32_e32 v28, 0
	s_mov_b32 s43, exec_lo
	v_cmpx_ne_u32_e32 0, v3
	s_cbranch_execz .LBB6_1022
; %bb.1015:                             ;   in Loop: Header=BB6_128 Depth=2
	v_bfe_u32 v4, v3, 23, 8
	v_and_b32_e32 v3, 0x7fffff, v3
	s_mov_b32 s44, exec_lo
	s_delay_alu instid0(VALU_DEP_2) | instskip(NEXT) | instid1(VALU_DEP_2)
	v_cmp_gt_u32_e32 vcc_lo, 0x7a, v4
	v_or_b32_e32 v8, 0x800000, v3
	v_sub_nc_u32_e32 v5, 0x79, v4
	s_delay_alu instid0(VALU_DEP_1) | instskip(SKIP_1) | instid1(VALU_DEP_2)
	v_cndmask_b32_e32 v5, 0, v5, vcc_lo
	v_cmp_eq_u32_e32 vcc_lo, 0, v4
	v_cndmask_b32_e64 v5, v5, 0x78, vcc_lo
	s_delay_alu instid0(VALU_DEP_1) | instskip(SKIP_1) | instid1(VALU_DEP_2)
	v_dual_cndmask_b32 v54, v8, v3, vcc_lo :: v_dual_add_nc_u32 v6, 20, v5
	v_add_nc_u32_e32 v9, 19, v5
	v_lshrrev_b64 v[14:15], v5, v[54:55]
	s_delay_alu instid0(VALU_DEP_3) | instskip(NEXT) | instid1(VALU_DEP_3)
	v_lshlrev_b64_e64 v[6:7], v6, -1
	v_lshlrev_b64_e64 v[8:9], v9, 1
	s_delay_alu instid0(VALU_DEP_3) | instskip(NEXT) | instid1(VALU_DEP_3)
	v_mov_b64_e32 v[16:17], v[14:15]
	v_bfi_b32 v7, v7, 0, 0
	s_delay_alu instid0(VALU_DEP_4) | instskip(NEXT) | instid1(VALU_DEP_1)
	v_bfi_b32 v6, v6, 0, v54
	v_cmpx_eq_u64_e64 v[6:7], v[8:9]
; %bb.1016:                             ;   in Loop: Header=BB6_128 Depth=2
	v_bfe_u32 v54, v14, 20, 1
	s_delay_alu instid0(VALU_DEP_1) | instskip(NEXT) | instid1(VALU_DEP_1)
	v_add_nc_u64_e32 v[6:7], v[14:15], v[54:55]
	v_add_nc_u64_e32 v[16:17], -1, v[6:7]
; %bb.1017:                             ;   in Loop: Header=BB6_128 Depth=2
	s_or_b32 exec_lo, exec_lo, s44
	v_add_nc_u32_e32 v3, 0xffffff81, v4
	v_lshrrev_b32_e32 v4, 23, v14
	s_mov_b32 s10, exec_lo
	s_delay_alu instid0(VALU_DEP_2) | instskip(NEXT) | instid1(VALU_DEP_1)
	v_cndmask_b32_e64 v3, v3, 0xffffff82, vcc_lo
	v_add3_u32 v4, v5, v3, v4
	v_and_b32_e32 v3, 0xfffff, v16
	s_delay_alu instid0(VALU_DEP_1) | instskip(NEXT) | instid1(VALU_DEP_1)
	v_dual_add_nc_u32 v5, 6, v4 :: v_dual_add_nc_u32 v54, v3, v14
                                        ; implicit-def: $vgpr14_vgpr15
                                        ; implicit-def: $vgpr3
	v_cmpx_ne_u32_e32 0, v5
	s_xor_b32 s10, exec_lo, s10
; %bb.1018:                             ;   in Loop: Header=BB6_128 Depth=2
	s_delay_alu instid0(VALU_DEP_2) | instskip(SKIP_2) | instid1(VALU_DEP_2)
	v_cmp_lt_u64_e32 vcc_lo, 0xffffff, v[54:55]
	v_add_nc_u32_e32 v3, 7, v4
	v_cndmask_b32_e64 v4, 0, 1, vcc_lo
	v_cndmask_b32_e32 v3, v5, v3, vcc_lo
	s_delay_alu instid0(VALU_DEP_2)
	v_lshrrev_b64 v[14:15], v4, v[54:55]
; %bb.1019:                             ;   in Loop: Header=BB6_128 Depth=2
	s_and_not1_saveexec_b32 s10, s10
; %bb.1020:                             ;   in Loop: Header=BB6_128 Depth=2
	v_mov_b64_e32 v[14:15], v[54:55]
	v_bfe_u32 v3, v54, 23, 1
; %bb.1021:                             ;   in Loop: Header=BB6_128 Depth=2
	s_or_b32 exec_lo, exec_lo, s10
	s_delay_alu instid0(VALU_DEP_2) | instskip(NEXT) | instid1(VALU_DEP_2)
	v_lshrrev_b64 v[4:5], 20, v[14:15]
	v_cmp_gt_i32_e32 vcc_lo, 16, v3
	v_min_i32_e32 v6, 15, v3
	v_cmp_eq_u32_e64 s10, 0, v3
	s_delay_alu instid0(VALU_DEP_2) | instskip(SKIP_1) | instid1(VALU_DEP_2)
	v_dual_cndmask_b32 v5, 0, v5 :: v_dual_lshlrev_b32 v6, 3, v6
	v_cndmask_b32_e32 v4, 7, v4, vcc_lo
	v_and_b32_e32 v6, 0xf8, v6
	s_delay_alu instid0(VALU_DEP_2) | instskip(NEXT) | instid1(VALU_DEP_2)
	v_cmp_eq_u64_e32 vcc_lo, 0, v[4:5]
	v_and_or_b32 v3, v4, 7, v6
	s_and_b32 s10, s10, vcc_lo
	s_delay_alu instid0(VALU_DEP_1) | instid1(SALU_CYCLE_1)
	v_cndmask_b32_e64 v3, v3, 0, s10
	s_delay_alu instid0(VALU_DEP_1)
	v_or_b32_e32 v28, v3, v2
.LBB6_1022:                             ;   in Loop: Header=BB6_128 Depth=2
	s_or_b32 exec_lo, exec_lo, s43
                                        ; implicit-def: $vgpr2
.LBB6_1023:                             ;   in Loop: Header=BB6_128 Depth=2
	s_and_not1_saveexec_b32 s10, s42
; %bb.1024:                             ;   in Loop: Header=BB6_128 Depth=2
	v_or_b32_e32 v28, 0x7e, v2
; %bb.1025:                             ;   in Loop: Header=BB6_128 Depth=2
	s_or_b32 exec_lo, exec_lo, s10
                                        ; implicit-def: $vgpr2
.LBB6_1026:                             ;   in Loop: Header=BB6_128 Depth=2
	s_and_not1_saveexec_b32 s10, s41
; %bb.1027:                             ;   in Loop: Header=BB6_128 Depth=2
	v_or_b32_e32 v28, 0x7f, v2
; %bb.1028:                             ;   in Loop: Header=BB6_128 Depth=2
	s_or_b32 exec_lo, exec_lo, s10
	v_dual_mov_b32 v3, 0 :: v_dual_lshrrev_b32 v2, 16, v11
	s_mov_b32 s10, exec_lo
	s_delay_alu instid0(VALU_DEP_1) | instskip(NEXT) | instid1(VALU_DEP_1)
	v_and_b32_e32 v4, 0xff, v2
	v_cmpx_ne_u16_e32 0, v4
	s_cbranch_execz .LBB6_1036
; %bb.1029:                             ;   in Loop: Header=BB6_128 Depth=2
	v_bfrev_b32_e32 v3, 1
	s_mov_b32 s41, exec_lo
	v_cmpx_ne_u16_e32 0x80, v4
	s_cbranch_execz .LBB6_1035
; %bb.1030:                             ;   in Loop: Header=BB6_128 Depth=2
	v_bfe_u32 v4, v11, 16, 7
	v_mov_b32_e32 v3, 0x7f800001
	s_mov_b32 s42, exec_lo
	s_delay_alu instid0(VALU_DEP_2)
	v_cmpx_ne_u32_e32 0x7f, v4
	s_cbranch_execz .LBB6_1034
; %bb.1031:                             ;   in Loop: Header=BB6_128 Depth=2
	v_dual_lshrrev_b32 v3, 3, v4 :: v_dual_bitop2_b32 v54, 7, v2 bitop3:0x40
	s_mov_b32 s43, exec_lo
	s_delay_alu instid0(VALU_DEP_1)
	v_mov_b64_e32 v[14:15], v[54:55]
	v_cmpx_gt_u32_e32 8, v4
; %bb.1032:                             ;   in Loop: Header=BB6_128 Depth=2
	v_clz_i32_u32_e32 v3, v54
	s_delay_alu instid0(VALU_DEP_1) | instskip(NEXT) | instid1(VALU_DEP_1)
	v_min_u32_e32 v3, 32, v3
	v_subrev_nc_u32_e32 v4, 28, v3
	s_delay_alu instid0(VALU_DEP_1) | instskip(NEXT) | instid1(VALU_DEP_1)
	v_lshlrev_b64_e32 v[4:5], v4, v[54:55]
	v_dual_sub_nc_u32 v3, 29, v3 :: v_dual_bitop2_b32 v14, 7, v4 bitop3:0x40
; %bb.1033:                             ;   in Loop: Header=BB6_128 Depth=2
	s_or_b32 exec_lo, exec_lo, s43
	v_lshlrev_b32_e32 v2, 24, v2
	s_delay_alu instid0(VALU_DEP_2) | instskip(NEXT) | instid1(VALU_DEP_3)
	v_lshlrev_b32_e32 v4, 20, v14
	v_lshl_add_u32 v3, v3, 23, 0x3c000000
	s_delay_alu instid0(VALU_DEP_3) | instskip(NEXT) | instid1(VALU_DEP_1)
	v_and_b32_e32 v2, 0x80000000, v2
	v_or3_b32 v3, v4, v2, v3
.LBB6_1034:                             ;   in Loop: Header=BB6_128 Depth=2
	s_or_b32 exec_lo, exec_lo, s42
.LBB6_1035:                             ;   in Loop: Header=BB6_128 Depth=2
	s_delay_alu instid0(SALU_CYCLE_1)
	s_or_b32 exec_lo, exec_lo, s41
.LBB6_1036:                             ;   in Loop: Header=BB6_128 Depth=2
	s_delay_alu instid0(SALU_CYCLE_1) | instskip(NEXT) | instid1(VALU_DEP_1)
	s_or_b32 exec_lo, exec_lo, s10
	v_mul_f32_e32 v3, s40, v3
                                        ; implicit-def: $vgpr106
	s_mov_b32 s10, exec_lo
	s_delay_alu instid0(VALU_DEP_1) | instskip(SKIP_1) | instid1(VALU_DEP_2)
	v_and_b32_e32 v54, 0x7f800000, v3
	v_lshrrev_b32_e32 v2, 24, v3
	v_cmpx_ne_u64_e32 0x7f800000, v[54:55]
	s_xor_b32 s41, exec_lo, s10
	s_cbranch_execz .LBB6_1050
; %bb.1037:                             ;   in Loop: Header=BB6_128 Depth=2
	v_and_b32_e32 v54, 0x7fffffff, v3
	v_and_b32_e32 v2, 0x80, v2
                                        ; implicit-def: $vgpr106
	s_mov_b32 s10, exec_lo
	s_delay_alu instid0(VALU_DEP_2)
	v_cmpx_gt_u64_e32 0x43e00001, v[54:55]
	s_xor_b32 s42, exec_lo, s10
	s_cbranch_execz .LBB6_1047
; %bb.1038:                             ;   in Loop: Header=BB6_128 Depth=2
	v_mov_b32_e32 v106, 0
	s_mov_b32 s43, exec_lo
	v_cmpx_ne_u32_e32 0, v3
	s_cbranch_execz .LBB6_1046
; %bb.1039:                             ;   in Loop: Header=BB6_128 Depth=2
	v_bfe_u32 v4, v3, 23, 8
	v_and_b32_e32 v3, 0x7fffff, v3
	s_mov_b32 s44, exec_lo
	s_delay_alu instid0(VALU_DEP_2) | instskip(NEXT) | instid1(VALU_DEP_2)
	v_cmp_gt_u32_e32 vcc_lo, 0x7a, v4
	v_or_b32_e32 v8, 0x800000, v3
	v_sub_nc_u32_e32 v5, 0x79, v4
	s_delay_alu instid0(VALU_DEP_1) | instskip(SKIP_1) | instid1(VALU_DEP_2)
	v_cndmask_b32_e32 v5, 0, v5, vcc_lo
	v_cmp_eq_u32_e32 vcc_lo, 0, v4
	v_cndmask_b32_e64 v5, v5, 0x78, vcc_lo
	s_delay_alu instid0(VALU_DEP_1) | instskip(SKIP_1) | instid1(VALU_DEP_2)
	v_dual_cndmask_b32 v54, v8, v3, vcc_lo :: v_dual_add_nc_u32 v6, 20, v5
	v_add_nc_u32_e32 v9, 19, v5
	v_lshrrev_b64 v[14:15], v5, v[54:55]
	s_delay_alu instid0(VALU_DEP_3) | instskip(NEXT) | instid1(VALU_DEP_3)
	v_lshlrev_b64_e64 v[6:7], v6, -1
	v_lshlrev_b64_e64 v[8:9], v9, 1
	s_delay_alu instid0(VALU_DEP_3) | instskip(NEXT) | instid1(VALU_DEP_3)
	v_mov_b64_e32 v[16:17], v[14:15]
	v_bfi_b32 v7, v7, 0, 0
	s_delay_alu instid0(VALU_DEP_4) | instskip(NEXT) | instid1(VALU_DEP_1)
	v_bfi_b32 v6, v6, 0, v54
	v_cmpx_eq_u64_e64 v[6:7], v[8:9]
; %bb.1040:                             ;   in Loop: Header=BB6_128 Depth=2
	v_bfe_u32 v54, v14, 20, 1
	s_delay_alu instid0(VALU_DEP_1) | instskip(NEXT) | instid1(VALU_DEP_1)
	v_add_nc_u64_e32 v[6:7], v[14:15], v[54:55]
	v_add_nc_u64_e32 v[16:17], -1, v[6:7]
; %bb.1041:                             ;   in Loop: Header=BB6_128 Depth=2
	s_or_b32 exec_lo, exec_lo, s44
	v_add_nc_u32_e32 v3, 0xffffff81, v4
	v_lshrrev_b32_e32 v4, 23, v14
	s_mov_b32 s10, exec_lo
	s_delay_alu instid0(VALU_DEP_2) | instskip(NEXT) | instid1(VALU_DEP_1)
	v_cndmask_b32_e64 v3, v3, 0xffffff82, vcc_lo
	v_add3_u32 v4, v5, v3, v4
	v_and_b32_e32 v3, 0xfffff, v16
	s_delay_alu instid0(VALU_DEP_1) | instskip(NEXT) | instid1(VALU_DEP_1)
	v_dual_add_nc_u32 v5, 6, v4 :: v_dual_add_nc_u32 v54, v3, v14
                                        ; implicit-def: $vgpr14_vgpr15
                                        ; implicit-def: $vgpr3
	v_cmpx_ne_u32_e32 0, v5
	s_xor_b32 s10, exec_lo, s10
; %bb.1042:                             ;   in Loop: Header=BB6_128 Depth=2
	s_delay_alu instid0(VALU_DEP_2) | instskip(SKIP_2) | instid1(VALU_DEP_2)
	v_cmp_lt_u64_e32 vcc_lo, 0xffffff, v[54:55]
	v_add_nc_u32_e32 v3, 7, v4
	v_cndmask_b32_e64 v4, 0, 1, vcc_lo
	v_cndmask_b32_e32 v3, v5, v3, vcc_lo
	s_delay_alu instid0(VALU_DEP_2)
	v_lshrrev_b64 v[14:15], v4, v[54:55]
; %bb.1043:                             ;   in Loop: Header=BB6_128 Depth=2
	s_and_not1_saveexec_b32 s10, s10
; %bb.1044:                             ;   in Loop: Header=BB6_128 Depth=2
	v_mov_b64_e32 v[14:15], v[54:55]
	v_bfe_u32 v3, v54, 23, 1
; %bb.1045:                             ;   in Loop: Header=BB6_128 Depth=2
	s_or_b32 exec_lo, exec_lo, s10
	s_delay_alu instid0(VALU_DEP_2) | instskip(NEXT) | instid1(VALU_DEP_2)
	v_lshrrev_b64 v[4:5], 20, v[14:15]
	v_cmp_gt_i32_e32 vcc_lo, 16, v3
	v_min_i32_e32 v6, 15, v3
	v_cmp_eq_u32_e64 s10, 0, v3
	s_delay_alu instid0(VALU_DEP_2) | instskip(SKIP_1) | instid1(VALU_DEP_2)
	v_dual_cndmask_b32 v5, 0, v5 :: v_dual_lshlrev_b32 v6, 3, v6
	v_cndmask_b32_e32 v4, 7, v4, vcc_lo
	v_and_b32_e32 v6, 0xf8, v6
	s_delay_alu instid0(VALU_DEP_2) | instskip(NEXT) | instid1(VALU_DEP_2)
	v_cmp_eq_u64_e32 vcc_lo, 0, v[4:5]
	v_and_or_b32 v3, v4, 7, v6
	s_and_b32 s10, s10, vcc_lo
	s_delay_alu instid0(VALU_DEP_1) | instid1(SALU_CYCLE_1)
	v_cndmask_b32_e64 v3, v3, 0, s10
	s_delay_alu instid0(VALU_DEP_1)
	v_or_b32_e32 v106, v3, v2
.LBB6_1046:                             ;   in Loop: Header=BB6_128 Depth=2
	s_or_b32 exec_lo, exec_lo, s43
                                        ; implicit-def: $vgpr2
.LBB6_1047:                             ;   in Loop: Header=BB6_128 Depth=2
	s_and_not1_saveexec_b32 s10, s42
; %bb.1048:                             ;   in Loop: Header=BB6_128 Depth=2
	v_or_b32_e32 v106, 0x7e, v2
; %bb.1049:                             ;   in Loop: Header=BB6_128 Depth=2
	s_or_b32 exec_lo, exec_lo, s10
                                        ; implicit-def: $vgpr2
.LBB6_1050:                             ;   in Loop: Header=BB6_128 Depth=2
	s_and_not1_saveexec_b32 s10, s41
; %bb.1051:                             ;   in Loop: Header=BB6_128 Depth=2
	v_or_b32_e32 v106, 0x7f, v2
; %bb.1052:                             ;   in Loop: Header=BB6_128 Depth=2
	s_or_b32 exec_lo, exec_lo, s10
	v_mov_b32_e32 v3, 0
	s_mov_b32 s10, exec_lo
	v_cmpx_lt_u64_e64 s[14:15], v[10:11]
	s_cbranch_execz .LBB6_1060
; %bb.1053:                             ;   in Loop: Header=BB6_128 Depth=2
	v_lshrrev_b32_e32 v2, 24, v11
	v_bfrev_b32_e32 v3, 1
	s_mov_b32 s41, exec_lo
	s_delay_alu instid0(VALU_DEP_2)
	v_cmpx_ne_u32_e32 0x80, v2
	s_cbranch_execz .LBB6_1059
; %bb.1054:                             ;   in Loop: Header=BB6_128 Depth=2
	v_bfe_u32 v4, v11, 24, 7
	v_mov_b32_e32 v3, 0x7f800001
	s_mov_b32 s42, exec_lo
	s_delay_alu instid0(VALU_DEP_2)
	v_cmpx_ne_u32_e32 0x7f, v4
	s_cbranch_execz .LBB6_1058
; %bb.1055:                             ;   in Loop: Header=BB6_128 Depth=2
	v_dual_lshrrev_b32 v3, 3, v4 :: v_dual_bitop2_b32 v54, 7, v2 bitop3:0x40
	s_mov_b32 s43, exec_lo
	s_delay_alu instid0(VALU_DEP_1)
	v_mov_b64_e32 v[10:11], v[54:55]
	v_cmpx_gt_u32_e32 8, v4
; %bb.1056:                             ;   in Loop: Header=BB6_128 Depth=2
	v_clz_i32_u32_e32 v3, v54
	s_delay_alu instid0(VALU_DEP_1) | instskip(NEXT) | instid1(VALU_DEP_1)
	v_min_u32_e32 v3, 32, v3
	v_subrev_nc_u32_e32 v4, 28, v3
	s_delay_alu instid0(VALU_DEP_1) | instskip(NEXT) | instid1(VALU_DEP_1)
	v_lshlrev_b64_e32 v[4:5], v4, v[54:55]
	v_dual_sub_nc_u32 v3, 29, v3 :: v_dual_bitop2_b32 v10, 7, v4 bitop3:0x40
; %bb.1057:                             ;   in Loop: Header=BB6_128 Depth=2
	s_or_b32 exec_lo, exec_lo, s43
	v_lshlrev_b32_e32 v2, 24, v2
	s_delay_alu instid0(VALU_DEP_2) | instskip(NEXT) | instid1(VALU_DEP_3)
	v_lshlrev_b32_e32 v4, 20, v10
	v_lshl_add_u32 v3, v3, 23, 0x3c000000
	s_delay_alu instid0(VALU_DEP_3) | instskip(NEXT) | instid1(VALU_DEP_1)
	v_and_b32_e32 v2, 0x80000000, v2
	v_or3_b32 v3, v4, v2, v3
.LBB6_1058:                             ;   in Loop: Header=BB6_128 Depth=2
	s_or_b32 exec_lo, exec_lo, s42
.LBB6_1059:                             ;   in Loop: Header=BB6_128 Depth=2
	s_delay_alu instid0(SALU_CYCLE_1)
	s_or_b32 exec_lo, exec_lo, s41
.LBB6_1060:                             ;   in Loop: Header=BB6_128 Depth=2
	s_delay_alu instid0(SALU_CYCLE_1) | instskip(NEXT) | instid1(VALU_DEP_1)
	s_or_b32 exec_lo, exec_lo, s10
	v_mul_f32_e32 v3, s40, v3
                                        ; implicit-def: $vgpr109
	s_mov_b32 s10, exec_lo
	s_delay_alu instid0(VALU_DEP_1) | instskip(SKIP_1) | instid1(VALU_DEP_2)
	v_and_b32_e32 v54, 0x7f800000, v3
	v_lshrrev_b32_e32 v2, 24, v3
	v_cmpx_ne_u64_e32 0x7f800000, v[54:55]
	s_xor_b32 s41, exec_lo, s10
	s_cbranch_execz .LBB6_1074
; %bb.1061:                             ;   in Loop: Header=BB6_128 Depth=2
	v_and_b32_e32 v54, 0x7fffffff, v3
	v_and_b32_e32 v2, 0x80, v2
                                        ; implicit-def: $vgpr109
	s_mov_b32 s10, exec_lo
	s_delay_alu instid0(VALU_DEP_2)
	v_cmpx_gt_u64_e32 0x43e00001, v[54:55]
	s_xor_b32 s42, exec_lo, s10
	s_cbranch_execz .LBB6_1071
; %bb.1062:                             ;   in Loop: Header=BB6_128 Depth=2
	v_mov_b32_e32 v109, 0
	s_mov_b32 s43, exec_lo
	v_cmpx_ne_u32_e32 0, v3
	s_cbranch_execz .LBB6_1070
; %bb.1063:                             ;   in Loop: Header=BB6_128 Depth=2
	v_bfe_u32 v4, v3, 23, 8
	v_and_b32_e32 v3, 0x7fffff, v3
	s_mov_b32 s44, exec_lo
	s_delay_alu instid0(VALU_DEP_2) | instskip(NEXT) | instid1(VALU_DEP_2)
	v_cmp_gt_u32_e32 vcc_lo, 0x7a, v4
	v_or_b32_e32 v8, 0x800000, v3
	v_sub_nc_u32_e32 v5, 0x79, v4
	s_delay_alu instid0(VALU_DEP_1) | instskip(SKIP_1) | instid1(VALU_DEP_2)
	v_cndmask_b32_e32 v5, 0, v5, vcc_lo
	v_cmp_eq_u32_e32 vcc_lo, 0, v4
	v_cndmask_b32_e64 v5, v5, 0x78, vcc_lo
	s_delay_alu instid0(VALU_DEP_1) | instskip(SKIP_1) | instid1(VALU_DEP_2)
	v_dual_cndmask_b32 v54, v8, v3, vcc_lo :: v_dual_add_nc_u32 v6, 20, v5
	v_add_nc_u32_e32 v9, 19, v5
	v_lshrrev_b64 v[10:11], v5, v[54:55]
	s_delay_alu instid0(VALU_DEP_3) | instskip(NEXT) | instid1(VALU_DEP_3)
	v_lshlrev_b64_e64 v[6:7], v6, -1
	v_lshlrev_b64_e64 v[8:9], v9, 1
	s_delay_alu instid0(VALU_DEP_3) | instskip(NEXT) | instid1(VALU_DEP_3)
	v_mov_b64_e32 v[14:15], v[10:11]
	v_bfi_b32 v7, v7, 0, 0
	s_delay_alu instid0(VALU_DEP_4) | instskip(NEXT) | instid1(VALU_DEP_1)
	v_bfi_b32 v6, v6, 0, v54
	v_cmpx_eq_u64_e64 v[6:7], v[8:9]
; %bb.1064:                             ;   in Loop: Header=BB6_128 Depth=2
	v_bfe_u32 v54, v10, 20, 1
	s_delay_alu instid0(VALU_DEP_1) | instskip(NEXT) | instid1(VALU_DEP_1)
	v_add_nc_u64_e32 v[6:7], v[10:11], v[54:55]
	v_add_nc_u64_e32 v[14:15], -1, v[6:7]
; %bb.1065:                             ;   in Loop: Header=BB6_128 Depth=2
	s_or_b32 exec_lo, exec_lo, s44
	v_add_nc_u32_e32 v3, 0xffffff81, v4
	v_lshrrev_b32_e32 v4, 23, v10
	s_mov_b32 s10, exec_lo
	s_delay_alu instid0(VALU_DEP_2) | instskip(NEXT) | instid1(VALU_DEP_1)
	v_cndmask_b32_e64 v3, v3, 0xffffff82, vcc_lo
	v_add3_u32 v4, v5, v3, v4
	v_and_b32_e32 v3, 0xfffff, v14
	s_delay_alu instid0(VALU_DEP_1) | instskip(NEXT) | instid1(VALU_DEP_1)
	v_dual_add_nc_u32 v5, 6, v4 :: v_dual_add_nc_u32 v54, v3, v10
                                        ; implicit-def: $vgpr10_vgpr11
                                        ; implicit-def: $vgpr3
	v_cmpx_ne_u32_e32 0, v5
	s_xor_b32 s10, exec_lo, s10
; %bb.1066:                             ;   in Loop: Header=BB6_128 Depth=2
	s_delay_alu instid0(VALU_DEP_2) | instskip(SKIP_2) | instid1(VALU_DEP_2)
	v_cmp_lt_u64_e32 vcc_lo, 0xffffff, v[54:55]
	v_add_nc_u32_e32 v3, 7, v4
	v_cndmask_b32_e64 v4, 0, 1, vcc_lo
	v_cndmask_b32_e32 v3, v5, v3, vcc_lo
	s_delay_alu instid0(VALU_DEP_2)
	v_lshrrev_b64 v[10:11], v4, v[54:55]
; %bb.1067:                             ;   in Loop: Header=BB6_128 Depth=2
	s_and_not1_saveexec_b32 s10, s10
; %bb.1068:                             ;   in Loop: Header=BB6_128 Depth=2
	v_mov_b64_e32 v[10:11], v[54:55]
	v_bfe_u32 v3, v54, 23, 1
; %bb.1069:                             ;   in Loop: Header=BB6_128 Depth=2
	s_or_b32 exec_lo, exec_lo, s10
	s_delay_alu instid0(VALU_DEP_2) | instskip(NEXT) | instid1(VALU_DEP_2)
	v_lshrrev_b64 v[4:5], 20, v[10:11]
	v_cmp_gt_i32_e32 vcc_lo, 16, v3
	v_min_i32_e32 v6, 15, v3
	v_cmp_eq_u32_e64 s10, 0, v3
	s_delay_alu instid0(VALU_DEP_2) | instskip(SKIP_1) | instid1(VALU_DEP_2)
	v_dual_cndmask_b32 v5, 0, v5 :: v_dual_lshlrev_b32 v6, 3, v6
	v_cndmask_b32_e32 v4, 7, v4, vcc_lo
	v_and_b32_e32 v6, 0xf8, v6
	s_delay_alu instid0(VALU_DEP_2) | instskip(NEXT) | instid1(VALU_DEP_2)
	v_cmp_eq_u64_e32 vcc_lo, 0, v[4:5]
	v_and_or_b32 v3, v4, 7, v6
	s_and_b32 s10, s10, vcc_lo
	s_delay_alu instid0(VALU_DEP_1) | instid1(SALU_CYCLE_1)
	v_cndmask_b32_e64 v3, v3, 0, s10
	s_delay_alu instid0(VALU_DEP_1)
	v_or_b32_e32 v109, v3, v2
.LBB6_1070:                             ;   in Loop: Header=BB6_128 Depth=2
	s_or_b32 exec_lo, exec_lo, s43
                                        ; implicit-def: $vgpr2
.LBB6_1071:                             ;   in Loop: Header=BB6_128 Depth=2
	s_and_not1_saveexec_b32 s10, s42
; %bb.1072:                             ;   in Loop: Header=BB6_128 Depth=2
	v_or_b32_e32 v109, 0x7e, v2
; %bb.1073:                             ;   in Loop: Header=BB6_128 Depth=2
	s_or_b32 exec_lo, exec_lo, s10
                                        ; implicit-def: $vgpr2
.LBB6_1074:                             ;   in Loop: Header=BB6_128 Depth=2
	s_and_not1_saveexec_b32 s10, s41
; %bb.1075:                             ;   in Loop: Header=BB6_128 Depth=2
	v_or_b32_e32 v109, 0x7f, v2
; %bb.1076:                             ;   in Loop: Header=BB6_128 Depth=2
	s_or_b32 exec_lo, exec_lo, s10
	v_and_b32_e32 v3, 0xff, v12
	v_mov_b32_e32 v2, 0
	s_mov_b32 s10, exec_lo
	s_delay_alu instid0(VALU_DEP_2)
	v_cmpx_ne_u16_e32 0, v3
	s_cbranch_execz .LBB6_1082
; %bb.1077:                             ;   in Loop: Header=BB6_128 Depth=2
	v_bfrev_b32_e32 v2, 1
	s_mov_b32 s41, exec_lo
	v_cmpx_ne_u16_e32 0x80, v3
	s_cbranch_execz .LBB6_1081
; %bb.1078:                             ;   in Loop: Header=BB6_128 Depth=2
	v_and_b32_e32 v3, 0x7f, v12
	v_mov_b32_e32 v2, 0x7f800001
	s_mov_b32 s42, exec_lo
	s_delay_alu instid0(VALU_DEP_2)
	v_cmpx_ne_u32_e32 0x7f, v3
	s_cbranch_execz .LBB6_1080
; %bb.1079:                             ;   in Loop: Header=BB6_128 Depth=2
	v_dual_lshrrev_b32 v4, 3, v3 :: v_dual_bitop2_b32 v2, 7, v12 bitop3:0x40
	v_cmp_gt_u32_e32 vcc_lo, 8, v3
	s_delay_alu instid0(VALU_DEP_2) | instskip(NEXT) | instid1(VALU_DEP_1)
	v_clz_i32_u32_e32 v2, v2
	v_min_u32_e32 v2, 32, v2
	s_delay_alu instid0(VALU_DEP_1) | instskip(SKIP_1) | instid1(VALU_DEP_1)
	v_subrev_nc_u32_e32 v5, 28, v2
	v_sub_nc_u32_e32 v2, 29, v2
	v_dual_cndmask_b32 v4, v4, v2, vcc_lo :: v_dual_cndmask_b32 v2, 0, v5, vcc_lo
	s_delay_alu instid0(VALU_DEP_1) | instskip(NEXT) | instid1(VALU_DEP_2)
	v_lshl_add_u32 v4, v4, 23, 0x3c000000
	v_lshlrev_b64_e32 v[2:3], v2, v[12:13]
	v_lshlrev_b32_e32 v3, 24, v12
	s_delay_alu instid0(VALU_DEP_1) | instskip(NEXT) | instid1(VALU_DEP_3)
	v_and_b32_e32 v3, 0x80000000, v3
	v_lshlrev_b32_e32 v2, 20, v2
	s_delay_alu instid0(VALU_DEP_1) | instskip(NEXT) | instid1(VALU_DEP_1)
	v_and_b32_e32 v2, 0x700000, v2
	v_or3_b32 v2, v2, v3, v4
.LBB6_1080:                             ;   in Loop: Header=BB6_128 Depth=2
	s_or_b32 exec_lo, exec_lo, s42
.LBB6_1081:                             ;   in Loop: Header=BB6_128 Depth=2
	s_delay_alu instid0(SALU_CYCLE_1)
	s_or_b32 exec_lo, exec_lo, s41
.LBB6_1082:                             ;   in Loop: Header=BB6_128 Depth=2
	s_delay_alu instid0(SALU_CYCLE_1) | instskip(NEXT) | instid1(VALU_DEP_1)
	s_or_b32 exec_lo, exec_lo, s10
	v_mul_f32_e32 v3, s40, v2
                                        ; implicit-def: $vgpr92
	s_mov_b32 s10, exec_lo
	s_delay_alu instid0(VALU_DEP_1) | instskip(SKIP_1) | instid1(VALU_DEP_2)
	v_and_b32_e32 v54, 0x7f800000, v3
	v_lshrrev_b32_e32 v2, 24, v3
	v_cmpx_ne_u64_e32 0x7f800000, v[54:55]
	s_xor_b32 s41, exec_lo, s10
	s_cbranch_execz .LBB6_1096
; %bb.1083:                             ;   in Loop: Header=BB6_128 Depth=2
	v_and_b32_e32 v54, 0x7fffffff, v3
	v_and_b32_e32 v2, 0x80, v2
                                        ; implicit-def: $vgpr92
	s_mov_b32 s10, exec_lo
	s_delay_alu instid0(VALU_DEP_2)
	v_cmpx_gt_u64_e32 0x43e00001, v[54:55]
	s_xor_b32 s42, exec_lo, s10
	s_cbranch_execz .LBB6_1093
; %bb.1084:                             ;   in Loop: Header=BB6_128 Depth=2
	v_mov_b32_e32 v92, 0
	s_mov_b32 s43, exec_lo
	v_cmpx_ne_u32_e32 0, v3
	s_cbranch_execz .LBB6_1092
; %bb.1085:                             ;   in Loop: Header=BB6_128 Depth=2
	v_bfe_u32 v4, v3, 23, 8
	v_and_b32_e32 v3, 0x7fffff, v3
	s_mov_b32 s44, exec_lo
	s_delay_alu instid0(VALU_DEP_2) | instskip(NEXT) | instid1(VALU_DEP_2)
	v_cmp_gt_u32_e32 vcc_lo, 0x7a, v4
	v_or_b32_e32 v8, 0x800000, v3
	v_sub_nc_u32_e32 v5, 0x79, v4
	s_delay_alu instid0(VALU_DEP_1) | instskip(SKIP_1) | instid1(VALU_DEP_2)
	v_cndmask_b32_e32 v5, 0, v5, vcc_lo
	v_cmp_eq_u32_e32 vcc_lo, 0, v4
	v_cndmask_b32_e64 v5, v5, 0x78, vcc_lo
	s_delay_alu instid0(VALU_DEP_1) | instskip(SKIP_1) | instid1(VALU_DEP_2)
	v_dual_cndmask_b32 v54, v8, v3, vcc_lo :: v_dual_add_nc_u32 v6, 20, v5
	v_add_nc_u32_e32 v9, 19, v5
	v_lshrrev_b64 v[10:11], v5, v[54:55]
	s_delay_alu instid0(VALU_DEP_3) | instskip(NEXT) | instid1(VALU_DEP_3)
	v_lshlrev_b64_e64 v[6:7], v6, -1
	v_lshlrev_b64_e64 v[8:9], v9, 1
	s_delay_alu instid0(VALU_DEP_3) | instskip(NEXT) | instid1(VALU_DEP_3)
	v_mov_b64_e32 v[14:15], v[10:11]
	v_bfi_b32 v7, v7, 0, 0
	s_delay_alu instid0(VALU_DEP_4) | instskip(NEXT) | instid1(VALU_DEP_1)
	v_bfi_b32 v6, v6, 0, v54
	v_cmpx_eq_u64_e64 v[6:7], v[8:9]
; %bb.1086:                             ;   in Loop: Header=BB6_128 Depth=2
	v_bfe_u32 v54, v10, 20, 1
	s_delay_alu instid0(VALU_DEP_1) | instskip(NEXT) | instid1(VALU_DEP_1)
	v_add_nc_u64_e32 v[6:7], v[10:11], v[54:55]
	v_add_nc_u64_e32 v[14:15], -1, v[6:7]
; %bb.1087:                             ;   in Loop: Header=BB6_128 Depth=2
	s_or_b32 exec_lo, exec_lo, s44
	v_add_nc_u32_e32 v3, 0xffffff81, v4
	v_lshrrev_b32_e32 v4, 23, v10
	s_mov_b32 s10, exec_lo
	s_delay_alu instid0(VALU_DEP_2) | instskip(NEXT) | instid1(VALU_DEP_1)
	v_cndmask_b32_e64 v3, v3, 0xffffff82, vcc_lo
	v_add3_u32 v4, v5, v3, v4
	v_and_b32_e32 v3, 0xfffff, v14
	s_delay_alu instid0(VALU_DEP_1) | instskip(NEXT) | instid1(VALU_DEP_1)
	v_dual_add_nc_u32 v5, 6, v4 :: v_dual_add_nc_u32 v54, v3, v10
                                        ; implicit-def: $vgpr10_vgpr11
                                        ; implicit-def: $vgpr3
	v_cmpx_ne_u32_e32 0, v5
	s_xor_b32 s10, exec_lo, s10
; %bb.1088:                             ;   in Loop: Header=BB6_128 Depth=2
	s_delay_alu instid0(VALU_DEP_2) | instskip(SKIP_2) | instid1(VALU_DEP_2)
	v_cmp_lt_u64_e32 vcc_lo, 0xffffff, v[54:55]
	v_add_nc_u32_e32 v3, 7, v4
	v_cndmask_b32_e64 v4, 0, 1, vcc_lo
	v_cndmask_b32_e32 v3, v5, v3, vcc_lo
	s_delay_alu instid0(VALU_DEP_2)
	v_lshrrev_b64 v[10:11], v4, v[54:55]
; %bb.1089:                             ;   in Loop: Header=BB6_128 Depth=2
	s_and_not1_saveexec_b32 s10, s10
; %bb.1090:                             ;   in Loop: Header=BB6_128 Depth=2
	v_mov_b64_e32 v[10:11], v[54:55]
	v_bfe_u32 v3, v54, 23, 1
; %bb.1091:                             ;   in Loop: Header=BB6_128 Depth=2
	s_or_b32 exec_lo, exec_lo, s10
	s_delay_alu instid0(VALU_DEP_2) | instskip(NEXT) | instid1(VALU_DEP_2)
	v_lshrrev_b64 v[4:5], 20, v[10:11]
	v_cmp_gt_i32_e32 vcc_lo, 16, v3
	v_min_i32_e32 v6, 15, v3
	v_cmp_eq_u32_e64 s10, 0, v3
	s_delay_alu instid0(VALU_DEP_2) | instskip(SKIP_1) | instid1(VALU_DEP_2)
	v_dual_cndmask_b32 v5, 0, v5 :: v_dual_lshlrev_b32 v6, 3, v6
	v_cndmask_b32_e32 v4, 7, v4, vcc_lo
	v_and_b32_e32 v6, 0xf8, v6
	s_delay_alu instid0(VALU_DEP_2) | instskip(NEXT) | instid1(VALU_DEP_2)
	v_cmp_eq_u64_e32 vcc_lo, 0, v[4:5]
	v_and_or_b32 v3, v4, 7, v6
	s_and_b32 s10, s10, vcc_lo
	s_delay_alu instid0(VALU_DEP_1) | instid1(SALU_CYCLE_1)
	v_cndmask_b32_e64 v3, v3, 0, s10
	s_delay_alu instid0(VALU_DEP_1)
	v_or_b32_e32 v92, v3, v2
.LBB6_1092:                             ;   in Loop: Header=BB6_128 Depth=2
	s_or_b32 exec_lo, exec_lo, s43
                                        ; implicit-def: $vgpr2
.LBB6_1093:                             ;   in Loop: Header=BB6_128 Depth=2
	s_and_not1_saveexec_b32 s10, s42
; %bb.1094:                             ;   in Loop: Header=BB6_128 Depth=2
	v_or_b32_e32 v92, 0x7e, v2
; %bb.1095:                             ;   in Loop: Header=BB6_128 Depth=2
	s_or_b32 exec_lo, exec_lo, s10
                                        ; implicit-def: $vgpr2
.LBB6_1096:                             ;   in Loop: Header=BB6_128 Depth=2
	s_and_not1_saveexec_b32 s10, s41
; %bb.1097:                             ;   in Loop: Header=BB6_128 Depth=2
	v_or_b32_e32 v92, 0x7f, v2
; %bb.1098:                             ;   in Loop: Header=BB6_128 Depth=2
	s_or_b32 exec_lo, exec_lo, s10
	v_lshrrev_b16 v3, 8, v12
	v_mov_b32_e32 v2, 0
	s_mov_b32 s10, exec_lo
	s_delay_alu instid0(VALU_DEP_2)
	v_cmpx_ne_u16_e32 0, v3
	s_cbranch_execz .LBB6_1106
; %bb.1099:                             ;   in Loop: Header=BB6_128 Depth=2
	v_bfrev_b32_e32 v2, 1
	s_mov_b32 s41, exec_lo
	v_cmpx_ne_u16_e32 0x80, v3
	s_cbranch_execz .LBB6_1105
; %bb.1100:                             ;   in Loop: Header=BB6_128 Depth=2
	v_and_b32_e32 v4, 0xffff, v3
	v_mov_b32_e32 v2, 0x7f800001
	s_mov_b32 s42, exec_lo
	s_delay_alu instid0(VALU_DEP_2) | instskip(NEXT) | instid1(VALU_DEP_1)
	v_and_b32_e32 v3, 0x7f, v4
	v_cmpx_ne_u32_e32 0x7f, v3
	s_cbranch_execz .LBB6_1104
; %bb.1101:                             ;   in Loop: Header=BB6_128 Depth=2
	v_dual_lshrrev_b32 v2, 3, v3 :: v_dual_bitop2_b32 v54, 7, v4 bitop3:0x40
	s_mov_b32 s43, exec_lo
	s_delay_alu instid0(VALU_DEP_1)
	v_mov_b64_e32 v[10:11], v[54:55]
	v_cmpx_gt_u32_e32 8, v3
; %bb.1102:                             ;   in Loop: Header=BB6_128 Depth=2
	v_clz_i32_u32_e32 v2, v54
	s_delay_alu instid0(VALU_DEP_1) | instskip(NEXT) | instid1(VALU_DEP_1)
	v_min_u32_e32 v2, 32, v2
	v_subrev_nc_u32_e32 v3, 28, v2
	s_delay_alu instid0(VALU_DEP_1) | instskip(NEXT) | instid1(VALU_DEP_1)
	v_lshlrev_b64_e32 v[4:5], v3, v[54:55]
	v_dual_sub_nc_u32 v2, 29, v2 :: v_dual_bitop2_b32 v10, 7, v4 bitop3:0x40
; %bb.1103:                             ;   in Loop: Header=BB6_128 Depth=2
	s_or_b32 exec_lo, exec_lo, s43
	s_delay_alu instid0(VALU_DEP_1) | instskip(NEXT) | instid1(VALU_DEP_2)
	v_dual_lshlrev_b32 v3, 16, v12 :: v_dual_lshlrev_b32 v4, 20, v10
	v_lshl_add_u32 v2, v2, 23, 0x3c000000
	s_delay_alu instid0(VALU_DEP_2) | instskip(NEXT) | instid1(VALU_DEP_1)
	v_and_b32_e32 v3, 0x80000000, v3
	v_or3_b32 v2, v4, v3, v2
.LBB6_1104:                             ;   in Loop: Header=BB6_128 Depth=2
	s_or_b32 exec_lo, exec_lo, s42
.LBB6_1105:                             ;   in Loop: Header=BB6_128 Depth=2
	s_delay_alu instid0(SALU_CYCLE_1)
	s_or_b32 exec_lo, exec_lo, s41
.LBB6_1106:                             ;   in Loop: Header=BB6_128 Depth=2
	s_delay_alu instid0(SALU_CYCLE_1) | instskip(NEXT) | instid1(VALU_DEP_1)
	s_or_b32 exec_lo, exec_lo, s10
	v_mul_f32_e32 v3, s40, v2
                                        ; implicit-def: $vgpr94
	s_mov_b32 s10, exec_lo
	s_delay_alu instid0(VALU_DEP_1) | instskip(SKIP_1) | instid1(VALU_DEP_2)
	v_and_b32_e32 v54, 0x7f800000, v3
	v_lshrrev_b32_e32 v2, 24, v3
	v_cmpx_ne_u64_e32 0x7f800000, v[54:55]
	s_xor_b32 s41, exec_lo, s10
	s_cbranch_execz .LBB6_1120
; %bb.1107:                             ;   in Loop: Header=BB6_128 Depth=2
	v_and_b32_e32 v54, 0x7fffffff, v3
	v_and_b32_e32 v2, 0x80, v2
                                        ; implicit-def: $vgpr94
	s_mov_b32 s10, exec_lo
	s_delay_alu instid0(VALU_DEP_2)
	v_cmpx_gt_u64_e32 0x43e00001, v[54:55]
	s_xor_b32 s42, exec_lo, s10
	s_cbranch_execz .LBB6_1117
; %bb.1108:                             ;   in Loop: Header=BB6_128 Depth=2
	v_mov_b32_e32 v94, 0
	s_mov_b32 s43, exec_lo
	v_cmpx_ne_u32_e32 0, v3
	s_cbranch_execz .LBB6_1116
; %bb.1109:                             ;   in Loop: Header=BB6_128 Depth=2
	v_bfe_u32 v4, v3, 23, 8
	v_and_b32_e32 v3, 0x7fffff, v3
	s_mov_b32 s44, exec_lo
	s_delay_alu instid0(VALU_DEP_2) | instskip(NEXT) | instid1(VALU_DEP_2)
	v_cmp_gt_u32_e32 vcc_lo, 0x7a, v4
	v_or_b32_e32 v8, 0x800000, v3
	v_sub_nc_u32_e32 v5, 0x79, v4
	s_delay_alu instid0(VALU_DEP_1) | instskip(SKIP_1) | instid1(VALU_DEP_2)
	v_cndmask_b32_e32 v5, 0, v5, vcc_lo
	v_cmp_eq_u32_e32 vcc_lo, 0, v4
	v_cndmask_b32_e64 v5, v5, 0x78, vcc_lo
	s_delay_alu instid0(VALU_DEP_1) | instskip(SKIP_1) | instid1(VALU_DEP_2)
	v_dual_cndmask_b32 v54, v8, v3, vcc_lo :: v_dual_add_nc_u32 v6, 20, v5
	v_add_nc_u32_e32 v9, 19, v5
	v_lshrrev_b64 v[10:11], v5, v[54:55]
	s_delay_alu instid0(VALU_DEP_3) | instskip(NEXT) | instid1(VALU_DEP_3)
	v_lshlrev_b64_e64 v[6:7], v6, -1
	v_lshlrev_b64_e64 v[8:9], v9, 1
	s_delay_alu instid0(VALU_DEP_3) | instskip(NEXT) | instid1(VALU_DEP_3)
	v_mov_b64_e32 v[14:15], v[10:11]
	v_bfi_b32 v7, v7, 0, 0
	s_delay_alu instid0(VALU_DEP_4) | instskip(NEXT) | instid1(VALU_DEP_1)
	v_bfi_b32 v6, v6, 0, v54
	v_cmpx_eq_u64_e64 v[6:7], v[8:9]
; %bb.1110:                             ;   in Loop: Header=BB6_128 Depth=2
	v_bfe_u32 v54, v10, 20, 1
	s_delay_alu instid0(VALU_DEP_1) | instskip(NEXT) | instid1(VALU_DEP_1)
	v_add_nc_u64_e32 v[6:7], v[10:11], v[54:55]
	v_add_nc_u64_e32 v[14:15], -1, v[6:7]
; %bb.1111:                             ;   in Loop: Header=BB6_128 Depth=2
	s_or_b32 exec_lo, exec_lo, s44
	v_add_nc_u32_e32 v3, 0xffffff81, v4
	v_lshrrev_b32_e32 v4, 23, v10
	s_mov_b32 s10, exec_lo
	s_delay_alu instid0(VALU_DEP_2) | instskip(NEXT) | instid1(VALU_DEP_1)
	v_cndmask_b32_e64 v3, v3, 0xffffff82, vcc_lo
	v_add3_u32 v4, v5, v3, v4
	v_and_b32_e32 v3, 0xfffff, v14
	s_delay_alu instid0(VALU_DEP_1) | instskip(NEXT) | instid1(VALU_DEP_1)
	v_dual_add_nc_u32 v5, 6, v4 :: v_dual_add_nc_u32 v54, v3, v10
                                        ; implicit-def: $vgpr10_vgpr11
                                        ; implicit-def: $vgpr3
	v_cmpx_ne_u32_e32 0, v5
	s_xor_b32 s10, exec_lo, s10
; %bb.1112:                             ;   in Loop: Header=BB6_128 Depth=2
	s_delay_alu instid0(VALU_DEP_2) | instskip(SKIP_2) | instid1(VALU_DEP_2)
	v_cmp_lt_u64_e32 vcc_lo, 0xffffff, v[54:55]
	v_add_nc_u32_e32 v3, 7, v4
	v_cndmask_b32_e64 v4, 0, 1, vcc_lo
	v_cndmask_b32_e32 v3, v5, v3, vcc_lo
	s_delay_alu instid0(VALU_DEP_2)
	v_lshrrev_b64 v[10:11], v4, v[54:55]
; %bb.1113:                             ;   in Loop: Header=BB6_128 Depth=2
	s_and_not1_saveexec_b32 s10, s10
; %bb.1114:                             ;   in Loop: Header=BB6_128 Depth=2
	v_mov_b64_e32 v[10:11], v[54:55]
	v_bfe_u32 v3, v54, 23, 1
; %bb.1115:                             ;   in Loop: Header=BB6_128 Depth=2
	s_or_b32 exec_lo, exec_lo, s10
	s_delay_alu instid0(VALU_DEP_2) | instskip(NEXT) | instid1(VALU_DEP_2)
	v_lshrrev_b64 v[4:5], 20, v[10:11]
	v_cmp_gt_i32_e32 vcc_lo, 16, v3
	v_min_i32_e32 v6, 15, v3
	v_cmp_eq_u32_e64 s10, 0, v3
	s_delay_alu instid0(VALU_DEP_2) | instskip(SKIP_1) | instid1(VALU_DEP_2)
	v_dual_cndmask_b32 v5, 0, v5 :: v_dual_lshlrev_b32 v6, 3, v6
	v_cndmask_b32_e32 v4, 7, v4, vcc_lo
	v_and_b32_e32 v6, 0xf8, v6
	s_delay_alu instid0(VALU_DEP_2) | instskip(NEXT) | instid1(VALU_DEP_2)
	v_cmp_eq_u64_e32 vcc_lo, 0, v[4:5]
	v_and_or_b32 v3, v4, 7, v6
	s_and_b32 s10, s10, vcc_lo
	s_delay_alu instid0(VALU_DEP_1) | instid1(SALU_CYCLE_1)
	v_cndmask_b32_e64 v3, v3, 0, s10
	s_delay_alu instid0(VALU_DEP_1)
	v_or_b32_e32 v94, v3, v2
.LBB6_1116:                             ;   in Loop: Header=BB6_128 Depth=2
	s_or_b32 exec_lo, exec_lo, s43
                                        ; implicit-def: $vgpr2
.LBB6_1117:                             ;   in Loop: Header=BB6_128 Depth=2
	s_and_not1_saveexec_b32 s10, s42
; %bb.1118:                             ;   in Loop: Header=BB6_128 Depth=2
	v_or_b32_e32 v94, 0x7e, v2
; %bb.1119:                             ;   in Loop: Header=BB6_128 Depth=2
	s_or_b32 exec_lo, exec_lo, s10
                                        ; implicit-def: $vgpr2
.LBB6_1120:                             ;   in Loop: Header=BB6_128 Depth=2
	s_and_not1_saveexec_b32 s10, s41
; %bb.1121:                             ;   in Loop: Header=BB6_128 Depth=2
	v_or_b32_e32 v94, 0x7f, v2
; %bb.1122:                             ;   in Loop: Header=BB6_128 Depth=2
	s_or_b32 exec_lo, exec_lo, s10
	v_dual_mov_b32 v3, 0 :: v_dual_lshrrev_b32 v2, 16, v12
	s_mov_b32 s10, exec_lo
	s_delay_alu instid0(VALU_DEP_1) | instskip(NEXT) | instid1(VALU_DEP_1)
	v_and_b32_e32 v4, 0xff, v2
	v_cmpx_ne_u16_e32 0, v4
	s_cbranch_execz .LBB6_1130
; %bb.1123:                             ;   in Loop: Header=BB6_128 Depth=2
	v_bfrev_b32_e32 v3, 1
	s_mov_b32 s41, exec_lo
	v_cmpx_ne_u16_e32 0x80, v4
	s_cbranch_execz .LBB6_1129
; %bb.1124:                             ;   in Loop: Header=BB6_128 Depth=2
	v_bfe_u32 v4, v12, 16, 7
	v_mov_b32_e32 v3, 0x7f800001
	s_mov_b32 s42, exec_lo
	s_delay_alu instid0(VALU_DEP_2)
	v_cmpx_ne_u32_e32 0x7f, v4
	s_cbranch_execz .LBB6_1128
; %bb.1125:                             ;   in Loop: Header=BB6_128 Depth=2
	v_dual_lshrrev_b32 v3, 3, v4 :: v_dual_bitop2_b32 v54, 7, v2 bitop3:0x40
	s_mov_b32 s43, exec_lo
	s_delay_alu instid0(VALU_DEP_1)
	v_mov_b64_e32 v[10:11], v[54:55]
	v_cmpx_gt_u32_e32 8, v4
; %bb.1126:                             ;   in Loop: Header=BB6_128 Depth=2
	v_clz_i32_u32_e32 v3, v54
	s_delay_alu instid0(VALU_DEP_1) | instskip(NEXT) | instid1(VALU_DEP_1)
	v_min_u32_e32 v3, 32, v3
	v_subrev_nc_u32_e32 v4, 28, v3
	s_delay_alu instid0(VALU_DEP_1) | instskip(NEXT) | instid1(VALU_DEP_1)
	v_lshlrev_b64_e32 v[4:5], v4, v[54:55]
	v_dual_sub_nc_u32 v3, 29, v3 :: v_dual_bitop2_b32 v10, 7, v4 bitop3:0x40
; %bb.1127:                             ;   in Loop: Header=BB6_128 Depth=2
	s_or_b32 exec_lo, exec_lo, s43
	v_lshlrev_b32_e32 v2, 24, v2
	s_delay_alu instid0(VALU_DEP_2) | instskip(NEXT) | instid1(VALU_DEP_3)
	v_lshlrev_b32_e32 v4, 20, v10
	v_lshl_add_u32 v3, v3, 23, 0x3c000000
	s_delay_alu instid0(VALU_DEP_3) | instskip(NEXT) | instid1(VALU_DEP_1)
	v_and_b32_e32 v2, 0x80000000, v2
	v_or3_b32 v3, v4, v2, v3
.LBB6_1128:                             ;   in Loop: Header=BB6_128 Depth=2
	s_or_b32 exec_lo, exec_lo, s42
.LBB6_1129:                             ;   in Loop: Header=BB6_128 Depth=2
	s_delay_alu instid0(SALU_CYCLE_1)
	s_or_b32 exec_lo, exec_lo, s41
.LBB6_1130:                             ;   in Loop: Header=BB6_128 Depth=2
	s_delay_alu instid0(SALU_CYCLE_1) | instskip(NEXT) | instid1(VALU_DEP_1)
	s_or_b32 exec_lo, exec_lo, s10
	v_mul_f32_e32 v3, s40, v3
                                        ; implicit-def: $vgpr95
	s_mov_b32 s10, exec_lo
	s_delay_alu instid0(VALU_DEP_1) | instskip(SKIP_1) | instid1(VALU_DEP_2)
	v_and_b32_e32 v54, 0x7f800000, v3
	v_lshrrev_b32_e32 v2, 24, v3
	v_cmpx_ne_u64_e32 0x7f800000, v[54:55]
	s_xor_b32 s41, exec_lo, s10
	s_cbranch_execz .LBB6_1144
; %bb.1131:                             ;   in Loop: Header=BB6_128 Depth=2
	v_and_b32_e32 v54, 0x7fffffff, v3
	v_and_b32_e32 v2, 0x80, v2
                                        ; implicit-def: $vgpr95
	s_mov_b32 s10, exec_lo
	s_delay_alu instid0(VALU_DEP_2)
	v_cmpx_gt_u64_e32 0x43e00001, v[54:55]
	s_xor_b32 s42, exec_lo, s10
	s_cbranch_execz .LBB6_1141
; %bb.1132:                             ;   in Loop: Header=BB6_128 Depth=2
	v_mov_b32_e32 v95, 0
	s_mov_b32 s43, exec_lo
	v_cmpx_ne_u32_e32 0, v3
	s_cbranch_execz .LBB6_1140
; %bb.1133:                             ;   in Loop: Header=BB6_128 Depth=2
	v_bfe_u32 v4, v3, 23, 8
	v_and_b32_e32 v3, 0x7fffff, v3
	s_mov_b32 s44, exec_lo
	s_delay_alu instid0(VALU_DEP_2) | instskip(NEXT) | instid1(VALU_DEP_2)
	v_cmp_gt_u32_e32 vcc_lo, 0x7a, v4
	v_or_b32_e32 v8, 0x800000, v3
	v_sub_nc_u32_e32 v5, 0x79, v4
	s_delay_alu instid0(VALU_DEP_1) | instskip(SKIP_1) | instid1(VALU_DEP_2)
	v_cndmask_b32_e32 v5, 0, v5, vcc_lo
	v_cmp_eq_u32_e32 vcc_lo, 0, v4
	v_cndmask_b32_e64 v5, v5, 0x78, vcc_lo
	s_delay_alu instid0(VALU_DEP_1) | instskip(SKIP_1) | instid1(VALU_DEP_2)
	v_dual_cndmask_b32 v54, v8, v3, vcc_lo :: v_dual_add_nc_u32 v6, 20, v5
	v_add_nc_u32_e32 v9, 19, v5
	v_lshrrev_b64 v[10:11], v5, v[54:55]
	s_delay_alu instid0(VALU_DEP_3) | instskip(NEXT) | instid1(VALU_DEP_3)
	v_lshlrev_b64_e64 v[6:7], v6, -1
	v_lshlrev_b64_e64 v[8:9], v9, 1
	s_delay_alu instid0(VALU_DEP_3) | instskip(NEXT) | instid1(VALU_DEP_3)
	v_mov_b64_e32 v[14:15], v[10:11]
	v_bfi_b32 v7, v7, 0, 0
	s_delay_alu instid0(VALU_DEP_4) | instskip(NEXT) | instid1(VALU_DEP_1)
	v_bfi_b32 v6, v6, 0, v54
	v_cmpx_eq_u64_e64 v[6:7], v[8:9]
; %bb.1134:                             ;   in Loop: Header=BB6_128 Depth=2
	v_bfe_u32 v54, v10, 20, 1
	s_delay_alu instid0(VALU_DEP_1) | instskip(NEXT) | instid1(VALU_DEP_1)
	v_add_nc_u64_e32 v[6:7], v[10:11], v[54:55]
	v_add_nc_u64_e32 v[14:15], -1, v[6:7]
; %bb.1135:                             ;   in Loop: Header=BB6_128 Depth=2
	s_or_b32 exec_lo, exec_lo, s44
	v_add_nc_u32_e32 v3, 0xffffff81, v4
	v_lshrrev_b32_e32 v4, 23, v10
	s_mov_b32 s10, exec_lo
	s_delay_alu instid0(VALU_DEP_2) | instskip(NEXT) | instid1(VALU_DEP_1)
	v_cndmask_b32_e64 v3, v3, 0xffffff82, vcc_lo
	v_add3_u32 v4, v5, v3, v4
	v_and_b32_e32 v3, 0xfffff, v14
	s_delay_alu instid0(VALU_DEP_1) | instskip(NEXT) | instid1(VALU_DEP_1)
	v_dual_add_nc_u32 v5, 6, v4 :: v_dual_add_nc_u32 v54, v3, v10
                                        ; implicit-def: $vgpr10_vgpr11
                                        ; implicit-def: $vgpr3
	v_cmpx_ne_u32_e32 0, v5
	s_xor_b32 s10, exec_lo, s10
; %bb.1136:                             ;   in Loop: Header=BB6_128 Depth=2
	s_delay_alu instid0(VALU_DEP_2) | instskip(SKIP_2) | instid1(VALU_DEP_2)
	v_cmp_lt_u64_e32 vcc_lo, 0xffffff, v[54:55]
	v_add_nc_u32_e32 v3, 7, v4
	v_cndmask_b32_e64 v4, 0, 1, vcc_lo
	v_cndmask_b32_e32 v3, v5, v3, vcc_lo
	s_delay_alu instid0(VALU_DEP_2)
	v_lshrrev_b64 v[10:11], v4, v[54:55]
; %bb.1137:                             ;   in Loop: Header=BB6_128 Depth=2
	s_and_not1_saveexec_b32 s10, s10
; %bb.1138:                             ;   in Loop: Header=BB6_128 Depth=2
	v_mov_b64_e32 v[10:11], v[54:55]
	v_bfe_u32 v3, v54, 23, 1
; %bb.1139:                             ;   in Loop: Header=BB6_128 Depth=2
	s_or_b32 exec_lo, exec_lo, s10
	s_delay_alu instid0(VALU_DEP_2) | instskip(NEXT) | instid1(VALU_DEP_2)
	v_lshrrev_b64 v[4:5], 20, v[10:11]
	v_cmp_gt_i32_e32 vcc_lo, 16, v3
	v_min_i32_e32 v6, 15, v3
	v_cmp_eq_u32_e64 s10, 0, v3
	s_delay_alu instid0(VALU_DEP_2) | instskip(SKIP_1) | instid1(VALU_DEP_2)
	v_dual_cndmask_b32 v5, 0, v5 :: v_dual_lshlrev_b32 v6, 3, v6
	v_cndmask_b32_e32 v4, 7, v4, vcc_lo
	v_and_b32_e32 v6, 0xf8, v6
	s_delay_alu instid0(VALU_DEP_2) | instskip(NEXT) | instid1(VALU_DEP_2)
	v_cmp_eq_u64_e32 vcc_lo, 0, v[4:5]
	v_and_or_b32 v3, v4, 7, v6
	s_and_b32 s10, s10, vcc_lo
	s_delay_alu instid0(VALU_DEP_1) | instid1(SALU_CYCLE_1)
	v_cndmask_b32_e64 v3, v3, 0, s10
	s_delay_alu instid0(VALU_DEP_1)
	v_or_b32_e32 v95, v3, v2
.LBB6_1140:                             ;   in Loop: Header=BB6_128 Depth=2
	s_or_b32 exec_lo, exec_lo, s43
                                        ; implicit-def: $vgpr2
.LBB6_1141:                             ;   in Loop: Header=BB6_128 Depth=2
	s_and_not1_saveexec_b32 s10, s42
; %bb.1142:                             ;   in Loop: Header=BB6_128 Depth=2
	v_or_b32_e32 v95, 0x7e, v2
; %bb.1143:                             ;   in Loop: Header=BB6_128 Depth=2
	s_or_b32 exec_lo, exec_lo, s10
                                        ; implicit-def: $vgpr2
.LBB6_1144:                             ;   in Loop: Header=BB6_128 Depth=2
	s_and_not1_saveexec_b32 s10, s41
; %bb.1145:                             ;   in Loop: Header=BB6_128 Depth=2
	v_or_b32_e32 v95, 0x7f, v2
; %bb.1146:                             ;   in Loop: Header=BB6_128 Depth=2
	s_or_b32 exec_lo, exec_lo, s10
	v_mov_b32_e32 v3, 0
	s_mov_b32 s10, exec_lo
	v_cmpx_lt_u32_e32 0xffffff, v12
	s_cbranch_execz .LBB6_1154
; %bb.1147:                             ;   in Loop: Header=BB6_128 Depth=2
	v_lshrrev_b32_e32 v2, 24, v12
	v_bfrev_b32_e32 v3, 1
	s_mov_b32 s41, exec_lo
	s_delay_alu instid0(VALU_DEP_2)
	v_cmpx_ne_u32_e32 0x80, v2
	s_cbranch_execz .LBB6_1153
; %bb.1148:                             ;   in Loop: Header=BB6_128 Depth=2
	v_bfe_u32 v4, v12, 24, 7
	v_mov_b32_e32 v3, 0x7f800001
	s_mov_b32 s42, exec_lo
	s_delay_alu instid0(VALU_DEP_2)
	v_cmpx_ne_u32_e32 0x7f, v4
	s_cbranch_execz .LBB6_1152
; %bb.1149:                             ;   in Loop: Header=BB6_128 Depth=2
	v_dual_lshrrev_b32 v3, 3, v4 :: v_dual_bitop2_b32 v54, 7, v2 bitop3:0x40
	s_mov_b32 s43, exec_lo
	s_delay_alu instid0(VALU_DEP_1)
	v_mov_b64_e32 v[10:11], v[54:55]
	v_cmpx_gt_u32_e32 8, v4
; %bb.1150:                             ;   in Loop: Header=BB6_128 Depth=2
	v_clz_i32_u32_e32 v3, v54
	s_delay_alu instid0(VALU_DEP_1) | instskip(NEXT) | instid1(VALU_DEP_1)
	v_min_u32_e32 v3, 32, v3
	v_subrev_nc_u32_e32 v4, 28, v3
	s_delay_alu instid0(VALU_DEP_1) | instskip(NEXT) | instid1(VALU_DEP_1)
	v_lshlrev_b64_e32 v[4:5], v4, v[54:55]
	v_dual_sub_nc_u32 v3, 29, v3 :: v_dual_bitop2_b32 v10, 7, v4 bitop3:0x40
; %bb.1151:                             ;   in Loop: Header=BB6_128 Depth=2
	s_or_b32 exec_lo, exec_lo, s43
	v_lshlrev_b32_e32 v2, 24, v2
	s_delay_alu instid0(VALU_DEP_2) | instskip(NEXT) | instid1(VALU_DEP_3)
	v_lshlrev_b32_e32 v4, 20, v10
	v_lshl_add_u32 v3, v3, 23, 0x3c000000
	s_delay_alu instid0(VALU_DEP_3) | instskip(NEXT) | instid1(VALU_DEP_1)
	v_and_b32_e32 v2, 0x80000000, v2
	v_or3_b32 v3, v4, v2, v3
.LBB6_1152:                             ;   in Loop: Header=BB6_128 Depth=2
	s_or_b32 exec_lo, exec_lo, s42
.LBB6_1153:                             ;   in Loop: Header=BB6_128 Depth=2
	s_delay_alu instid0(SALU_CYCLE_1)
	s_or_b32 exec_lo, exec_lo, s41
.LBB6_1154:                             ;   in Loop: Header=BB6_128 Depth=2
	s_delay_alu instid0(SALU_CYCLE_1) | instskip(NEXT) | instid1(VALU_DEP_1)
	s_or_b32 exec_lo, exec_lo, s10
	v_mul_f32_e32 v3, s40, v3
                                        ; implicit-def: $vgpr105
	s_mov_b32 s10, exec_lo
	s_delay_alu instid0(VALU_DEP_1) | instskip(SKIP_1) | instid1(VALU_DEP_2)
	v_and_b32_e32 v54, 0x7f800000, v3
	v_lshrrev_b32_e32 v2, 24, v3
	v_cmpx_ne_u64_e32 0x7f800000, v[54:55]
	s_xor_b32 s41, exec_lo, s10
	s_cbranch_execz .LBB6_1168
; %bb.1155:                             ;   in Loop: Header=BB6_128 Depth=2
	v_and_b32_e32 v54, 0x7fffffff, v3
	v_and_b32_e32 v2, 0x80, v2
                                        ; implicit-def: $vgpr105
	s_mov_b32 s10, exec_lo
	s_delay_alu instid0(VALU_DEP_2)
	v_cmpx_gt_u64_e32 0x43e00001, v[54:55]
	s_xor_b32 s42, exec_lo, s10
	s_cbranch_execz .LBB6_1165
; %bb.1156:                             ;   in Loop: Header=BB6_128 Depth=2
	v_mov_b32_e32 v105, 0
	s_mov_b32 s43, exec_lo
	v_cmpx_ne_u32_e32 0, v3
	s_cbranch_execz .LBB6_1164
; %bb.1157:                             ;   in Loop: Header=BB6_128 Depth=2
	v_bfe_u32 v4, v3, 23, 8
	v_and_b32_e32 v3, 0x7fffff, v3
	s_mov_b32 s44, exec_lo
	s_delay_alu instid0(VALU_DEP_2) | instskip(NEXT) | instid1(VALU_DEP_2)
	v_cmp_gt_u32_e32 vcc_lo, 0x7a, v4
	v_or_b32_e32 v8, 0x800000, v3
	v_sub_nc_u32_e32 v5, 0x79, v4
	s_delay_alu instid0(VALU_DEP_1) | instskip(SKIP_1) | instid1(VALU_DEP_2)
	v_cndmask_b32_e32 v5, 0, v5, vcc_lo
	v_cmp_eq_u32_e32 vcc_lo, 0, v4
	v_cndmask_b32_e64 v5, v5, 0x78, vcc_lo
	s_delay_alu instid0(VALU_DEP_1) | instskip(SKIP_1) | instid1(VALU_DEP_2)
	v_dual_cndmask_b32 v54, v8, v3, vcc_lo :: v_dual_add_nc_u32 v6, 20, v5
	v_add_nc_u32_e32 v9, 19, v5
	v_lshrrev_b64 v[10:11], v5, v[54:55]
	s_delay_alu instid0(VALU_DEP_3) | instskip(NEXT) | instid1(VALU_DEP_3)
	v_lshlrev_b64_e64 v[6:7], v6, -1
	v_lshlrev_b64_e64 v[8:9], v9, 1
	s_delay_alu instid0(VALU_DEP_3) | instskip(NEXT) | instid1(VALU_DEP_3)
	v_mov_b64_e32 v[14:15], v[10:11]
	v_bfi_b32 v7, v7, 0, 0
	s_delay_alu instid0(VALU_DEP_4) | instskip(NEXT) | instid1(VALU_DEP_1)
	v_bfi_b32 v6, v6, 0, v54
	v_cmpx_eq_u64_e64 v[6:7], v[8:9]
; %bb.1158:                             ;   in Loop: Header=BB6_128 Depth=2
	v_bfe_u32 v54, v10, 20, 1
	s_delay_alu instid0(VALU_DEP_1) | instskip(NEXT) | instid1(VALU_DEP_1)
	v_add_nc_u64_e32 v[6:7], v[10:11], v[54:55]
	v_add_nc_u64_e32 v[14:15], -1, v[6:7]
; %bb.1159:                             ;   in Loop: Header=BB6_128 Depth=2
	s_or_b32 exec_lo, exec_lo, s44
	v_add_nc_u32_e32 v3, 0xffffff81, v4
	v_lshrrev_b32_e32 v4, 23, v10
	s_mov_b32 s10, exec_lo
	s_delay_alu instid0(VALU_DEP_2) | instskip(NEXT) | instid1(VALU_DEP_1)
	v_cndmask_b32_e64 v3, v3, 0xffffff82, vcc_lo
	v_add3_u32 v4, v5, v3, v4
	v_and_b32_e32 v3, 0xfffff, v14
	s_delay_alu instid0(VALU_DEP_1) | instskip(NEXT) | instid1(VALU_DEP_1)
	v_dual_add_nc_u32 v5, 6, v4 :: v_dual_add_nc_u32 v54, v3, v10
                                        ; implicit-def: $vgpr10_vgpr11
                                        ; implicit-def: $vgpr3
	v_cmpx_ne_u32_e32 0, v5
	s_xor_b32 s10, exec_lo, s10
; %bb.1160:                             ;   in Loop: Header=BB6_128 Depth=2
	s_delay_alu instid0(VALU_DEP_2) | instskip(SKIP_2) | instid1(VALU_DEP_2)
	v_cmp_lt_u64_e32 vcc_lo, 0xffffff, v[54:55]
	v_add_nc_u32_e32 v3, 7, v4
	v_cndmask_b32_e64 v4, 0, 1, vcc_lo
	v_cndmask_b32_e32 v3, v5, v3, vcc_lo
	s_delay_alu instid0(VALU_DEP_2)
	v_lshrrev_b64 v[10:11], v4, v[54:55]
; %bb.1161:                             ;   in Loop: Header=BB6_128 Depth=2
	s_and_not1_saveexec_b32 s10, s10
; %bb.1162:                             ;   in Loop: Header=BB6_128 Depth=2
	v_mov_b64_e32 v[10:11], v[54:55]
	v_bfe_u32 v3, v54, 23, 1
; %bb.1163:                             ;   in Loop: Header=BB6_128 Depth=2
	s_or_b32 exec_lo, exec_lo, s10
	s_delay_alu instid0(VALU_DEP_2) | instskip(NEXT) | instid1(VALU_DEP_2)
	v_lshrrev_b64 v[4:5], 20, v[10:11]
	v_cmp_gt_i32_e32 vcc_lo, 16, v3
	v_min_i32_e32 v6, 15, v3
	v_cmp_eq_u32_e64 s10, 0, v3
	s_delay_alu instid0(VALU_DEP_2) | instskip(SKIP_1) | instid1(VALU_DEP_2)
	v_dual_cndmask_b32 v5, 0, v5 :: v_dual_lshlrev_b32 v6, 3, v6
	v_cndmask_b32_e32 v4, 7, v4, vcc_lo
	v_and_b32_e32 v6, 0xf8, v6
	s_delay_alu instid0(VALU_DEP_2) | instskip(NEXT) | instid1(VALU_DEP_2)
	v_cmp_eq_u64_e32 vcc_lo, 0, v[4:5]
	v_and_or_b32 v3, v4, 7, v6
	s_and_b32 s10, s10, vcc_lo
	s_delay_alu instid0(VALU_DEP_1) | instid1(SALU_CYCLE_1)
	v_cndmask_b32_e64 v3, v3, 0, s10
	s_delay_alu instid0(VALU_DEP_1)
	v_or_b32_e32 v105, v3, v2
.LBB6_1164:                             ;   in Loop: Header=BB6_128 Depth=2
	s_or_b32 exec_lo, exec_lo, s43
                                        ; implicit-def: $vgpr2
.LBB6_1165:                             ;   in Loop: Header=BB6_128 Depth=2
	s_and_not1_saveexec_b32 s10, s42
; %bb.1166:                             ;   in Loop: Header=BB6_128 Depth=2
	v_or_b32_e32 v105, 0x7e, v2
; %bb.1167:                             ;   in Loop: Header=BB6_128 Depth=2
	s_or_b32 exec_lo, exec_lo, s10
                                        ; implicit-def: $vgpr2
.LBB6_1168:                             ;   in Loop: Header=BB6_128 Depth=2
	s_and_not1_saveexec_b32 s10, s41
; %bb.1169:                             ;   in Loop: Header=BB6_128 Depth=2
	v_or_b32_e32 v105, 0x7f, v2
; %bb.1170:                             ;   in Loop: Header=BB6_128 Depth=2
	s_or_b32 exec_lo, exec_lo, s10
	v_and_b32_e32 v3, 0xff, v13
	v_dual_mov_b32 v54, v13 :: v_dual_mov_b32 v2, 0
	s_mov_b32 s10, exec_lo
	s_delay_alu instid0(VALU_DEP_2)
	v_cmpx_ne_u16_e32 0, v3
	s_cbranch_execz .LBB6_1176
; %bb.1171:                             ;   in Loop: Header=BB6_128 Depth=2
	v_bfrev_b32_e32 v2, 1
	s_mov_b32 s41, exec_lo
	v_cmpx_ne_u16_e32 0x80, v3
	s_cbranch_execz .LBB6_1175
; %bb.1172:                             ;   in Loop: Header=BB6_128 Depth=2
	v_and_b32_e32 v3, 0x7f, v13
	v_mov_b32_e32 v2, 0x7f800001
	s_mov_b32 s42, exec_lo
	s_delay_alu instid0(VALU_DEP_2)
	v_cmpx_ne_u32_e32 0x7f, v3
	s_cbranch_execz .LBB6_1174
; %bb.1173:                             ;   in Loop: Header=BB6_128 Depth=2
	v_dual_lshrrev_b32 v4, 3, v3 :: v_dual_bitop2_b32 v2, 7, v13 bitop3:0x40
	v_cmp_gt_u32_e32 vcc_lo, 8, v3
	s_delay_alu instid0(VALU_DEP_2) | instskip(NEXT) | instid1(VALU_DEP_1)
	v_clz_i32_u32_e32 v2, v2
	v_min_u32_e32 v2, 32, v2
	s_delay_alu instid0(VALU_DEP_1) | instskip(SKIP_1) | instid1(VALU_DEP_1)
	v_subrev_nc_u32_e32 v5, 28, v2
	v_sub_nc_u32_e32 v2, 29, v2
	v_dual_cndmask_b32 v4, v4, v2, vcc_lo :: v_dual_cndmask_b32 v2, 0, v5, vcc_lo
	s_delay_alu instid0(VALU_DEP_1) | instskip(NEXT) | instid1(VALU_DEP_2)
	v_lshl_add_u32 v4, v4, 23, 0x3c000000
	v_lshlrev_b64_e32 v[2:3], v2, v[54:55]
	v_lshlrev_b32_e32 v3, 24, v54
	s_delay_alu instid0(VALU_DEP_1) | instskip(NEXT) | instid1(VALU_DEP_3)
	v_and_b32_e32 v3, 0x80000000, v3
	v_lshlrev_b32_e32 v2, 20, v2
	s_delay_alu instid0(VALU_DEP_1) | instskip(NEXT) | instid1(VALU_DEP_1)
	v_and_b32_e32 v2, 0x700000, v2
	v_or3_b32 v2, v2, v3, v4
.LBB6_1174:                             ;   in Loop: Header=BB6_128 Depth=2
	s_or_b32 exec_lo, exec_lo, s42
.LBB6_1175:                             ;   in Loop: Header=BB6_128 Depth=2
	s_delay_alu instid0(SALU_CYCLE_1)
	s_or_b32 exec_lo, exec_lo, s41
.LBB6_1176:                             ;   in Loop: Header=BB6_128 Depth=2
	s_delay_alu instid0(SALU_CYCLE_1) | instskip(NEXT) | instid1(VALU_DEP_1)
	s_or_b32 exec_lo, exec_lo, s10
	v_dual_mul_f32 v4, s40, v2 :: v_dual_mov_b32 v3, v55
	s_delay_alu instid0(VALU_DEP_1) | instskip(NEXT) | instid1(VALU_DEP_1)
	v_and_b32_e32 v2, 0x7f800000, v4
	v_cmp_ne_u64_e32 vcc_lo, 0x7f800000, v[2:3]
	v_lshrrev_b32_e32 v3, 24, v4
                                        ; implicit-def: $vgpr2
	s_and_saveexec_b32 s10, vcc_lo
	s_delay_alu instid0(SALU_CYCLE_1)
	s_xor_b32 s41, exec_lo, s10
	s_cbranch_execz .LBB6_1190
; %bb.1177:                             ;   in Loop: Header=BB6_128 Depth=2
	v_and_b32_e32 v6, 0x7fffffff, v4
	v_mov_b32_e32 v7, v55
	v_and_b32_e32 v3, 0x80, v3
                                        ; implicit-def: $vgpr2
	s_mov_b32 s10, exec_lo
	s_delay_alu instid0(VALU_DEP_2)
	v_cmpx_gt_u64_e32 0x43e00001, v[6:7]
	s_xor_b32 s42, exec_lo, s10
	s_cbranch_execz .LBB6_1187
; %bb.1178:                             ;   in Loop: Header=BB6_128 Depth=2
	v_mov_b32_e32 v2, 0
	s_mov_b32 s43, exec_lo
	v_cmpx_ne_u32_e32 0, v4
	s_cbranch_execz .LBB6_1186
; %bb.1179:                             ;   in Loop: Header=BB6_128 Depth=2
	v_bfe_u32 v2, v4, 23, 8
	v_and_b32_e32 v4, 0x7fffff, v4
	v_mov_b32_e32 v9, v55
	s_delay_alu instid0(VALU_DEP_3) | instskip(NEXT) | instid1(VALU_DEP_3)
	v_cmp_gt_u32_e32 vcc_lo, 0x7a, v2
	v_or_b32_e32 v8, 0x800000, v4
	v_sub_nc_u32_e32 v5, 0x79, v2
	s_delay_alu instid0(VALU_DEP_1) | instskip(SKIP_1) | instid1(VALU_DEP_2)
	v_cndmask_b32_e32 v5, 0, v5, vcc_lo
	v_cmp_eq_u32_e32 vcc_lo, 0, v2
	v_cndmask_b32_e64 v5, v5, 0x78, vcc_lo
	s_delay_alu instid0(VALU_DEP_1) | instskip(SKIP_1) | instid1(VALU_DEP_2)
	v_dual_cndmask_b32 v8, v8, v4, vcc_lo :: v_dual_add_nc_u32 v6, 20, v5
	v_add_nc_u32_e32 v10, 19, v5
	v_lshlrev_b64_e64 v[6:7], v6, -1
	s_delay_alu instid0(VALU_DEP_2) | instskip(NEXT) | instid1(VALU_DEP_4)
	v_lshlrev_b64_e64 v[14:15], v10, 1
	v_lshrrev_b64 v[10:11], v5, v[8:9]
	s_delay_alu instid0(VALU_DEP_3) | instskip(NEXT) | instid1(VALU_DEP_4)
	v_bfi_b32 v7, v7, 0, 0
	v_bfi_b32 v6, v6, 0, v8
	s_delay_alu instid0(VALU_DEP_1) | instskip(NEXT) | instid1(VALU_DEP_4)
	v_cmp_eq_u64_e64 s10, v[6:7], v[14:15]
	v_mov_b64_e32 v[14:15], v[10:11]
	s_and_saveexec_b32 s44, s10
; %bb.1180:                             ;   in Loop: Header=BB6_128 Depth=2
	v_bfe_u32 v6, v10, 20, 1
	v_mov_b32_e32 v7, v55
	s_delay_alu instid0(VALU_DEP_1) | instskip(NEXT) | instid1(VALU_DEP_1)
	v_add_nc_u64_e32 v[6:7], v[10:11], v[6:7]
	v_add_nc_u64_e32 v[14:15], -1, v[6:7]
; %bb.1181:                             ;   in Loop: Header=BB6_128 Depth=2
	s_or_b32 exec_lo, exec_lo, s44
	v_dual_mov_b32 v11, v55 :: v_dual_add_nc_u32 v2, 0xffffff81, v2
	v_lshrrev_b32_e32 v4, 23, v10
	s_mov_b32 s10, exec_lo
	s_delay_alu instid0(VALU_DEP_2) | instskip(NEXT) | instid1(VALU_DEP_1)
	v_cndmask_b32_e64 v2, v2, 0xffffff82, vcc_lo
	v_add3_u32 v4, v5, v2, v4
	v_and_b32_e32 v2, 0xfffff, v14
	s_delay_alu instid0(VALU_DEP_1) | instskip(NEXT) | instid1(VALU_DEP_1)
	v_dual_add_nc_u32 v5, 6, v4 :: v_dual_add_nc_u32 v10, v2, v10
                                        ; implicit-def: $vgpr2
	v_cmpx_ne_u32_e32 0, v5
	s_xor_b32 s10, exec_lo, s10
; %bb.1182:                             ;   in Loop: Header=BB6_128 Depth=2
	s_delay_alu instid0(VALU_DEP_2) | instskip(SKIP_2) | instid1(VALU_DEP_2)
	v_cmp_lt_u64_e32 vcc_lo, 0xffffff, v[10:11]
	v_add_nc_u32_e32 v2, 7, v4
	v_cndmask_b32_e64 v4, 0, 1, vcc_lo
	v_cndmask_b32_e32 v2, v5, v2, vcc_lo
	s_delay_alu instid0(VALU_DEP_2)
	v_lshrrev_b64 v[10:11], v4, v[10:11]
; %bb.1183:                             ;   in Loop: Header=BB6_128 Depth=2
	s_and_not1_saveexec_b32 s10, s10
; %bb.1184:                             ;   in Loop: Header=BB6_128 Depth=2
	s_delay_alu instid0(VALU_DEP_1)
	v_bfe_u32 v2, v10, 23, 1
; %bb.1185:                             ;   in Loop: Header=BB6_128 Depth=2
	s_or_b32 exec_lo, exec_lo, s10
	s_delay_alu instid0(VALU_DEP_2) | instskip(NEXT) | instid1(VALU_DEP_2)
	v_lshrrev_b64 v[4:5], 20, v[10:11]
	v_cmp_gt_i32_e32 vcc_lo, 16, v2
	v_min_i32_e32 v6, 15, v2
	v_cmp_eq_u32_e64 s10, 0, v2
	s_delay_alu instid0(VALU_DEP_2) | instskip(SKIP_1) | instid1(VALU_DEP_2)
	v_dual_cndmask_b32 v5, 0, v5 :: v_dual_lshlrev_b32 v6, 3, v6
	v_cndmask_b32_e32 v4, 7, v4, vcc_lo
	v_and_b32_e32 v6, 0xf8, v6
	s_delay_alu instid0(VALU_DEP_2) | instskip(NEXT) | instid1(VALU_DEP_2)
	v_cmp_eq_u64_e32 vcc_lo, 0, v[4:5]
	v_and_or_b32 v2, v4, 7, v6
	s_and_b32 s10, s10, vcc_lo
	s_delay_alu instid0(VALU_DEP_1) | instid1(SALU_CYCLE_1)
	v_cndmask_b32_e64 v2, v2, 0, s10
	s_delay_alu instid0(VALU_DEP_1)
	v_or_b32_e32 v2, v2, v3
.LBB6_1186:                             ;   in Loop: Header=BB6_128 Depth=2
	s_or_b32 exec_lo, exec_lo, s43
                                        ; implicit-def: $vgpr3
.LBB6_1187:                             ;   in Loop: Header=BB6_128 Depth=2
	s_and_not1_saveexec_b32 s10, s42
; %bb.1188:                             ;   in Loop: Header=BB6_128 Depth=2
	v_or_b32_e32 v2, 0x7e, v3
; %bb.1189:                             ;   in Loop: Header=BB6_128 Depth=2
	s_or_b32 exec_lo, exec_lo, s10
                                        ; implicit-def: $vgpr3
.LBB6_1190:                             ;   in Loop: Header=BB6_128 Depth=2
	s_and_not1_saveexec_b32 s10, s41
; %bb.1191:                             ;   in Loop: Header=BB6_128 Depth=2
	v_or_b32_e32 v2, 0x7f, v3
; %bb.1192:                             ;   in Loop: Header=BB6_128 Depth=2
	s_or_b32 exec_lo, exec_lo, s10
	v_lshrrev_b16 v4, 8, v54
	v_mov_b32_e32 v3, 0
	s_mov_b32 s10, exec_lo
	s_delay_alu instid0(VALU_DEP_2)
	v_cmpx_ne_u16_e32 0, v4
	s_cbranch_execz .LBB6_1200
; %bb.1193:                             ;   in Loop: Header=BB6_128 Depth=2
	v_bfrev_b32_e32 v3, 1
	s_mov_b32 s41, exec_lo
	v_cmpx_ne_u16_e32 0x80, v4
	s_cbranch_execz .LBB6_1199
; %bb.1194:                             ;   in Loop: Header=BB6_128 Depth=2
	v_and_b32_e32 v5, 0xffff, v4
	v_mov_b32_e32 v3, 0x7f800001
	s_mov_b32 s42, exec_lo
	s_delay_alu instid0(VALU_DEP_2) | instskip(NEXT) | instid1(VALU_DEP_1)
	v_and_b32_e32 v4, 0x7f, v5
	v_cmpx_ne_u32_e32 0x7f, v4
	s_cbranch_execz .LBB6_1198
; %bb.1195:                             ;   in Loop: Header=BB6_128 Depth=2
	v_dual_mov_b32 v11, v55 :: v_dual_bitop2_b32 v10, 7, v5 bitop3:0x40
	v_lshrrev_b32_e32 v3, 3, v4
	s_mov_b32 s43, exec_lo
	v_cmpx_gt_u32_e32 8, v4
; %bb.1196:                             ;   in Loop: Header=BB6_128 Depth=2
	s_delay_alu instid0(VALU_DEP_3) | instskip(NEXT) | instid1(VALU_DEP_1)
	v_clz_i32_u32_e32 v3, v10
	v_min_u32_e32 v3, 32, v3
	s_delay_alu instid0(VALU_DEP_1) | instskip(NEXT) | instid1(VALU_DEP_1)
	v_subrev_nc_u32_e32 v4, 28, v3
	v_lshlrev_b64_e32 v[4:5], v4, v[10:11]
	s_delay_alu instid0(VALU_DEP_1)
	v_dual_sub_nc_u32 v3, 29, v3 :: v_dual_bitop2_b32 v10, 7, v4 bitop3:0x40
; %bb.1197:                             ;   in Loop: Header=BB6_128 Depth=2
	s_or_b32 exec_lo, exec_lo, s43
	v_lshlrev_b32_e32 v4, 16, v54
	s_delay_alu instid0(VALU_DEP_2) | instskip(NEXT) | instid1(VALU_DEP_3)
	v_lshlrev_b32_e32 v5, 20, v10
	v_lshl_add_u32 v3, v3, 23, 0x3c000000
	s_delay_alu instid0(VALU_DEP_3) | instskip(NEXT) | instid1(VALU_DEP_1)
	v_and_b32_e32 v4, 0x80000000, v4
	v_or3_b32 v3, v5, v4, v3
.LBB6_1198:                             ;   in Loop: Header=BB6_128 Depth=2
	s_or_b32 exec_lo, exec_lo, s42
.LBB6_1199:                             ;   in Loop: Header=BB6_128 Depth=2
	s_delay_alu instid0(SALU_CYCLE_1)
	s_or_b32 exec_lo, exec_lo, s41
.LBB6_1200:                             ;   in Loop: Header=BB6_128 Depth=2
	s_delay_alu instid0(SALU_CYCLE_1) | instskip(NEXT) | instid1(VALU_DEP_1)
	s_or_b32 exec_lo, exec_lo, s10
	v_mul_f32_e32 v4, s40, v3
                                        ; implicit-def: $vgpr90
	s_mov_b32 s10, exec_lo
	s_delay_alu instid0(VALU_DEP_1) | instskip(SKIP_1) | instid1(VALU_DEP_2)
	v_and_b32_e32 v54, 0x7f800000, v4
	v_lshrrev_b32_e32 v3, 24, v4
	v_cmpx_ne_u64_e32 0x7f800000, v[54:55]
	s_xor_b32 s41, exec_lo, s10
	s_cbranch_execz .LBB6_1214
; %bb.1201:                             ;   in Loop: Header=BB6_128 Depth=2
	v_and_b32_e32 v54, 0x7fffffff, v4
	v_and_b32_e32 v3, 0x80, v3
                                        ; implicit-def: $vgpr90
	s_mov_b32 s10, exec_lo
	s_delay_alu instid0(VALU_DEP_2)
	v_cmpx_gt_u64_e32 0x43e00001, v[54:55]
	s_xor_b32 s42, exec_lo, s10
	s_cbranch_execz .LBB6_1211
; %bb.1202:                             ;   in Loop: Header=BB6_128 Depth=2
	v_mov_b32_e32 v90, 0
	s_mov_b32 s43, exec_lo
	v_cmpx_ne_u32_e32 0, v4
	s_cbranch_execz .LBB6_1210
; %bb.1203:                             ;   in Loop: Header=BB6_128 Depth=2
	v_bfe_u32 v5, v4, 23, 8
	v_and_b32_e32 v4, 0x7fffff, v4
	s_delay_alu instid0(VALU_DEP_2) | instskip(SKIP_1) | instid1(VALU_DEP_3)
	v_sub_nc_u32_e32 v6, 0x79, v5
	v_cmp_gt_u32_e32 vcc_lo, 0x7a, v5
	v_or_b32_e32 v10, 0x800000, v4
	s_delay_alu instid0(VALU_DEP_3) | instskip(SKIP_1) | instid1(VALU_DEP_3)
	v_cndmask_b32_e32 v6, 0, v6, vcc_lo
	v_cmp_eq_u32_e32 vcc_lo, 0, v5
	v_cndmask_b32_e32 v54, v10, v4, vcc_lo
	s_delay_alu instid0(VALU_DEP_3) | instskip(NEXT) | instid1(VALU_DEP_1)
	v_cndmask_b32_e64 v6, v6, 0x78, vcc_lo
	v_add_nc_u32_e32 v7, 20, v6
	s_delay_alu instid0(VALU_DEP_3) | instskip(NEXT) | instid1(VALU_DEP_2)
	v_lshrrev_b64 v[10:11], v6, v[54:55]
	v_lshlrev_b64_e64 v[8:9], v7, -1
	v_add_nc_u32_e32 v7, 19, v6
	s_delay_alu instid0(VALU_DEP_1) | instskip(NEXT) | instid1(VALU_DEP_3)
	v_lshlrev_b64_e64 v[14:15], v7, 1
	v_bfi_b32 v9, v9, 0, 0
	s_delay_alu instid0(VALU_DEP_4) | instskip(NEXT) | instid1(VALU_DEP_1)
	v_bfi_b32 v8, v8, 0, v54
	v_cmp_eq_u64_e64 s10, v[8:9], v[14:15]
	v_mov_b64_e32 v[14:15], v[10:11]
	s_and_saveexec_b32 s44, s10
; %bb.1204:                             ;   in Loop: Header=BB6_128 Depth=2
	v_bfe_u32 v54, v10, 20, 1
	s_delay_alu instid0(VALU_DEP_1) | instskip(NEXT) | instid1(VALU_DEP_1)
	v_add_nc_u64_e32 v[8:9], v[10:11], v[54:55]
	v_add_nc_u64_e32 v[14:15], -1, v[8:9]
; %bb.1205:                             ;   in Loop: Header=BB6_128 Depth=2
	s_or_b32 exec_lo, exec_lo, s44
	v_add_nc_u32_e32 v4, 0xffffff81, v5
	v_lshrrev_b32_e32 v5, 23, v10
	s_mov_b32 s10, exec_lo
	s_delay_alu instid0(VALU_DEP_2) | instskip(NEXT) | instid1(VALU_DEP_1)
	v_cndmask_b32_e64 v4, v4, 0xffffff82, vcc_lo
	v_add3_u32 v5, v6, v4, v5
	v_and_b32_e32 v4, 0xfffff, v14
	s_delay_alu instid0(VALU_DEP_1) | instskip(NEXT) | instid1(VALU_DEP_1)
	v_dual_add_nc_u32 v6, 6, v5 :: v_dual_add_nc_u32 v54, v4, v10
                                        ; implicit-def: $vgpr10_vgpr11
                                        ; implicit-def: $vgpr4
	v_cmpx_ne_u32_e32 0, v6
	s_xor_b32 s10, exec_lo, s10
; %bb.1206:                             ;   in Loop: Header=BB6_128 Depth=2
	s_delay_alu instid0(VALU_DEP_2) | instskip(SKIP_2) | instid1(VALU_DEP_2)
	v_cmp_lt_u64_e32 vcc_lo, 0xffffff, v[54:55]
	v_add_nc_u32_e32 v4, 7, v5
	v_cndmask_b32_e64 v5, 0, 1, vcc_lo
	v_cndmask_b32_e32 v4, v6, v4, vcc_lo
	s_delay_alu instid0(VALU_DEP_2)
	v_lshrrev_b64 v[10:11], v5, v[54:55]
; %bb.1207:                             ;   in Loop: Header=BB6_128 Depth=2
	s_and_not1_saveexec_b32 s10, s10
; %bb.1208:                             ;   in Loop: Header=BB6_128 Depth=2
	v_mov_b64_e32 v[10:11], v[54:55]
	v_bfe_u32 v4, v54, 23, 1
; %bb.1209:                             ;   in Loop: Header=BB6_128 Depth=2
	s_or_b32 exec_lo, exec_lo, s10
	s_delay_alu instid0(VALU_DEP_2) | instskip(NEXT) | instid1(VALU_DEP_2)
	v_lshrrev_b64 v[6:7], 20, v[10:11]
	v_cmp_gt_i32_e32 vcc_lo, 16, v4
	v_min_i32_e32 v5, 15, v4
	v_cmp_eq_u32_e64 s10, 0, v4
	s_delay_alu instid0(VALU_DEP_2) | instskip(SKIP_1) | instid1(VALU_DEP_2)
	v_dual_cndmask_b32 v7, 0, v7, vcc_lo :: v_dual_lshlrev_b32 v5, 3, v5
	v_cndmask_b32_e32 v6, 7, v6, vcc_lo
	v_and_b32_e32 v5, 0xf8, v5
	s_delay_alu instid0(VALU_DEP_2) | instskip(NEXT) | instid1(VALU_DEP_2)
	v_cmp_eq_u64_e32 vcc_lo, 0, v[6:7]
	v_and_or_b32 v4, v6, 7, v5
	s_and_b32 s10, s10, vcc_lo
	s_delay_alu instid0(VALU_DEP_1) | instid1(SALU_CYCLE_1)
	v_cndmask_b32_e64 v4, v4, 0, s10
	s_delay_alu instid0(VALU_DEP_1)
	v_or_b32_e32 v90, v4, v3
.LBB6_1210:                             ;   in Loop: Header=BB6_128 Depth=2
	s_or_b32 exec_lo, exec_lo, s43
                                        ; implicit-def: $vgpr3
.LBB6_1211:                             ;   in Loop: Header=BB6_128 Depth=2
	s_and_not1_saveexec_b32 s10, s42
; %bb.1212:                             ;   in Loop: Header=BB6_128 Depth=2
	v_or_b32_e32 v90, 0x7e, v3
; %bb.1213:                             ;   in Loop: Header=BB6_128 Depth=2
	s_or_b32 exec_lo, exec_lo, s10
                                        ; implicit-def: $vgpr3
.LBB6_1214:                             ;   in Loop: Header=BB6_128 Depth=2
	s_and_not1_saveexec_b32 s10, s41
; %bb.1215:                             ;   in Loop: Header=BB6_128 Depth=2
	v_or_b32_e32 v90, 0x7f, v3
; %bb.1216:                             ;   in Loop: Header=BB6_128 Depth=2
	s_or_b32 exec_lo, exec_lo, s10
	v_dual_mov_b32 v4, 0 :: v_dual_lshrrev_b32 v3, 16, v13
	s_mov_b32 s10, exec_lo
	s_delay_alu instid0(VALU_DEP_1) | instskip(NEXT) | instid1(VALU_DEP_1)
	v_and_b32_e32 v5, 0xff, v3
	v_cmpx_ne_u16_e32 0, v5
	s_cbranch_execz .LBB6_1224
; %bb.1217:                             ;   in Loop: Header=BB6_128 Depth=2
	v_bfrev_b32_e32 v4, 1
	s_mov_b32 s41, exec_lo
	v_cmpx_ne_u16_e32 0x80, v5
	s_cbranch_execz .LBB6_1223
; %bb.1218:                             ;   in Loop: Header=BB6_128 Depth=2
	v_bfe_u32 v5, v13, 16, 7
	v_mov_b32_e32 v4, 0x7f800001
	s_mov_b32 s42, exec_lo
	s_delay_alu instid0(VALU_DEP_2)
	v_cmpx_ne_u32_e32 0x7f, v5
	s_cbranch_execz .LBB6_1222
; %bb.1219:                             ;   in Loop: Header=BB6_128 Depth=2
	v_dual_lshrrev_b32 v4, 3, v5 :: v_dual_bitop2_b32 v54, 7, v3 bitop3:0x40
	s_mov_b32 s43, exec_lo
	s_delay_alu instid0(VALU_DEP_1)
	v_mov_b64_e32 v[10:11], v[54:55]
	v_cmpx_gt_u32_e32 8, v5
; %bb.1220:                             ;   in Loop: Header=BB6_128 Depth=2
	v_clz_i32_u32_e32 v4, v54
	s_delay_alu instid0(VALU_DEP_1) | instskip(NEXT) | instid1(VALU_DEP_1)
	v_min_u32_e32 v4, 32, v4
	v_subrev_nc_u32_e32 v5, 28, v4
	s_delay_alu instid0(VALU_DEP_1) | instskip(NEXT) | instid1(VALU_DEP_1)
	v_lshlrev_b64_e32 v[6:7], v5, v[54:55]
	v_dual_sub_nc_u32 v4, 29, v4 :: v_dual_bitop2_b32 v10, 7, v6 bitop3:0x40
; %bb.1221:                             ;   in Loop: Header=BB6_128 Depth=2
	s_or_b32 exec_lo, exec_lo, s43
	s_delay_alu instid0(VALU_DEP_1) | instskip(NEXT) | instid1(VALU_DEP_2)
	v_dual_lshlrev_b32 v3, 24, v3 :: v_dual_lshlrev_b32 v5, 20, v10
	v_lshl_add_u32 v4, v4, 23, 0x3c000000
	s_delay_alu instid0(VALU_DEP_2) | instskip(NEXT) | instid1(VALU_DEP_1)
	v_and_b32_e32 v3, 0x80000000, v3
	v_or3_b32 v4, v5, v3, v4
.LBB6_1222:                             ;   in Loop: Header=BB6_128 Depth=2
	s_or_b32 exec_lo, exec_lo, s42
.LBB6_1223:                             ;   in Loop: Header=BB6_128 Depth=2
	s_delay_alu instid0(SALU_CYCLE_1)
	s_or_b32 exec_lo, exec_lo, s41
.LBB6_1224:                             ;   in Loop: Header=BB6_128 Depth=2
	s_delay_alu instid0(SALU_CYCLE_1) | instskip(NEXT) | instid1(VALU_DEP_1)
	s_or_b32 exec_lo, exec_lo, s10
	v_mul_f32_e32 v4, s40, v4
                                        ; implicit-def: $vgpr40
	s_mov_b32 s10, exec_lo
	s_delay_alu instid0(VALU_DEP_1) | instskip(SKIP_1) | instid1(VALU_DEP_2)
	v_and_b32_e32 v54, 0x7f800000, v4
	v_lshrrev_b32_e32 v3, 24, v4
	v_cmpx_ne_u64_e32 0x7f800000, v[54:55]
	s_xor_b32 s41, exec_lo, s10
	s_cbranch_execz .LBB6_1238
; %bb.1225:                             ;   in Loop: Header=BB6_128 Depth=2
	v_and_b32_e32 v54, 0x7fffffff, v4
	v_and_b32_e32 v3, 0x80, v3
                                        ; implicit-def: $vgpr40
	s_mov_b32 s10, exec_lo
	s_delay_alu instid0(VALU_DEP_2)
	v_cmpx_gt_u64_e32 0x43e00001, v[54:55]
	s_xor_b32 s42, exec_lo, s10
	s_cbranch_execz .LBB6_1235
; %bb.1226:                             ;   in Loop: Header=BB6_128 Depth=2
	v_mov_b32_e32 v40, 0
	s_mov_b32 s43, exec_lo
	v_cmpx_ne_u32_e32 0, v4
	s_cbranch_execz .LBB6_1234
; %bb.1227:                             ;   in Loop: Header=BB6_128 Depth=2
	v_bfe_u32 v5, v4, 23, 8
	v_and_b32_e32 v4, 0x7fffff, v4
	s_delay_alu instid0(VALU_DEP_2) | instskip(SKIP_1) | instid1(VALU_DEP_3)
	v_sub_nc_u32_e32 v6, 0x79, v5
	v_cmp_gt_u32_e32 vcc_lo, 0x7a, v5
	v_or_b32_e32 v10, 0x800000, v4
	s_delay_alu instid0(VALU_DEP_3) | instskip(SKIP_1) | instid1(VALU_DEP_3)
	v_cndmask_b32_e32 v6, 0, v6, vcc_lo
	v_cmp_eq_u32_e32 vcc_lo, 0, v5
	v_cndmask_b32_e32 v54, v10, v4, vcc_lo
	s_delay_alu instid0(VALU_DEP_3) | instskip(NEXT) | instid1(VALU_DEP_1)
	v_cndmask_b32_e64 v6, v6, 0x78, vcc_lo
	v_add_nc_u32_e32 v7, 20, v6
	s_delay_alu instid0(VALU_DEP_3) | instskip(NEXT) | instid1(VALU_DEP_2)
	v_lshrrev_b64 v[10:11], v6, v[54:55]
	v_lshlrev_b64_e64 v[8:9], v7, -1
	v_add_nc_u32_e32 v7, 19, v6
	s_delay_alu instid0(VALU_DEP_1) | instskip(NEXT) | instid1(VALU_DEP_3)
	v_lshlrev_b64_e64 v[14:15], v7, 1
	v_bfi_b32 v9, v9, 0, 0
	s_delay_alu instid0(VALU_DEP_4) | instskip(NEXT) | instid1(VALU_DEP_1)
	v_bfi_b32 v8, v8, 0, v54
	v_cmp_eq_u64_e64 s10, v[8:9], v[14:15]
	v_mov_b64_e32 v[14:15], v[10:11]
	s_and_saveexec_b32 s44, s10
; %bb.1228:                             ;   in Loop: Header=BB6_128 Depth=2
	v_bfe_u32 v54, v10, 20, 1
	s_delay_alu instid0(VALU_DEP_1) | instskip(NEXT) | instid1(VALU_DEP_1)
	v_add_nc_u64_e32 v[8:9], v[10:11], v[54:55]
	v_add_nc_u64_e32 v[14:15], -1, v[8:9]
; %bb.1229:                             ;   in Loop: Header=BB6_128 Depth=2
	s_or_b32 exec_lo, exec_lo, s44
	v_add_nc_u32_e32 v4, 0xffffff81, v5
	v_lshrrev_b32_e32 v5, 23, v10
	s_mov_b32 s10, exec_lo
	s_delay_alu instid0(VALU_DEP_2) | instskip(NEXT) | instid1(VALU_DEP_1)
	v_cndmask_b32_e64 v4, v4, 0xffffff82, vcc_lo
	v_add3_u32 v5, v6, v4, v5
	v_and_b32_e32 v4, 0xfffff, v14
	s_delay_alu instid0(VALU_DEP_1) | instskip(NEXT) | instid1(VALU_DEP_1)
	v_dual_add_nc_u32 v6, 6, v5 :: v_dual_add_nc_u32 v54, v4, v10
                                        ; implicit-def: $vgpr10_vgpr11
                                        ; implicit-def: $vgpr4
	v_cmpx_ne_u32_e32 0, v6
	s_xor_b32 s10, exec_lo, s10
; %bb.1230:                             ;   in Loop: Header=BB6_128 Depth=2
	s_delay_alu instid0(VALU_DEP_2) | instskip(SKIP_2) | instid1(VALU_DEP_2)
	v_cmp_lt_u64_e32 vcc_lo, 0xffffff, v[54:55]
	v_add_nc_u32_e32 v4, 7, v5
	v_cndmask_b32_e64 v5, 0, 1, vcc_lo
	v_cndmask_b32_e32 v4, v6, v4, vcc_lo
	s_delay_alu instid0(VALU_DEP_2)
	v_lshrrev_b64 v[10:11], v5, v[54:55]
; %bb.1231:                             ;   in Loop: Header=BB6_128 Depth=2
	s_and_not1_saveexec_b32 s10, s10
; %bb.1232:                             ;   in Loop: Header=BB6_128 Depth=2
	v_mov_b64_e32 v[10:11], v[54:55]
	v_bfe_u32 v4, v54, 23, 1
; %bb.1233:                             ;   in Loop: Header=BB6_128 Depth=2
	s_or_b32 exec_lo, exec_lo, s10
	s_delay_alu instid0(VALU_DEP_2) | instskip(NEXT) | instid1(VALU_DEP_2)
	v_lshrrev_b64 v[6:7], 20, v[10:11]
	v_cmp_gt_i32_e32 vcc_lo, 16, v4
	v_min_i32_e32 v5, 15, v4
	v_cmp_eq_u32_e64 s10, 0, v4
	s_delay_alu instid0(VALU_DEP_2) | instskip(SKIP_1) | instid1(VALU_DEP_2)
	v_dual_cndmask_b32 v7, 0, v7, vcc_lo :: v_dual_lshlrev_b32 v5, 3, v5
	v_cndmask_b32_e32 v6, 7, v6, vcc_lo
	v_and_b32_e32 v5, 0xf8, v5
	s_delay_alu instid0(VALU_DEP_2) | instskip(NEXT) | instid1(VALU_DEP_2)
	v_cmp_eq_u64_e32 vcc_lo, 0, v[6:7]
	v_and_or_b32 v4, v6, 7, v5
	s_and_b32 s10, s10, vcc_lo
	s_delay_alu instid0(VALU_DEP_1) | instid1(SALU_CYCLE_1)
	v_cndmask_b32_e64 v4, v4, 0, s10
	s_delay_alu instid0(VALU_DEP_1)
	v_or_b32_e32 v40, v4, v3
.LBB6_1234:                             ;   in Loop: Header=BB6_128 Depth=2
	s_or_b32 exec_lo, exec_lo, s43
                                        ; implicit-def: $vgpr3
.LBB6_1235:                             ;   in Loop: Header=BB6_128 Depth=2
	s_and_not1_saveexec_b32 s10, s42
; %bb.1236:                             ;   in Loop: Header=BB6_128 Depth=2
	v_or_b32_e32 v40, 0x7e, v3
; %bb.1237:                             ;   in Loop: Header=BB6_128 Depth=2
	s_or_b32 exec_lo, exec_lo, s10
                                        ; implicit-def: $vgpr3
.LBB6_1238:                             ;   in Loop: Header=BB6_128 Depth=2
	s_and_not1_saveexec_b32 s10, s41
; %bb.1239:                             ;   in Loop: Header=BB6_128 Depth=2
	v_or_b32_e32 v40, 0x7f, v3
; %bb.1240:                             ;   in Loop: Header=BB6_128 Depth=2
	s_or_b32 exec_lo, exec_lo, s10
	v_mov_b32_e32 v4, 0
	s_mov_b32 s10, exec_lo
	v_cmpx_lt_u64_e64 s[14:15], v[12:13]
	s_cbranch_execz .LBB6_1248
; %bb.1241:                             ;   in Loop: Header=BB6_128 Depth=2
	v_lshrrev_b32_e32 v3, 24, v13
	v_bfrev_b32_e32 v4, 1
	s_mov_b32 s41, exec_lo
	s_delay_alu instid0(VALU_DEP_2)
	v_cmpx_ne_u32_e32 0x80, v3
	s_cbranch_execz .LBB6_1247
; %bb.1242:                             ;   in Loop: Header=BB6_128 Depth=2
	v_bfe_u32 v5, v13, 24, 7
	v_mov_b32_e32 v4, 0x7f800001
	s_mov_b32 s42, exec_lo
	s_delay_alu instid0(VALU_DEP_2)
	v_cmpx_ne_u32_e32 0x7f, v5
	s_cbranch_execz .LBB6_1246
; %bb.1243:                             ;   in Loop: Header=BB6_128 Depth=2
	v_dual_lshrrev_b32 v4, 3, v5 :: v_dual_bitop2_b32 v54, 7, v3 bitop3:0x40
	s_mov_b32 s43, exec_lo
	s_delay_alu instid0(VALU_DEP_1)
	v_mov_b64_e32 v[10:11], v[54:55]
	v_cmpx_gt_u32_e32 8, v5
; %bb.1244:                             ;   in Loop: Header=BB6_128 Depth=2
	v_clz_i32_u32_e32 v4, v54
	s_delay_alu instid0(VALU_DEP_1) | instskip(NEXT) | instid1(VALU_DEP_1)
	v_min_u32_e32 v4, 32, v4
	v_subrev_nc_u32_e32 v5, 28, v4
	s_delay_alu instid0(VALU_DEP_1) | instskip(NEXT) | instid1(VALU_DEP_1)
	v_lshlrev_b64_e32 v[6:7], v5, v[54:55]
	v_dual_sub_nc_u32 v4, 29, v4 :: v_dual_bitop2_b32 v10, 7, v6 bitop3:0x40
; %bb.1245:                             ;   in Loop: Header=BB6_128 Depth=2
	s_or_b32 exec_lo, exec_lo, s43
	s_delay_alu instid0(VALU_DEP_1) | instskip(NEXT) | instid1(VALU_DEP_2)
	v_dual_lshlrev_b32 v3, 24, v3 :: v_dual_lshlrev_b32 v5, 20, v10
	v_lshl_add_u32 v4, v4, 23, 0x3c000000
	s_delay_alu instid0(VALU_DEP_2) | instskip(NEXT) | instid1(VALU_DEP_1)
	v_and_b32_e32 v3, 0x80000000, v3
	v_or3_b32 v4, v5, v3, v4
.LBB6_1246:                             ;   in Loop: Header=BB6_128 Depth=2
	s_or_b32 exec_lo, exec_lo, s42
.LBB6_1247:                             ;   in Loop: Header=BB6_128 Depth=2
	s_delay_alu instid0(SALU_CYCLE_1)
	s_or_b32 exec_lo, exec_lo, s41
.LBB6_1248:                             ;   in Loop: Header=BB6_128 Depth=2
	s_delay_alu instid0(SALU_CYCLE_1) | instskip(NEXT) | instid1(VALU_DEP_1)
	s_or_b32 exec_lo, exec_lo, s10
	v_mul_f32_e32 v4, s40, v4
                                        ; implicit-def: $vgpr93
	s_mov_b32 s10, exec_lo
	s_delay_alu instid0(VALU_DEP_1) | instskip(SKIP_1) | instid1(VALU_DEP_2)
	v_and_b32_e32 v54, 0x7f800000, v4
	v_lshrrev_b32_e32 v3, 24, v4
	v_cmpx_ne_u64_e32 0x7f800000, v[54:55]
	s_xor_b32 s41, exec_lo, s10
	s_cbranch_execz .LBB6_1262
; %bb.1249:                             ;   in Loop: Header=BB6_128 Depth=2
	v_and_b32_e32 v54, 0x7fffffff, v4
	v_and_b32_e32 v3, 0x80, v3
                                        ; implicit-def: $vgpr93
	s_mov_b32 s10, exec_lo
	s_delay_alu instid0(VALU_DEP_2)
	v_cmpx_gt_u64_e32 0x43e00001, v[54:55]
	s_xor_b32 s42, exec_lo, s10
	s_cbranch_execz .LBB6_1259
; %bb.1250:                             ;   in Loop: Header=BB6_128 Depth=2
	v_mov_b32_e32 v93, 0
	s_mov_b32 s43, exec_lo
	v_cmpx_ne_u32_e32 0, v4
	s_cbranch_execz .LBB6_1258
; %bb.1251:                             ;   in Loop: Header=BB6_128 Depth=2
	v_bfe_u32 v5, v4, 23, 8
	v_and_b32_e32 v4, 0x7fffff, v4
	s_delay_alu instid0(VALU_DEP_2) | instskip(SKIP_1) | instid1(VALU_DEP_3)
	v_sub_nc_u32_e32 v6, 0x79, v5
	v_cmp_gt_u32_e32 vcc_lo, 0x7a, v5
	v_or_b32_e32 v10, 0x800000, v4
	s_delay_alu instid0(VALU_DEP_3) | instskip(SKIP_1) | instid1(VALU_DEP_3)
	v_cndmask_b32_e32 v6, 0, v6, vcc_lo
	v_cmp_eq_u32_e32 vcc_lo, 0, v5
	v_cndmask_b32_e32 v54, v10, v4, vcc_lo
	s_delay_alu instid0(VALU_DEP_3) | instskip(NEXT) | instid1(VALU_DEP_1)
	v_cndmask_b32_e64 v6, v6, 0x78, vcc_lo
	v_add_nc_u32_e32 v7, 20, v6
	s_delay_alu instid0(VALU_DEP_3) | instskip(NEXT) | instid1(VALU_DEP_2)
	v_lshrrev_b64 v[10:11], v6, v[54:55]
	v_lshlrev_b64_e64 v[8:9], v7, -1
	v_add_nc_u32_e32 v7, 19, v6
	s_delay_alu instid0(VALU_DEP_1) | instskip(NEXT) | instid1(VALU_DEP_3)
	v_lshlrev_b64_e64 v[12:13], v7, 1
	v_bfi_b32 v9, v9, 0, 0
	s_delay_alu instid0(VALU_DEP_4) | instskip(NEXT) | instid1(VALU_DEP_1)
	v_bfi_b32 v8, v8, 0, v54
	v_cmp_eq_u64_e64 s10, v[8:9], v[12:13]
	v_mov_b64_e32 v[12:13], v[10:11]
	s_and_saveexec_b32 s44, s10
; %bb.1252:                             ;   in Loop: Header=BB6_128 Depth=2
	v_bfe_u32 v54, v10, 20, 1
	s_delay_alu instid0(VALU_DEP_1) | instskip(NEXT) | instid1(VALU_DEP_1)
	v_add_nc_u64_e32 v[8:9], v[10:11], v[54:55]
	v_add_nc_u64_e32 v[12:13], -1, v[8:9]
; %bb.1253:                             ;   in Loop: Header=BB6_128 Depth=2
	s_or_b32 exec_lo, exec_lo, s44
	v_add_nc_u32_e32 v4, 0xffffff81, v5
	v_lshrrev_b32_e32 v5, 23, v10
	s_mov_b32 s10, exec_lo
	s_delay_alu instid0(VALU_DEP_2) | instskip(NEXT) | instid1(VALU_DEP_1)
	v_cndmask_b32_e64 v4, v4, 0xffffff82, vcc_lo
	v_add3_u32 v5, v6, v4, v5
	v_and_b32_e32 v4, 0xfffff, v12
	s_delay_alu instid0(VALU_DEP_1) | instskip(NEXT) | instid1(VALU_DEP_1)
	v_dual_add_nc_u32 v6, 6, v5 :: v_dual_add_nc_u32 v54, v4, v10
                                        ; implicit-def: $vgpr10_vgpr11
                                        ; implicit-def: $vgpr4
	v_cmpx_ne_u32_e32 0, v6
	s_xor_b32 s10, exec_lo, s10
; %bb.1254:                             ;   in Loop: Header=BB6_128 Depth=2
	s_delay_alu instid0(VALU_DEP_2) | instskip(SKIP_2) | instid1(VALU_DEP_2)
	v_cmp_lt_u64_e32 vcc_lo, 0xffffff, v[54:55]
	v_add_nc_u32_e32 v4, 7, v5
	v_cndmask_b32_e64 v5, 0, 1, vcc_lo
	v_cndmask_b32_e32 v4, v6, v4, vcc_lo
	s_delay_alu instid0(VALU_DEP_2)
	v_lshrrev_b64 v[10:11], v5, v[54:55]
; %bb.1255:                             ;   in Loop: Header=BB6_128 Depth=2
	s_and_not1_saveexec_b32 s10, s10
; %bb.1256:                             ;   in Loop: Header=BB6_128 Depth=2
	v_mov_b64_e32 v[10:11], v[54:55]
	v_bfe_u32 v4, v54, 23, 1
; %bb.1257:                             ;   in Loop: Header=BB6_128 Depth=2
	s_or_b32 exec_lo, exec_lo, s10
	s_delay_alu instid0(VALU_DEP_2) | instskip(NEXT) | instid1(VALU_DEP_2)
	v_lshrrev_b64 v[6:7], 20, v[10:11]
	v_cmp_gt_i32_e32 vcc_lo, 16, v4
	v_min_i32_e32 v5, 15, v4
	v_cmp_eq_u32_e64 s10, 0, v4
	s_delay_alu instid0(VALU_DEP_2) | instskip(SKIP_1) | instid1(VALU_DEP_2)
	v_dual_cndmask_b32 v7, 0, v7, vcc_lo :: v_dual_lshlrev_b32 v5, 3, v5
	v_cndmask_b32_e32 v6, 7, v6, vcc_lo
	v_and_b32_e32 v5, 0xf8, v5
	s_delay_alu instid0(VALU_DEP_2) | instskip(NEXT) | instid1(VALU_DEP_2)
	v_cmp_eq_u64_e32 vcc_lo, 0, v[6:7]
	v_and_or_b32 v4, v6, 7, v5
	s_and_b32 s10, s10, vcc_lo
	s_delay_alu instid0(VALU_DEP_1) | instid1(SALU_CYCLE_1)
	v_cndmask_b32_e64 v4, v4, 0, s10
	s_delay_alu instid0(VALU_DEP_1)
	v_or_b32_e32 v93, v4, v3
.LBB6_1258:                             ;   in Loop: Header=BB6_128 Depth=2
	s_or_b32 exec_lo, exec_lo, s43
                                        ; implicit-def: $vgpr3
.LBB6_1259:                             ;   in Loop: Header=BB6_128 Depth=2
	s_and_not1_saveexec_b32 s10, s42
; %bb.1260:                             ;   in Loop: Header=BB6_128 Depth=2
	v_or_b32_e32 v93, 0x7e, v3
; %bb.1261:                             ;   in Loop: Header=BB6_128 Depth=2
	s_or_b32 exec_lo, exec_lo, s10
                                        ; implicit-def: $vgpr3
.LBB6_1262:                             ;   in Loop: Header=BB6_128 Depth=2
	s_and_not1_saveexec_b32 s10, s41
; %bb.1263:                             ;   in Loop: Header=BB6_128 Depth=2
	v_or_b32_e32 v93, 0x7f, v3
; %bb.1264:                             ;   in Loop: Header=BB6_128 Depth=2
	s_or_b32 exec_lo, exec_lo, s10
	global_load_b128 v[10:13], v[102:103], off offset:1536 th:TH_LOAD_NT
	v_mov_b32_e32 v3, 0
	s_mov_b32 s10, exec_lo
	s_wait_loadcnt 0x0
	v_and_b32_e32 v4, 0xff, v10
	s_wait_xcnt 0x0
	s_delay_alu instid0(VALU_DEP_1)
	v_cmpx_ne_u16_e32 0, v4
	s_cbranch_execz .LBB6_1270
; %bb.1265:                             ;   in Loop: Header=BB6_128 Depth=2
	v_bfrev_b32_e32 v3, 1
	s_mov_b32 s41, exec_lo
	v_cmpx_ne_u16_e32 0x80, v4
	s_cbranch_execz .LBB6_1269
; %bb.1266:                             ;   in Loop: Header=BB6_128 Depth=2
	v_and_b32_e32 v4, 0x7f, v10
	v_mov_b32_e32 v3, 0x7f800001
	s_mov_b32 s42, exec_lo
	s_delay_alu instid0(VALU_DEP_2)
	v_cmpx_ne_u32_e32 0x7f, v4
	s_cbranch_execz .LBB6_1268
; %bb.1267:                             ;   in Loop: Header=BB6_128 Depth=2
	v_dual_lshrrev_b32 v5, 3, v4 :: v_dual_bitop2_b32 v3, 7, v10 bitop3:0x40
	v_cmp_gt_u32_e32 vcc_lo, 8, v4
	s_delay_alu instid0(VALU_DEP_2) | instskip(NEXT) | instid1(VALU_DEP_1)
	v_clz_i32_u32_e32 v3, v3
	v_min_u32_e32 v3, 32, v3
	s_delay_alu instid0(VALU_DEP_1) | instskip(NEXT) | instid1(VALU_DEP_1)
	v_subrev_nc_u32_e32 v6, 28, v3
	v_dual_cndmask_b32 v4, 0, v6 :: v_dual_sub_nc_u32 v3, 29, v3
	s_delay_alu instid0(VALU_DEP_1) | instskip(NEXT) | instid1(VALU_DEP_2)
	v_cndmask_b32_e32 v3, v5, v3, vcc_lo
	v_lshlrev_b64_e32 v[4:5], v4, v[10:11]
	v_lshlrev_b32_e32 v5, 24, v10
	s_delay_alu instid0(VALU_DEP_3) | instskip(NEXT) | instid1(VALU_DEP_2)
	v_lshl_add_u32 v3, v3, 23, 0x3c000000
	v_and_b32_e32 v5, 0x80000000, v5
	s_delay_alu instid0(VALU_DEP_4) | instskip(NEXT) | instid1(VALU_DEP_1)
	v_lshlrev_b32_e32 v4, 20, v4
	v_and_b32_e32 v4, 0x700000, v4
	s_delay_alu instid0(VALU_DEP_1)
	v_or3_b32 v3, v4, v5, v3
.LBB6_1268:                             ;   in Loop: Header=BB6_128 Depth=2
	s_or_b32 exec_lo, exec_lo, s42
.LBB6_1269:                             ;   in Loop: Header=BB6_128 Depth=2
	s_delay_alu instid0(SALU_CYCLE_1)
	s_or_b32 exec_lo, exec_lo, s41
.LBB6_1270:                             ;   in Loop: Header=BB6_128 Depth=2
	s_delay_alu instid0(SALU_CYCLE_1) | instskip(NEXT) | instid1(VALU_DEP_1)
	s_or_b32 exec_lo, exec_lo, s10
	v_mul_f32_e32 v4, s40, v3
                                        ; implicit-def: $vgpr73
	s_mov_b32 s10, exec_lo
	s_delay_alu instid0(VALU_DEP_1) | instskip(SKIP_1) | instid1(VALU_DEP_2)
	v_and_b32_e32 v54, 0x7f800000, v4
	v_lshrrev_b32_e32 v3, 24, v4
	v_cmpx_ne_u64_e32 0x7f800000, v[54:55]
	s_xor_b32 s41, exec_lo, s10
	s_cbranch_execz .LBB6_1284
; %bb.1271:                             ;   in Loop: Header=BB6_128 Depth=2
	v_and_b32_e32 v54, 0x7fffffff, v4
	v_and_b32_e32 v3, 0x80, v3
                                        ; implicit-def: $vgpr73
	s_mov_b32 s10, exec_lo
	s_delay_alu instid0(VALU_DEP_2)
	v_cmpx_gt_u64_e32 0x43e00001, v[54:55]
	s_xor_b32 s42, exec_lo, s10
	s_cbranch_execz .LBB6_1281
; %bb.1272:                             ;   in Loop: Header=BB6_128 Depth=2
	v_mov_b32_e32 v73, 0
	s_mov_b32 s43, exec_lo
	v_cmpx_ne_u32_e32 0, v4
	s_cbranch_execz .LBB6_1280
; %bb.1273:                             ;   in Loop: Header=BB6_128 Depth=2
	v_and_b32_e32 v6, 0x7fffff, v4
	v_bfe_u32 v4, v4, 23, 8
	s_mov_b32 s44, exec_lo
	s_delay_alu instid0(VALU_DEP_2) | instskip(NEXT) | instid1(VALU_DEP_2)
	v_or_b32_e32 v7, 0x800000, v6
	v_cmp_eq_u32_e32 vcc_lo, 0, v4
	v_cmp_gt_u32_e64 s10, 0x7a, v4
	s_delay_alu instid0(VALU_DEP_3) | instskip(NEXT) | instid1(VALU_DEP_1)
	v_dual_cndmask_b32 v54, v7, v6 :: v_dual_sub_nc_u32 v5, 0x79, v4
	v_cndmask_b32_e64 v5, 0, v5, s10
	s_delay_alu instid0(VALU_DEP_1) | instskip(NEXT) | instid1(VALU_DEP_1)
	v_cndmask_b32_e64 v5, v5, 0x78, vcc_lo
	v_dual_add_nc_u32 v6, 20, v5 :: v_dual_add_nc_u32 v8, 19, v5
	s_delay_alu instid0(VALU_DEP_4) | instskip(NEXT) | instid1(VALU_DEP_2)
	v_lshrrev_b64 v[14:15], v5, v[54:55]
	v_lshlrev_b64_e64 v[6:7], v6, -1
	s_delay_alu instid0(VALU_DEP_3) | instskip(NEXT) | instid1(VALU_DEP_3)
	v_lshlrev_b64_e64 v[8:9], v8, 1
	v_mov_b64_e32 v[16:17], v[14:15]
	s_delay_alu instid0(VALU_DEP_3) | instskip(NEXT) | instid1(VALU_DEP_4)
	v_bfi_b32 v7, v7, 0, 0
	v_bfi_b32 v6, v6, 0, v54
	s_delay_alu instid0(VALU_DEP_1)
	v_cmpx_eq_u64_e64 v[6:7], v[8:9]
; %bb.1274:                             ;   in Loop: Header=BB6_128 Depth=2
	v_bfe_u32 v54, v14, 20, 1
	s_delay_alu instid0(VALU_DEP_1) | instskip(NEXT) | instid1(VALU_DEP_1)
	v_add_nc_u64_e32 v[6:7], v[14:15], v[54:55]
	v_add_nc_u64_e32 v[16:17], -1, v[6:7]
; %bb.1275:                             ;   in Loop: Header=BB6_128 Depth=2
	s_or_b32 exec_lo, exec_lo, s44
	v_add_nc_u32_e32 v4, 0xffffff81, v4
	v_lshrrev_b32_e32 v6, 23, v14
	s_mov_b32 s10, exec_lo
	s_delay_alu instid0(VALU_DEP_2) | instskip(NEXT) | instid1(VALU_DEP_1)
	v_cndmask_b32_e64 v4, v4, 0xffffff82, vcc_lo
	v_add3_u32 v5, v5, v4, v6
	v_and_b32_e32 v4, 0xfffff, v16
	s_delay_alu instid0(VALU_DEP_1) | instskip(NEXT) | instid1(VALU_DEP_1)
	v_dual_add_nc_u32 v6, 6, v5 :: v_dual_add_nc_u32 v54, v4, v14
                                        ; implicit-def: $vgpr14_vgpr15
                                        ; implicit-def: $vgpr4
	v_cmpx_ne_u32_e32 0, v6
	s_xor_b32 s10, exec_lo, s10
; %bb.1276:                             ;   in Loop: Header=BB6_128 Depth=2
	s_delay_alu instid0(VALU_DEP_2) | instskip(SKIP_2) | instid1(VALU_DEP_2)
	v_cmp_lt_u64_e32 vcc_lo, 0xffffff, v[54:55]
	v_add_nc_u32_e32 v4, 7, v5
	v_cndmask_b32_e64 v5, 0, 1, vcc_lo
	v_cndmask_b32_e32 v4, v6, v4, vcc_lo
	s_delay_alu instid0(VALU_DEP_2)
	v_lshrrev_b64 v[14:15], v5, v[54:55]
; %bb.1277:                             ;   in Loop: Header=BB6_128 Depth=2
	s_and_not1_saveexec_b32 s10, s10
; %bb.1278:                             ;   in Loop: Header=BB6_128 Depth=2
	v_mov_b64_e32 v[14:15], v[54:55]
	v_bfe_u32 v4, v54, 23, 1
; %bb.1279:                             ;   in Loop: Header=BB6_128 Depth=2
	s_or_b32 exec_lo, exec_lo, s10
	s_delay_alu instid0(VALU_DEP_2) | instskip(NEXT) | instid1(VALU_DEP_2)
	v_lshrrev_b64 v[6:7], 20, v[14:15]
	v_cmp_gt_i32_e32 vcc_lo, 16, v4
	v_min_i32_e32 v5, 15, v4
	v_cmp_eq_u32_e64 s10, 0, v4
	s_delay_alu instid0(VALU_DEP_2) | instskip(SKIP_1) | instid1(VALU_DEP_2)
	v_dual_cndmask_b32 v7, 0, v7, vcc_lo :: v_dual_lshlrev_b32 v5, 3, v5
	v_cndmask_b32_e32 v6, 7, v6, vcc_lo
	v_and_b32_e32 v5, 0xf8, v5
	s_delay_alu instid0(VALU_DEP_2) | instskip(NEXT) | instid1(VALU_DEP_2)
	v_cmp_eq_u64_e32 vcc_lo, 0, v[6:7]
	v_and_or_b32 v4, v6, 7, v5
	s_and_b32 s10, s10, vcc_lo
	s_delay_alu instid0(VALU_DEP_1) | instid1(SALU_CYCLE_1)
	v_cndmask_b32_e64 v4, v4, 0, s10
	s_delay_alu instid0(VALU_DEP_1)
	v_or_b32_e32 v73, v4, v3
.LBB6_1280:                             ;   in Loop: Header=BB6_128 Depth=2
	s_or_b32 exec_lo, exec_lo, s43
                                        ; implicit-def: $vgpr3
.LBB6_1281:                             ;   in Loop: Header=BB6_128 Depth=2
	s_and_not1_saveexec_b32 s10, s42
; %bb.1282:                             ;   in Loop: Header=BB6_128 Depth=2
	v_or_b32_e32 v73, 0x7e, v3
; %bb.1283:                             ;   in Loop: Header=BB6_128 Depth=2
	s_or_b32 exec_lo, exec_lo, s10
                                        ; implicit-def: $vgpr3
.LBB6_1284:                             ;   in Loop: Header=BB6_128 Depth=2
	s_and_not1_saveexec_b32 s10, s41
; %bb.1285:                             ;   in Loop: Header=BB6_128 Depth=2
	v_or_b32_e32 v73, 0x7f, v3
; %bb.1286:                             ;   in Loop: Header=BB6_128 Depth=2
	s_or_b32 exec_lo, exec_lo, s10
	v_lshrrev_b16 v4, 8, v10
	v_mov_b32_e32 v3, 0
	s_mov_b32 s10, exec_lo
	s_delay_alu instid0(VALU_DEP_2)
	v_cmpx_ne_u16_e32 0, v4
	s_cbranch_execz .LBB6_1294
; %bb.1287:                             ;   in Loop: Header=BB6_128 Depth=2
	v_bfrev_b32_e32 v3, 1
	s_mov_b32 s41, exec_lo
	v_cmpx_ne_u16_e32 0x80, v4
	s_cbranch_execz .LBB6_1293
; %bb.1288:                             ;   in Loop: Header=BB6_128 Depth=2
	v_and_b32_e32 v5, 0xffff, v4
	v_mov_b32_e32 v3, 0x7f800001
	s_mov_b32 s42, exec_lo
	s_delay_alu instid0(VALU_DEP_2) | instskip(NEXT) | instid1(VALU_DEP_1)
	v_and_b32_e32 v4, 0x7f, v5
	v_cmpx_ne_u32_e32 0x7f, v4
	s_cbranch_execz .LBB6_1292
; %bb.1289:                             ;   in Loop: Header=BB6_128 Depth=2
	v_dual_lshrrev_b32 v3, 3, v4 :: v_dual_bitop2_b32 v54, 7, v5 bitop3:0x40
	s_mov_b32 s43, exec_lo
	s_delay_alu instid0(VALU_DEP_1)
	v_mov_b64_e32 v[14:15], v[54:55]
	v_cmpx_gt_u32_e32 8, v4
; %bb.1290:                             ;   in Loop: Header=BB6_128 Depth=2
	v_clz_i32_u32_e32 v3, v54
	s_delay_alu instid0(VALU_DEP_1) | instskip(NEXT) | instid1(VALU_DEP_1)
	v_min_u32_e32 v3, 32, v3
	v_subrev_nc_u32_e32 v4, 28, v3
	s_delay_alu instid0(VALU_DEP_1) | instskip(NEXT) | instid1(VALU_DEP_1)
	v_lshlrev_b64_e32 v[4:5], v4, v[54:55]
	v_dual_sub_nc_u32 v3, 29, v3 :: v_dual_bitop2_b32 v14, 7, v4 bitop3:0x40
; %bb.1291:                             ;   in Loop: Header=BB6_128 Depth=2
	s_or_b32 exec_lo, exec_lo, s43
	v_lshlrev_b32_e32 v4, 16, v10
	s_delay_alu instid0(VALU_DEP_2) | instskip(NEXT) | instid1(VALU_DEP_3)
	v_lshlrev_b32_e32 v5, 20, v14
	v_lshl_add_u32 v3, v3, 23, 0x3c000000
	s_delay_alu instid0(VALU_DEP_3) | instskip(NEXT) | instid1(VALU_DEP_1)
	v_and_b32_e32 v4, 0x80000000, v4
	v_or3_b32 v3, v5, v4, v3
.LBB6_1292:                             ;   in Loop: Header=BB6_128 Depth=2
	s_or_b32 exec_lo, exec_lo, s42
.LBB6_1293:                             ;   in Loop: Header=BB6_128 Depth=2
	s_delay_alu instid0(SALU_CYCLE_1)
	s_or_b32 exec_lo, exec_lo, s41
.LBB6_1294:                             ;   in Loop: Header=BB6_128 Depth=2
	s_delay_alu instid0(SALU_CYCLE_1) | instskip(NEXT) | instid1(VALU_DEP_1)
	s_or_b32 exec_lo, exec_lo, s10
	v_mul_f32_e32 v4, s40, v3
                                        ; implicit-def: $vgpr78
	s_mov_b32 s10, exec_lo
	s_delay_alu instid0(VALU_DEP_1) | instskip(SKIP_1) | instid1(VALU_DEP_2)
	v_and_b32_e32 v54, 0x7f800000, v4
	v_lshrrev_b32_e32 v3, 24, v4
	v_cmpx_ne_u64_e32 0x7f800000, v[54:55]
	s_xor_b32 s41, exec_lo, s10
	s_cbranch_execz .LBB6_1308
; %bb.1295:                             ;   in Loop: Header=BB6_128 Depth=2
	v_and_b32_e32 v54, 0x7fffffff, v4
	v_and_b32_e32 v3, 0x80, v3
                                        ; implicit-def: $vgpr78
	s_mov_b32 s10, exec_lo
	s_delay_alu instid0(VALU_DEP_2)
	v_cmpx_gt_u64_e32 0x43e00001, v[54:55]
	s_xor_b32 s42, exec_lo, s10
	s_cbranch_execz .LBB6_1305
; %bb.1296:                             ;   in Loop: Header=BB6_128 Depth=2
	v_mov_b32_e32 v78, 0
	s_mov_b32 s43, exec_lo
	v_cmpx_ne_u32_e32 0, v4
	s_cbranch_execz .LBB6_1304
; %bb.1297:                             ;   in Loop: Header=BB6_128 Depth=2
	v_and_b32_e32 v6, 0x7fffff, v4
	v_bfe_u32 v4, v4, 23, 8
	s_mov_b32 s44, exec_lo
	s_delay_alu instid0(VALU_DEP_2) | instskip(NEXT) | instid1(VALU_DEP_2)
	v_or_b32_e32 v7, 0x800000, v6
	v_cmp_eq_u32_e32 vcc_lo, 0, v4
	v_cmp_gt_u32_e64 s10, 0x7a, v4
	s_delay_alu instid0(VALU_DEP_3) | instskip(NEXT) | instid1(VALU_DEP_1)
	v_dual_cndmask_b32 v54, v7, v6 :: v_dual_sub_nc_u32 v5, 0x79, v4
	v_cndmask_b32_e64 v5, 0, v5, s10
	s_delay_alu instid0(VALU_DEP_1) | instskip(NEXT) | instid1(VALU_DEP_1)
	v_cndmask_b32_e64 v5, v5, 0x78, vcc_lo
	v_dual_add_nc_u32 v6, 20, v5 :: v_dual_add_nc_u32 v8, 19, v5
	s_delay_alu instid0(VALU_DEP_4) | instskip(NEXT) | instid1(VALU_DEP_2)
	v_lshrrev_b64 v[14:15], v5, v[54:55]
	v_lshlrev_b64_e64 v[6:7], v6, -1
	s_delay_alu instid0(VALU_DEP_3) | instskip(NEXT) | instid1(VALU_DEP_3)
	v_lshlrev_b64_e64 v[8:9], v8, 1
	v_mov_b64_e32 v[16:17], v[14:15]
	s_delay_alu instid0(VALU_DEP_3) | instskip(NEXT) | instid1(VALU_DEP_4)
	v_bfi_b32 v7, v7, 0, 0
	v_bfi_b32 v6, v6, 0, v54
	s_delay_alu instid0(VALU_DEP_1)
	v_cmpx_eq_u64_e64 v[6:7], v[8:9]
; %bb.1298:                             ;   in Loop: Header=BB6_128 Depth=2
	v_bfe_u32 v54, v14, 20, 1
	s_delay_alu instid0(VALU_DEP_1) | instskip(NEXT) | instid1(VALU_DEP_1)
	v_add_nc_u64_e32 v[6:7], v[14:15], v[54:55]
	v_add_nc_u64_e32 v[16:17], -1, v[6:7]
; %bb.1299:                             ;   in Loop: Header=BB6_128 Depth=2
	s_or_b32 exec_lo, exec_lo, s44
	v_add_nc_u32_e32 v4, 0xffffff81, v4
	v_lshrrev_b32_e32 v6, 23, v14
	s_mov_b32 s10, exec_lo
	s_delay_alu instid0(VALU_DEP_2) | instskip(NEXT) | instid1(VALU_DEP_1)
	v_cndmask_b32_e64 v4, v4, 0xffffff82, vcc_lo
	v_add3_u32 v5, v5, v4, v6
	v_and_b32_e32 v4, 0xfffff, v16
	s_delay_alu instid0(VALU_DEP_1) | instskip(NEXT) | instid1(VALU_DEP_1)
	v_dual_add_nc_u32 v6, 6, v5 :: v_dual_add_nc_u32 v54, v4, v14
                                        ; implicit-def: $vgpr14_vgpr15
                                        ; implicit-def: $vgpr4
	v_cmpx_ne_u32_e32 0, v6
	s_xor_b32 s10, exec_lo, s10
; %bb.1300:                             ;   in Loop: Header=BB6_128 Depth=2
	s_delay_alu instid0(VALU_DEP_2) | instskip(SKIP_2) | instid1(VALU_DEP_2)
	v_cmp_lt_u64_e32 vcc_lo, 0xffffff, v[54:55]
	v_add_nc_u32_e32 v4, 7, v5
	v_cndmask_b32_e64 v5, 0, 1, vcc_lo
	v_cndmask_b32_e32 v4, v6, v4, vcc_lo
	s_delay_alu instid0(VALU_DEP_2)
	v_lshrrev_b64 v[14:15], v5, v[54:55]
; %bb.1301:                             ;   in Loop: Header=BB6_128 Depth=2
	s_and_not1_saveexec_b32 s10, s10
; %bb.1302:                             ;   in Loop: Header=BB6_128 Depth=2
	v_mov_b64_e32 v[14:15], v[54:55]
	v_bfe_u32 v4, v54, 23, 1
; %bb.1303:                             ;   in Loop: Header=BB6_128 Depth=2
	s_or_b32 exec_lo, exec_lo, s10
	s_delay_alu instid0(VALU_DEP_2) | instskip(NEXT) | instid1(VALU_DEP_2)
	v_lshrrev_b64 v[6:7], 20, v[14:15]
	v_cmp_gt_i32_e32 vcc_lo, 16, v4
	v_min_i32_e32 v5, 15, v4
	v_cmp_eq_u32_e64 s10, 0, v4
	s_delay_alu instid0(VALU_DEP_2) | instskip(SKIP_1) | instid1(VALU_DEP_2)
	v_dual_cndmask_b32 v7, 0, v7, vcc_lo :: v_dual_lshlrev_b32 v5, 3, v5
	v_cndmask_b32_e32 v6, 7, v6, vcc_lo
	v_and_b32_e32 v5, 0xf8, v5
	s_delay_alu instid0(VALU_DEP_2) | instskip(NEXT) | instid1(VALU_DEP_2)
	v_cmp_eq_u64_e32 vcc_lo, 0, v[6:7]
	v_and_or_b32 v4, v6, 7, v5
	s_and_b32 s10, s10, vcc_lo
	s_delay_alu instid0(VALU_DEP_1) | instid1(SALU_CYCLE_1)
	v_cndmask_b32_e64 v4, v4, 0, s10
	s_delay_alu instid0(VALU_DEP_1)
	v_or_b32_e32 v78, v4, v3
.LBB6_1304:                             ;   in Loop: Header=BB6_128 Depth=2
	s_or_b32 exec_lo, exec_lo, s43
                                        ; implicit-def: $vgpr3
.LBB6_1305:                             ;   in Loop: Header=BB6_128 Depth=2
	s_and_not1_saveexec_b32 s10, s42
; %bb.1306:                             ;   in Loop: Header=BB6_128 Depth=2
	v_or_b32_e32 v78, 0x7e, v3
; %bb.1307:                             ;   in Loop: Header=BB6_128 Depth=2
	s_or_b32 exec_lo, exec_lo, s10
                                        ; implicit-def: $vgpr3
.LBB6_1308:                             ;   in Loop: Header=BB6_128 Depth=2
	s_and_not1_saveexec_b32 s10, s41
; %bb.1309:                             ;   in Loop: Header=BB6_128 Depth=2
	v_or_b32_e32 v78, 0x7f, v3
; %bb.1310:                             ;   in Loop: Header=BB6_128 Depth=2
	s_or_b32 exec_lo, exec_lo, s10
	v_dual_mov_b32 v4, 0 :: v_dual_lshrrev_b32 v3, 16, v10
	s_mov_b32 s10, exec_lo
	s_delay_alu instid0(VALU_DEP_1) | instskip(NEXT) | instid1(VALU_DEP_1)
	v_and_b32_e32 v5, 0xff, v3
	v_cmpx_ne_u16_e32 0, v5
	s_cbranch_execz .LBB6_1318
; %bb.1311:                             ;   in Loop: Header=BB6_128 Depth=2
	v_bfrev_b32_e32 v4, 1
	s_mov_b32 s41, exec_lo
	v_cmpx_ne_u16_e32 0x80, v5
	s_cbranch_execz .LBB6_1317
; %bb.1312:                             ;   in Loop: Header=BB6_128 Depth=2
	v_bfe_u32 v5, v10, 16, 7
	v_mov_b32_e32 v4, 0x7f800001
	s_mov_b32 s42, exec_lo
	s_delay_alu instid0(VALU_DEP_2)
	v_cmpx_ne_u32_e32 0x7f, v5
	s_cbranch_execz .LBB6_1316
; %bb.1313:                             ;   in Loop: Header=BB6_128 Depth=2
	v_dual_lshrrev_b32 v4, 3, v5 :: v_dual_bitop2_b32 v54, 7, v3 bitop3:0x40
	s_mov_b32 s43, exec_lo
	s_delay_alu instid0(VALU_DEP_1)
	v_mov_b64_e32 v[14:15], v[54:55]
	v_cmpx_gt_u32_e32 8, v5
; %bb.1314:                             ;   in Loop: Header=BB6_128 Depth=2
	v_clz_i32_u32_e32 v4, v54
	s_delay_alu instid0(VALU_DEP_1) | instskip(NEXT) | instid1(VALU_DEP_1)
	v_min_u32_e32 v4, 32, v4
	v_subrev_nc_u32_e32 v5, 28, v4
	s_delay_alu instid0(VALU_DEP_1) | instskip(NEXT) | instid1(VALU_DEP_1)
	v_lshlrev_b64_e32 v[6:7], v5, v[54:55]
	v_dual_sub_nc_u32 v4, 29, v4 :: v_dual_bitop2_b32 v14, 7, v6 bitop3:0x40
; %bb.1315:                             ;   in Loop: Header=BB6_128 Depth=2
	s_or_b32 exec_lo, exec_lo, s43
	s_delay_alu instid0(VALU_DEP_1) | instskip(NEXT) | instid1(VALU_DEP_2)
	v_dual_lshlrev_b32 v3, 24, v3 :: v_dual_lshlrev_b32 v5, 20, v14
	v_lshl_add_u32 v4, v4, 23, 0x3c000000
	s_delay_alu instid0(VALU_DEP_2) | instskip(NEXT) | instid1(VALU_DEP_1)
	v_and_b32_e32 v3, 0x80000000, v3
	v_or3_b32 v4, v5, v3, v4
.LBB6_1316:                             ;   in Loop: Header=BB6_128 Depth=2
	s_or_b32 exec_lo, exec_lo, s42
.LBB6_1317:                             ;   in Loop: Header=BB6_128 Depth=2
	s_delay_alu instid0(SALU_CYCLE_1)
	s_or_b32 exec_lo, exec_lo, s41
.LBB6_1318:                             ;   in Loop: Header=BB6_128 Depth=2
	s_delay_alu instid0(SALU_CYCLE_1) | instskip(NEXT) | instid1(VALU_DEP_1)
	s_or_b32 exec_lo, exec_lo, s10
	v_mul_f32_e32 v4, s40, v4
                                        ; implicit-def: $vgpr88
	s_mov_b32 s10, exec_lo
	s_delay_alu instid0(VALU_DEP_1) | instskip(SKIP_1) | instid1(VALU_DEP_2)
	v_and_b32_e32 v54, 0x7f800000, v4
	v_lshrrev_b32_e32 v3, 24, v4
	v_cmpx_ne_u64_e32 0x7f800000, v[54:55]
	s_xor_b32 s41, exec_lo, s10
	s_cbranch_execz .LBB6_1332
; %bb.1319:                             ;   in Loop: Header=BB6_128 Depth=2
	v_and_b32_e32 v54, 0x7fffffff, v4
	v_and_b32_e32 v3, 0x80, v3
                                        ; implicit-def: $vgpr88
	s_mov_b32 s10, exec_lo
	s_delay_alu instid0(VALU_DEP_2)
	v_cmpx_gt_u64_e32 0x43e00001, v[54:55]
	s_xor_b32 s42, exec_lo, s10
	s_cbranch_execz .LBB6_1329
; %bb.1320:                             ;   in Loop: Header=BB6_128 Depth=2
	v_mov_b32_e32 v88, 0
	s_mov_b32 s43, exec_lo
	v_cmpx_ne_u32_e32 0, v4
	s_cbranch_execz .LBB6_1328
; %bb.1321:                             ;   in Loop: Header=BB6_128 Depth=2
	v_and_b32_e32 v6, 0x7fffff, v4
	v_bfe_u32 v4, v4, 23, 8
	s_mov_b32 s44, exec_lo
	s_delay_alu instid0(VALU_DEP_2) | instskip(NEXT) | instid1(VALU_DEP_2)
	v_or_b32_e32 v7, 0x800000, v6
	v_cmp_eq_u32_e32 vcc_lo, 0, v4
	v_cmp_gt_u32_e64 s10, 0x7a, v4
	s_delay_alu instid0(VALU_DEP_3) | instskip(NEXT) | instid1(VALU_DEP_1)
	v_dual_cndmask_b32 v54, v7, v6 :: v_dual_sub_nc_u32 v5, 0x79, v4
	v_cndmask_b32_e64 v5, 0, v5, s10
	s_delay_alu instid0(VALU_DEP_1) | instskip(NEXT) | instid1(VALU_DEP_1)
	v_cndmask_b32_e64 v5, v5, 0x78, vcc_lo
	v_dual_add_nc_u32 v6, 20, v5 :: v_dual_add_nc_u32 v8, 19, v5
	s_delay_alu instid0(VALU_DEP_4) | instskip(NEXT) | instid1(VALU_DEP_2)
	v_lshrrev_b64 v[14:15], v5, v[54:55]
	v_lshlrev_b64_e64 v[6:7], v6, -1
	s_delay_alu instid0(VALU_DEP_3) | instskip(NEXT) | instid1(VALU_DEP_3)
	v_lshlrev_b64_e64 v[8:9], v8, 1
	v_mov_b64_e32 v[16:17], v[14:15]
	s_delay_alu instid0(VALU_DEP_3) | instskip(NEXT) | instid1(VALU_DEP_4)
	v_bfi_b32 v7, v7, 0, 0
	v_bfi_b32 v6, v6, 0, v54
	s_delay_alu instid0(VALU_DEP_1)
	v_cmpx_eq_u64_e64 v[6:7], v[8:9]
; %bb.1322:                             ;   in Loop: Header=BB6_128 Depth=2
	v_bfe_u32 v54, v14, 20, 1
	s_delay_alu instid0(VALU_DEP_1) | instskip(NEXT) | instid1(VALU_DEP_1)
	v_add_nc_u64_e32 v[6:7], v[14:15], v[54:55]
	v_add_nc_u64_e32 v[16:17], -1, v[6:7]
; %bb.1323:                             ;   in Loop: Header=BB6_128 Depth=2
	s_or_b32 exec_lo, exec_lo, s44
	v_add_nc_u32_e32 v4, 0xffffff81, v4
	v_lshrrev_b32_e32 v6, 23, v14
	s_mov_b32 s10, exec_lo
	s_delay_alu instid0(VALU_DEP_2) | instskip(NEXT) | instid1(VALU_DEP_1)
	v_cndmask_b32_e64 v4, v4, 0xffffff82, vcc_lo
	v_add3_u32 v5, v5, v4, v6
	v_and_b32_e32 v4, 0xfffff, v16
	s_delay_alu instid0(VALU_DEP_1) | instskip(NEXT) | instid1(VALU_DEP_1)
	v_dual_add_nc_u32 v6, 6, v5 :: v_dual_add_nc_u32 v54, v4, v14
                                        ; implicit-def: $vgpr14_vgpr15
                                        ; implicit-def: $vgpr4
	v_cmpx_ne_u32_e32 0, v6
	s_xor_b32 s10, exec_lo, s10
; %bb.1324:                             ;   in Loop: Header=BB6_128 Depth=2
	s_delay_alu instid0(VALU_DEP_2) | instskip(SKIP_2) | instid1(VALU_DEP_2)
	v_cmp_lt_u64_e32 vcc_lo, 0xffffff, v[54:55]
	v_add_nc_u32_e32 v4, 7, v5
	v_cndmask_b32_e64 v5, 0, 1, vcc_lo
	v_cndmask_b32_e32 v4, v6, v4, vcc_lo
	s_delay_alu instid0(VALU_DEP_2)
	v_lshrrev_b64 v[14:15], v5, v[54:55]
; %bb.1325:                             ;   in Loop: Header=BB6_128 Depth=2
	s_and_not1_saveexec_b32 s10, s10
; %bb.1326:                             ;   in Loop: Header=BB6_128 Depth=2
	v_mov_b64_e32 v[14:15], v[54:55]
	v_bfe_u32 v4, v54, 23, 1
; %bb.1327:                             ;   in Loop: Header=BB6_128 Depth=2
	s_or_b32 exec_lo, exec_lo, s10
	s_delay_alu instid0(VALU_DEP_2) | instskip(NEXT) | instid1(VALU_DEP_2)
	v_lshrrev_b64 v[6:7], 20, v[14:15]
	v_cmp_gt_i32_e32 vcc_lo, 16, v4
	v_min_i32_e32 v5, 15, v4
	v_cmp_eq_u32_e64 s10, 0, v4
	s_delay_alu instid0(VALU_DEP_2) | instskip(SKIP_1) | instid1(VALU_DEP_2)
	v_dual_cndmask_b32 v7, 0, v7, vcc_lo :: v_dual_lshlrev_b32 v5, 3, v5
	v_cndmask_b32_e32 v6, 7, v6, vcc_lo
	v_and_b32_e32 v5, 0xf8, v5
	s_delay_alu instid0(VALU_DEP_2) | instskip(NEXT) | instid1(VALU_DEP_2)
	v_cmp_eq_u64_e32 vcc_lo, 0, v[6:7]
	v_and_or_b32 v4, v6, 7, v5
	s_and_b32 s10, s10, vcc_lo
	s_delay_alu instid0(VALU_DEP_1) | instid1(SALU_CYCLE_1)
	v_cndmask_b32_e64 v4, v4, 0, s10
	s_delay_alu instid0(VALU_DEP_1)
	v_or_b32_e32 v88, v4, v3
.LBB6_1328:                             ;   in Loop: Header=BB6_128 Depth=2
	s_or_b32 exec_lo, exec_lo, s43
                                        ; implicit-def: $vgpr3
.LBB6_1329:                             ;   in Loop: Header=BB6_128 Depth=2
	s_and_not1_saveexec_b32 s10, s42
; %bb.1330:                             ;   in Loop: Header=BB6_128 Depth=2
	v_or_b32_e32 v88, 0x7e, v3
; %bb.1331:                             ;   in Loop: Header=BB6_128 Depth=2
	s_or_b32 exec_lo, exec_lo, s10
                                        ; implicit-def: $vgpr3
.LBB6_1332:                             ;   in Loop: Header=BB6_128 Depth=2
	s_and_not1_saveexec_b32 s10, s41
; %bb.1333:                             ;   in Loop: Header=BB6_128 Depth=2
	v_or_b32_e32 v88, 0x7f, v3
; %bb.1334:                             ;   in Loop: Header=BB6_128 Depth=2
	s_or_b32 exec_lo, exec_lo, s10
	v_mov_b32_e32 v4, 0
	s_mov_b32 s10, exec_lo
	v_cmpx_lt_u32_e32 0xffffff, v10
	s_cbranch_execz .LBB6_1342
; %bb.1335:                             ;   in Loop: Header=BB6_128 Depth=2
	v_lshrrev_b32_e32 v3, 24, v10
	v_bfrev_b32_e32 v4, 1
	s_mov_b32 s41, exec_lo
	s_delay_alu instid0(VALU_DEP_2)
	v_cmpx_ne_u32_e32 0x80, v3
	s_cbranch_execz .LBB6_1341
; %bb.1336:                             ;   in Loop: Header=BB6_128 Depth=2
	v_bfe_u32 v5, v10, 24, 7
	v_mov_b32_e32 v4, 0x7f800001
	s_mov_b32 s42, exec_lo
	s_delay_alu instid0(VALU_DEP_2)
	v_cmpx_ne_u32_e32 0x7f, v5
	s_cbranch_execz .LBB6_1340
; %bb.1337:                             ;   in Loop: Header=BB6_128 Depth=2
	v_dual_lshrrev_b32 v4, 3, v5 :: v_dual_bitop2_b32 v54, 7, v3 bitop3:0x40
	s_mov_b32 s43, exec_lo
	s_delay_alu instid0(VALU_DEP_1)
	v_mov_b64_e32 v[14:15], v[54:55]
	v_cmpx_gt_u32_e32 8, v5
; %bb.1338:                             ;   in Loop: Header=BB6_128 Depth=2
	v_clz_i32_u32_e32 v4, v54
	s_delay_alu instid0(VALU_DEP_1) | instskip(NEXT) | instid1(VALU_DEP_1)
	v_min_u32_e32 v4, 32, v4
	v_subrev_nc_u32_e32 v5, 28, v4
	s_delay_alu instid0(VALU_DEP_1) | instskip(NEXT) | instid1(VALU_DEP_1)
	v_lshlrev_b64_e32 v[6:7], v5, v[54:55]
	v_dual_sub_nc_u32 v4, 29, v4 :: v_dual_bitop2_b32 v14, 7, v6 bitop3:0x40
; %bb.1339:                             ;   in Loop: Header=BB6_128 Depth=2
	s_or_b32 exec_lo, exec_lo, s43
	s_delay_alu instid0(VALU_DEP_1) | instskip(NEXT) | instid1(VALU_DEP_2)
	v_dual_lshlrev_b32 v3, 24, v3 :: v_dual_lshlrev_b32 v5, 20, v14
	v_lshl_add_u32 v4, v4, 23, 0x3c000000
	s_delay_alu instid0(VALU_DEP_2) | instskip(NEXT) | instid1(VALU_DEP_1)
	v_and_b32_e32 v3, 0x80000000, v3
	v_or3_b32 v4, v5, v3, v4
.LBB6_1340:                             ;   in Loop: Header=BB6_128 Depth=2
	s_or_b32 exec_lo, exec_lo, s42
.LBB6_1341:                             ;   in Loop: Header=BB6_128 Depth=2
	s_delay_alu instid0(SALU_CYCLE_1)
	s_or_b32 exec_lo, exec_lo, s41
.LBB6_1342:                             ;   in Loop: Header=BB6_128 Depth=2
	s_delay_alu instid0(SALU_CYCLE_1) | instskip(NEXT) | instid1(VALU_DEP_1)
	s_or_b32 exec_lo, exec_lo, s10
	v_mul_f32_e32 v4, s40, v4
                                        ; implicit-def: $vgpr91
	s_mov_b32 s10, exec_lo
	s_delay_alu instid0(VALU_DEP_1) | instskip(SKIP_1) | instid1(VALU_DEP_2)
	v_and_b32_e32 v54, 0x7f800000, v4
	v_lshrrev_b32_e32 v3, 24, v4
	v_cmpx_ne_u64_e32 0x7f800000, v[54:55]
	s_xor_b32 s41, exec_lo, s10
	s_cbranch_execz .LBB6_1356
; %bb.1343:                             ;   in Loop: Header=BB6_128 Depth=2
	v_and_b32_e32 v54, 0x7fffffff, v4
	v_and_b32_e32 v3, 0x80, v3
                                        ; implicit-def: $vgpr91
	s_mov_b32 s10, exec_lo
	s_delay_alu instid0(VALU_DEP_2)
	v_cmpx_gt_u64_e32 0x43e00001, v[54:55]
	s_xor_b32 s42, exec_lo, s10
	s_cbranch_execz .LBB6_1353
; %bb.1344:                             ;   in Loop: Header=BB6_128 Depth=2
	v_mov_b32_e32 v91, 0
	s_mov_b32 s43, exec_lo
	v_cmpx_ne_u32_e32 0, v4
	s_cbranch_execz .LBB6_1352
; %bb.1345:                             ;   in Loop: Header=BB6_128 Depth=2
	v_and_b32_e32 v6, 0x7fffff, v4
	v_bfe_u32 v4, v4, 23, 8
	s_mov_b32 s44, exec_lo
	s_delay_alu instid0(VALU_DEP_2) | instskip(NEXT) | instid1(VALU_DEP_2)
	v_or_b32_e32 v7, 0x800000, v6
	v_cmp_eq_u32_e32 vcc_lo, 0, v4
	v_cmp_gt_u32_e64 s10, 0x7a, v4
	s_delay_alu instid0(VALU_DEP_3) | instskip(NEXT) | instid1(VALU_DEP_1)
	v_dual_cndmask_b32 v54, v7, v6 :: v_dual_sub_nc_u32 v5, 0x79, v4
	v_cndmask_b32_e64 v5, 0, v5, s10
	s_delay_alu instid0(VALU_DEP_1) | instskip(NEXT) | instid1(VALU_DEP_1)
	v_cndmask_b32_e64 v5, v5, 0x78, vcc_lo
	v_dual_add_nc_u32 v6, 20, v5 :: v_dual_add_nc_u32 v8, 19, v5
	s_delay_alu instid0(VALU_DEP_4) | instskip(NEXT) | instid1(VALU_DEP_2)
	v_lshrrev_b64 v[14:15], v5, v[54:55]
	v_lshlrev_b64_e64 v[6:7], v6, -1
	s_delay_alu instid0(VALU_DEP_3) | instskip(NEXT) | instid1(VALU_DEP_3)
	v_lshlrev_b64_e64 v[8:9], v8, 1
	v_mov_b64_e32 v[16:17], v[14:15]
	s_delay_alu instid0(VALU_DEP_3) | instskip(NEXT) | instid1(VALU_DEP_4)
	v_bfi_b32 v7, v7, 0, 0
	v_bfi_b32 v6, v6, 0, v54
	s_delay_alu instid0(VALU_DEP_1)
	v_cmpx_eq_u64_e64 v[6:7], v[8:9]
; %bb.1346:                             ;   in Loop: Header=BB6_128 Depth=2
	v_bfe_u32 v54, v14, 20, 1
	s_delay_alu instid0(VALU_DEP_1) | instskip(NEXT) | instid1(VALU_DEP_1)
	v_add_nc_u64_e32 v[6:7], v[14:15], v[54:55]
	v_add_nc_u64_e32 v[16:17], -1, v[6:7]
; %bb.1347:                             ;   in Loop: Header=BB6_128 Depth=2
	s_or_b32 exec_lo, exec_lo, s44
	v_add_nc_u32_e32 v4, 0xffffff81, v4
	v_lshrrev_b32_e32 v6, 23, v14
	s_mov_b32 s10, exec_lo
	s_delay_alu instid0(VALU_DEP_2) | instskip(NEXT) | instid1(VALU_DEP_1)
	v_cndmask_b32_e64 v4, v4, 0xffffff82, vcc_lo
	v_add3_u32 v5, v5, v4, v6
	v_and_b32_e32 v4, 0xfffff, v16
	s_delay_alu instid0(VALU_DEP_1) | instskip(NEXT) | instid1(VALU_DEP_1)
	v_dual_add_nc_u32 v6, 6, v5 :: v_dual_add_nc_u32 v54, v4, v14
                                        ; implicit-def: $vgpr14_vgpr15
                                        ; implicit-def: $vgpr4
	v_cmpx_ne_u32_e32 0, v6
	s_xor_b32 s10, exec_lo, s10
; %bb.1348:                             ;   in Loop: Header=BB6_128 Depth=2
	s_delay_alu instid0(VALU_DEP_2) | instskip(SKIP_2) | instid1(VALU_DEP_2)
	v_cmp_lt_u64_e32 vcc_lo, 0xffffff, v[54:55]
	v_add_nc_u32_e32 v4, 7, v5
	v_cndmask_b32_e64 v5, 0, 1, vcc_lo
	v_cndmask_b32_e32 v4, v6, v4, vcc_lo
	s_delay_alu instid0(VALU_DEP_2)
	v_lshrrev_b64 v[14:15], v5, v[54:55]
; %bb.1349:                             ;   in Loop: Header=BB6_128 Depth=2
	s_and_not1_saveexec_b32 s10, s10
; %bb.1350:                             ;   in Loop: Header=BB6_128 Depth=2
	v_mov_b64_e32 v[14:15], v[54:55]
	v_bfe_u32 v4, v54, 23, 1
; %bb.1351:                             ;   in Loop: Header=BB6_128 Depth=2
	s_or_b32 exec_lo, exec_lo, s10
	s_delay_alu instid0(VALU_DEP_2) | instskip(NEXT) | instid1(VALU_DEP_2)
	v_lshrrev_b64 v[6:7], 20, v[14:15]
	v_cmp_gt_i32_e32 vcc_lo, 16, v4
	v_min_i32_e32 v5, 15, v4
	v_cmp_eq_u32_e64 s10, 0, v4
	s_delay_alu instid0(VALU_DEP_2) | instskip(SKIP_1) | instid1(VALU_DEP_2)
	v_dual_cndmask_b32 v7, 0, v7, vcc_lo :: v_dual_lshlrev_b32 v5, 3, v5
	v_cndmask_b32_e32 v6, 7, v6, vcc_lo
	v_and_b32_e32 v5, 0xf8, v5
	s_delay_alu instid0(VALU_DEP_2) | instskip(NEXT) | instid1(VALU_DEP_2)
	v_cmp_eq_u64_e32 vcc_lo, 0, v[6:7]
	v_and_or_b32 v4, v6, 7, v5
	s_and_b32 s10, s10, vcc_lo
	s_delay_alu instid0(VALU_DEP_1) | instid1(SALU_CYCLE_1)
	v_cndmask_b32_e64 v4, v4, 0, s10
	s_delay_alu instid0(VALU_DEP_1)
	v_or_b32_e32 v91, v4, v3
.LBB6_1352:                             ;   in Loop: Header=BB6_128 Depth=2
	s_or_b32 exec_lo, exec_lo, s43
                                        ; implicit-def: $vgpr3
.LBB6_1353:                             ;   in Loop: Header=BB6_128 Depth=2
	s_and_not1_saveexec_b32 s10, s42
; %bb.1354:                             ;   in Loop: Header=BB6_128 Depth=2
	v_or_b32_e32 v91, 0x7e, v3
; %bb.1355:                             ;   in Loop: Header=BB6_128 Depth=2
	s_or_b32 exec_lo, exec_lo, s10
                                        ; implicit-def: $vgpr3
.LBB6_1356:                             ;   in Loop: Header=BB6_128 Depth=2
	s_and_not1_saveexec_b32 s10, s41
; %bb.1357:                             ;   in Loop: Header=BB6_128 Depth=2
	v_or_b32_e32 v91, 0x7f, v3
; %bb.1358:                             ;   in Loop: Header=BB6_128 Depth=2
	s_or_b32 exec_lo, exec_lo, s10
	v_and_b32_e32 v4, 0xff, v11
	v_dual_mov_b32 v54, v11 :: v_dual_mov_b32 v3, 0
	s_mov_b32 s10, exec_lo
	s_delay_alu instid0(VALU_DEP_2)
	v_cmpx_ne_u16_e32 0, v4
	s_cbranch_execz .LBB6_1364
; %bb.1359:                             ;   in Loop: Header=BB6_128 Depth=2
	v_bfrev_b32_e32 v3, 1
	s_mov_b32 s41, exec_lo
	v_cmpx_ne_u16_e32 0x80, v4
	s_cbranch_execz .LBB6_1363
; %bb.1360:                             ;   in Loop: Header=BB6_128 Depth=2
	v_and_b32_e32 v4, 0x7f, v11
	v_mov_b32_e32 v3, 0x7f800001
	s_mov_b32 s42, exec_lo
	s_delay_alu instid0(VALU_DEP_2)
	v_cmpx_ne_u32_e32 0x7f, v4
	s_cbranch_execz .LBB6_1362
; %bb.1361:                             ;   in Loop: Header=BB6_128 Depth=2
	v_dual_lshrrev_b32 v5, 3, v4 :: v_dual_bitop2_b32 v3, 7, v11 bitop3:0x40
	v_cmp_gt_u32_e32 vcc_lo, 8, v4
	s_delay_alu instid0(VALU_DEP_2) | instskip(NEXT) | instid1(VALU_DEP_1)
	v_clz_i32_u32_e32 v3, v3
	v_min_u32_e32 v3, 32, v3
	s_delay_alu instid0(VALU_DEP_1) | instskip(NEXT) | instid1(VALU_DEP_1)
	v_subrev_nc_u32_e32 v4, 28, v3
	v_dual_cndmask_b32 v4, 0, v4 :: v_dual_sub_nc_u32 v3, 29, v3
	s_delay_alu instid0(VALU_DEP_1) | instskip(NEXT) | instid1(VALU_DEP_2)
	v_cndmask_b32_e32 v3, v5, v3, vcc_lo
	v_lshlrev_b64_e32 v[4:5], v4, v[54:55]
	v_lshlrev_b32_e32 v5, 24, v54
	s_delay_alu instid0(VALU_DEP_1) | instskip(NEXT) | instid1(VALU_DEP_3)
	v_and_b32_e32 v5, 0x80000000, v5
	v_lshlrev_b32_e32 v4, 20, v4
	v_lshl_add_u32 v3, v3, 23, 0x3c000000
	s_delay_alu instid0(VALU_DEP_2) | instskip(NEXT) | instid1(VALU_DEP_1)
	v_and_b32_e32 v4, 0x700000, v4
	v_or3_b32 v3, v4, v5, v3
.LBB6_1362:                             ;   in Loop: Header=BB6_128 Depth=2
	s_or_b32 exec_lo, exec_lo, s42
.LBB6_1363:                             ;   in Loop: Header=BB6_128 Depth=2
	s_delay_alu instid0(SALU_CYCLE_1)
	s_or_b32 exec_lo, exec_lo, s41
.LBB6_1364:                             ;   in Loop: Header=BB6_128 Depth=2
	s_delay_alu instid0(SALU_CYCLE_1) | instskip(NEXT) | instid1(VALU_DEP_1)
	s_or_b32 exec_lo, exec_lo, s10
	v_dual_mul_f32 v4, s40, v3 :: v_dual_mov_b32 v7, v55
                                        ; implicit-def: $vgpr60
	s_mov_b32 s10, exec_lo
	s_delay_alu instid0(VALU_DEP_1) | instskip(SKIP_1) | instid1(VALU_DEP_2)
	v_and_b32_e32 v6, 0x7f800000, v4
	v_lshrrev_b32_e32 v3, 24, v4
	v_cmpx_ne_u64_e32 0x7f800000, v[6:7]
	s_xor_b32 s41, exec_lo, s10
	s_cbranch_execz .LBB6_1378
; %bb.1365:                             ;   in Loop: Header=BB6_128 Depth=2
	v_and_b32_e32 v6, 0x7fffffff, v4
	v_mov_b32_e32 v7, v55
	v_and_b32_e32 v3, 0x80, v3
                                        ; implicit-def: $vgpr60
	s_mov_b32 s10, exec_lo
	s_delay_alu instid0(VALU_DEP_2)
	v_cmpx_gt_u64_e32 0x43e00001, v[6:7]
	s_xor_b32 s42, exec_lo, s10
	s_cbranch_execz .LBB6_1375
; %bb.1366:                             ;   in Loop: Header=BB6_128 Depth=2
	v_mov_b32_e32 v60, 0
	s_mov_b32 s43, exec_lo
	v_cmpx_ne_u32_e32 0, v4
	s_cbranch_execz .LBB6_1374
; %bb.1367:                             ;   in Loop: Header=BB6_128 Depth=2
	v_and_b32_e32 v6, 0x7fffff, v4
	v_bfe_u32 v4, v4, 23, 8
	s_delay_alu instid0(VALU_DEP_2) | instskip(NEXT) | instid1(VALU_DEP_2)
	v_or_b32_e32 v7, 0x800000, v6
	v_cmp_eq_u32_e32 vcc_lo, 0, v4
	v_cmp_gt_u32_e64 s10, 0x7a, v4
	s_delay_alu instid0(VALU_DEP_3) | instskip(NEXT) | instid1(VALU_DEP_1)
	v_dual_cndmask_b32 v6, v7, v6 :: v_dual_sub_nc_u32 v5, 0x79, v4
	v_dual_mov_b32 v7, v55 :: v_dual_cndmask_b32 v5, 0, v5, s10
	s_delay_alu instid0(VALU_DEP_1) | instskip(NEXT) | instid1(VALU_DEP_1)
	v_cndmask_b32_e64 v5, v5, 0x78, vcc_lo
	v_dual_add_nc_u32 v8, 20, v5 :: v_dual_add_nc_u32 v14, 19, v5
	s_delay_alu instid0(VALU_DEP_1) | instskip(NEXT) | instid1(VALU_DEP_2)
	v_lshlrev_b64_e64 v[8:9], v8, -1
	v_lshlrev_b64_e64 v[14:15], v14, 1
	s_delay_alu instid0(VALU_DEP_2) | instskip(NEXT) | instid1(VALU_DEP_3)
	v_bfi_b32 v9, v9, 0, 0
	v_bfi_b32 v8, v8, 0, v6
	s_delay_alu instid0(VALU_DEP_1) | instskip(SKIP_1) | instid1(VALU_DEP_1)
	v_cmp_eq_u64_e64 s10, v[8:9], v[14:15]
	v_lshrrev_b64 v[14:15], v5, v[6:7]
	v_mov_b64_e32 v[16:17], v[14:15]
	s_and_saveexec_b32 s44, s10
; %bb.1368:                             ;   in Loop: Header=BB6_128 Depth=2
	v_bfe_u32 v6, v14, 20, 1
	v_mov_b32_e32 v7, v55
	s_delay_alu instid0(VALU_DEP_1) | instskip(NEXT) | instid1(VALU_DEP_1)
	v_add_nc_u64_e32 v[6:7], v[14:15], v[6:7]
	v_add_nc_u64_e32 v[16:17], -1, v[6:7]
; %bb.1369:                             ;   in Loop: Header=BB6_128 Depth=2
	s_or_b32 exec_lo, exec_lo, s44
	v_dual_mov_b32 v15, v55 :: v_dual_add_nc_u32 v4, 0xffffff81, v4
	v_lshrrev_b32_e32 v6, 23, v14
	s_mov_b32 s10, exec_lo
	s_delay_alu instid0(VALU_DEP_2) | instskip(NEXT) | instid1(VALU_DEP_1)
	v_cndmask_b32_e64 v4, v4, 0xffffff82, vcc_lo
	v_add3_u32 v6, v5, v4, v6
	v_and_b32_e32 v4, 0xfffff, v16
	s_delay_alu instid0(VALU_DEP_2) | instskip(NEXT) | instid1(VALU_DEP_2)
	v_add_nc_u32_e32 v5, 6, v6
	v_add_nc_u32_e32 v14, v4, v14
                                        ; implicit-def: $vgpr4
	s_delay_alu instid0(VALU_DEP_2)
	v_cmpx_ne_u32_e32 0, v5
	s_xor_b32 s10, exec_lo, s10
; %bb.1370:                             ;   in Loop: Header=BB6_128 Depth=2
	s_delay_alu instid0(VALU_DEP_2) | instskip(SKIP_1) | instid1(VALU_DEP_1)
	v_cmp_lt_u64_e32 vcc_lo, 0xffffff, v[14:15]
	v_add_nc_u32_e32 v4, 7, v6
	v_cndmask_b32_e32 v4, v5, v4, vcc_lo
	v_cndmask_b32_e64 v5, 0, 1, vcc_lo
	s_delay_alu instid0(VALU_DEP_1)
	v_lshrrev_b64 v[14:15], v5, v[14:15]
; %bb.1371:                             ;   in Loop: Header=BB6_128 Depth=2
	s_and_not1_saveexec_b32 s10, s10
; %bb.1372:                             ;   in Loop: Header=BB6_128 Depth=2
	s_delay_alu instid0(VALU_DEP_1)
	v_bfe_u32 v4, v14, 23, 1
; %bb.1373:                             ;   in Loop: Header=BB6_128 Depth=2
	s_or_b32 exec_lo, exec_lo, s10
	s_delay_alu instid0(VALU_DEP_2) | instskip(NEXT) | instid1(VALU_DEP_2)
	v_lshrrev_b64 v[6:7], 20, v[14:15]
	v_cmp_gt_i32_e32 vcc_lo, 16, v4
	v_min_i32_e32 v5, 15, v4
	v_cmp_eq_u32_e64 s10, 0, v4
	s_delay_alu instid0(VALU_DEP_2) | instskip(SKIP_1) | instid1(VALU_DEP_2)
	v_dual_cndmask_b32 v7, 0, v7, vcc_lo :: v_dual_lshlrev_b32 v5, 3, v5
	v_cndmask_b32_e32 v6, 7, v6, vcc_lo
	v_and_b32_e32 v5, 0xf8, v5
	s_delay_alu instid0(VALU_DEP_2) | instskip(NEXT) | instid1(VALU_DEP_2)
	v_cmp_eq_u64_e32 vcc_lo, 0, v[6:7]
	v_and_or_b32 v4, v6, 7, v5
	s_and_b32 s10, s10, vcc_lo
	s_delay_alu instid0(VALU_DEP_1) | instid1(SALU_CYCLE_1)
	v_cndmask_b32_e64 v4, v4, 0, s10
	s_delay_alu instid0(VALU_DEP_1)
	v_or_b32_e32 v60, v4, v3
.LBB6_1374:                             ;   in Loop: Header=BB6_128 Depth=2
	s_or_b32 exec_lo, exec_lo, s43
                                        ; implicit-def: $vgpr3
.LBB6_1375:                             ;   in Loop: Header=BB6_128 Depth=2
	s_and_not1_saveexec_b32 s10, s42
; %bb.1376:                             ;   in Loop: Header=BB6_128 Depth=2
	v_or_b32_e32 v60, 0x7e, v3
; %bb.1377:                             ;   in Loop: Header=BB6_128 Depth=2
	s_or_b32 exec_lo, exec_lo, s10
                                        ; implicit-def: $vgpr3
.LBB6_1378:                             ;   in Loop: Header=BB6_128 Depth=2
	s_and_not1_saveexec_b32 s10, s41
; %bb.1379:                             ;   in Loop: Header=BB6_128 Depth=2
	v_or_b32_e32 v60, 0x7f, v3
; %bb.1380:                             ;   in Loop: Header=BB6_128 Depth=2
	s_or_b32 exec_lo, exec_lo, s10
	v_lshrrev_b16 v4, 8, v54
	v_mov_b32_e32 v3, 0
	s_mov_b32 s10, exec_lo
	s_delay_alu instid0(VALU_DEP_2)
	v_cmpx_ne_u16_e32 0, v4
	s_cbranch_execz .LBB6_1388
; %bb.1381:                             ;   in Loop: Header=BB6_128 Depth=2
	v_bfrev_b32_e32 v3, 1
	s_mov_b32 s41, exec_lo
	v_cmpx_ne_u16_e32 0x80, v4
	s_cbranch_execz .LBB6_1387
; %bb.1382:                             ;   in Loop: Header=BB6_128 Depth=2
	v_and_b32_e32 v5, 0xffff, v4
	v_mov_b32_e32 v3, 0x7f800001
	s_mov_b32 s42, exec_lo
	s_delay_alu instid0(VALU_DEP_2) | instskip(NEXT) | instid1(VALU_DEP_1)
	v_and_b32_e32 v4, 0x7f, v5
	v_cmpx_ne_u32_e32 0x7f, v4
	s_cbranch_execz .LBB6_1386
; %bb.1383:                             ;   in Loop: Header=BB6_128 Depth=2
	v_dual_mov_b32 v15, v55 :: v_dual_bitop2_b32 v14, 7, v5 bitop3:0x40
	v_lshrrev_b32_e32 v3, 3, v4
	s_mov_b32 s43, exec_lo
	v_cmpx_gt_u32_e32 8, v4
; %bb.1384:                             ;   in Loop: Header=BB6_128 Depth=2
	s_delay_alu instid0(VALU_DEP_3) | instskip(NEXT) | instid1(VALU_DEP_1)
	v_clz_i32_u32_e32 v3, v14
	v_min_u32_e32 v3, 32, v3
	s_delay_alu instid0(VALU_DEP_1) | instskip(NEXT) | instid1(VALU_DEP_1)
	v_subrev_nc_u32_e32 v4, 28, v3
	v_lshlrev_b64_e32 v[4:5], v4, v[14:15]
	s_delay_alu instid0(VALU_DEP_1)
	v_dual_sub_nc_u32 v3, 29, v3 :: v_dual_bitop2_b32 v14, 7, v4 bitop3:0x40
; %bb.1385:                             ;   in Loop: Header=BB6_128 Depth=2
	s_or_b32 exec_lo, exec_lo, s43
	v_lshlrev_b32_e32 v4, 16, v54
	s_delay_alu instid0(VALU_DEP_2) | instskip(NEXT) | instid1(VALU_DEP_3)
	v_lshlrev_b32_e32 v5, 20, v14
	v_lshl_add_u32 v3, v3, 23, 0x3c000000
	s_delay_alu instid0(VALU_DEP_3) | instskip(NEXT) | instid1(VALU_DEP_1)
	v_and_b32_e32 v4, 0x80000000, v4
	v_or3_b32 v3, v5, v4, v3
.LBB6_1386:                             ;   in Loop: Header=BB6_128 Depth=2
	s_or_b32 exec_lo, exec_lo, s42
.LBB6_1387:                             ;   in Loop: Header=BB6_128 Depth=2
	s_delay_alu instid0(SALU_CYCLE_1)
	s_or_b32 exec_lo, exec_lo, s41
.LBB6_1388:                             ;   in Loop: Header=BB6_128 Depth=2
	s_delay_alu instid0(SALU_CYCLE_1) | instskip(NEXT) | instid1(VALU_DEP_1)
	s_or_b32 exec_lo, exec_lo, s10
	v_mul_f32_e32 v4, s40, v3
                                        ; implicit-def: $vgpr75
	s_mov_b32 s10, exec_lo
	s_delay_alu instid0(VALU_DEP_1) | instskip(SKIP_1) | instid1(VALU_DEP_2)
	v_and_b32_e32 v54, 0x7f800000, v4
	v_lshrrev_b32_e32 v3, 24, v4
	v_cmpx_ne_u64_e32 0x7f800000, v[54:55]
	s_xor_b32 s41, exec_lo, s10
	s_cbranch_execz .LBB6_1402
; %bb.1389:                             ;   in Loop: Header=BB6_128 Depth=2
	v_and_b32_e32 v54, 0x7fffffff, v4
	v_and_b32_e32 v3, 0x80, v3
                                        ; implicit-def: $vgpr75
	s_mov_b32 s10, exec_lo
	s_delay_alu instid0(VALU_DEP_2)
	v_cmpx_gt_u64_e32 0x43e00001, v[54:55]
	s_xor_b32 s42, exec_lo, s10
	s_cbranch_execz .LBB6_1399
; %bb.1390:                             ;   in Loop: Header=BB6_128 Depth=2
	v_mov_b32_e32 v75, 0
	s_mov_b32 s43, exec_lo
	v_cmpx_ne_u32_e32 0, v4
	s_cbranch_execz .LBB6_1398
; %bb.1391:                             ;   in Loop: Header=BB6_128 Depth=2
	v_and_b32_e32 v6, 0x7fffff, v4
	v_bfe_u32 v4, v4, 23, 8
	s_mov_b32 s44, exec_lo
	s_delay_alu instid0(VALU_DEP_2) | instskip(NEXT) | instid1(VALU_DEP_2)
	v_or_b32_e32 v7, 0x800000, v6
	v_cmp_eq_u32_e32 vcc_lo, 0, v4
	v_cmp_gt_u32_e64 s10, 0x7a, v4
	s_delay_alu instid0(VALU_DEP_3) | instskip(NEXT) | instid1(VALU_DEP_1)
	v_dual_cndmask_b32 v54, v7, v6 :: v_dual_sub_nc_u32 v5, 0x79, v4
	v_cndmask_b32_e64 v5, 0, v5, s10
	s_delay_alu instid0(VALU_DEP_1) | instskip(NEXT) | instid1(VALU_DEP_1)
	v_cndmask_b32_e64 v5, v5, 0x78, vcc_lo
	v_dual_add_nc_u32 v6, 20, v5 :: v_dual_add_nc_u32 v8, 19, v5
	s_delay_alu instid0(VALU_DEP_4) | instskip(NEXT) | instid1(VALU_DEP_2)
	v_lshrrev_b64 v[14:15], v5, v[54:55]
	v_lshlrev_b64_e64 v[6:7], v6, -1
	s_delay_alu instid0(VALU_DEP_3) | instskip(NEXT) | instid1(VALU_DEP_3)
	v_lshlrev_b64_e64 v[8:9], v8, 1
	v_mov_b64_e32 v[16:17], v[14:15]
	s_delay_alu instid0(VALU_DEP_3) | instskip(NEXT) | instid1(VALU_DEP_4)
	v_bfi_b32 v7, v7, 0, 0
	v_bfi_b32 v6, v6, 0, v54
	s_delay_alu instid0(VALU_DEP_1)
	v_cmpx_eq_u64_e64 v[6:7], v[8:9]
; %bb.1392:                             ;   in Loop: Header=BB6_128 Depth=2
	v_bfe_u32 v54, v14, 20, 1
	s_delay_alu instid0(VALU_DEP_1) | instskip(NEXT) | instid1(VALU_DEP_1)
	v_add_nc_u64_e32 v[6:7], v[14:15], v[54:55]
	v_add_nc_u64_e32 v[16:17], -1, v[6:7]
; %bb.1393:                             ;   in Loop: Header=BB6_128 Depth=2
	s_or_b32 exec_lo, exec_lo, s44
	v_add_nc_u32_e32 v4, 0xffffff81, v4
	v_lshrrev_b32_e32 v6, 23, v14
	s_mov_b32 s10, exec_lo
	s_delay_alu instid0(VALU_DEP_2) | instskip(NEXT) | instid1(VALU_DEP_1)
	v_cndmask_b32_e64 v4, v4, 0xffffff82, vcc_lo
	v_add3_u32 v6, v5, v4, v6
	v_and_b32_e32 v4, 0xfffff, v16
	s_delay_alu instid0(VALU_DEP_2) | instskip(NEXT) | instid1(VALU_DEP_2)
	v_add_nc_u32_e32 v5, 6, v6
	v_add_nc_u32_e32 v54, v4, v14
                                        ; implicit-def: $vgpr14_vgpr15
                                        ; implicit-def: $vgpr4
	s_delay_alu instid0(VALU_DEP_2)
	v_cmpx_ne_u32_e32 0, v5
	s_xor_b32 s10, exec_lo, s10
; %bb.1394:                             ;   in Loop: Header=BB6_128 Depth=2
	s_delay_alu instid0(VALU_DEP_2) | instskip(SKIP_1) | instid1(VALU_DEP_1)
	v_cmp_lt_u64_e32 vcc_lo, 0xffffff, v[54:55]
	v_add_nc_u32_e32 v4, 7, v6
	v_cndmask_b32_e32 v4, v5, v4, vcc_lo
	v_cndmask_b32_e64 v5, 0, 1, vcc_lo
	s_delay_alu instid0(VALU_DEP_1)
	v_lshrrev_b64 v[14:15], v5, v[54:55]
; %bb.1395:                             ;   in Loop: Header=BB6_128 Depth=2
	s_and_not1_saveexec_b32 s10, s10
; %bb.1396:                             ;   in Loop: Header=BB6_128 Depth=2
	v_mov_b64_e32 v[14:15], v[54:55]
	v_bfe_u32 v4, v54, 23, 1
; %bb.1397:                             ;   in Loop: Header=BB6_128 Depth=2
	s_or_b32 exec_lo, exec_lo, s10
	s_delay_alu instid0(VALU_DEP_2) | instskip(NEXT) | instid1(VALU_DEP_2)
	v_lshrrev_b64 v[6:7], 20, v[14:15]
	v_cmp_gt_i32_e32 vcc_lo, 16, v4
	v_min_i32_e32 v5, 15, v4
	v_cmp_eq_u32_e64 s10, 0, v4
	s_delay_alu instid0(VALU_DEP_2) | instskip(SKIP_1) | instid1(VALU_DEP_2)
	v_dual_cndmask_b32 v7, 0, v7, vcc_lo :: v_dual_lshlrev_b32 v5, 3, v5
	v_cndmask_b32_e32 v6, 7, v6, vcc_lo
	v_and_b32_e32 v5, 0xf8, v5
	s_delay_alu instid0(VALU_DEP_2) | instskip(NEXT) | instid1(VALU_DEP_2)
	v_cmp_eq_u64_e32 vcc_lo, 0, v[6:7]
	v_and_or_b32 v4, v6, 7, v5
	s_and_b32 s10, s10, vcc_lo
	s_delay_alu instid0(VALU_DEP_1) | instid1(SALU_CYCLE_1)
	v_cndmask_b32_e64 v4, v4, 0, s10
	s_delay_alu instid0(VALU_DEP_1)
	v_or_b32_e32 v75, v4, v3
.LBB6_1398:                             ;   in Loop: Header=BB6_128 Depth=2
	s_or_b32 exec_lo, exec_lo, s43
                                        ; implicit-def: $vgpr3
.LBB6_1399:                             ;   in Loop: Header=BB6_128 Depth=2
	s_and_not1_saveexec_b32 s10, s42
; %bb.1400:                             ;   in Loop: Header=BB6_128 Depth=2
	v_or_b32_e32 v75, 0x7e, v3
; %bb.1401:                             ;   in Loop: Header=BB6_128 Depth=2
	s_or_b32 exec_lo, exec_lo, s10
                                        ; implicit-def: $vgpr3
.LBB6_1402:                             ;   in Loop: Header=BB6_128 Depth=2
	s_and_not1_saveexec_b32 s10, s41
; %bb.1403:                             ;   in Loop: Header=BB6_128 Depth=2
	v_or_b32_e32 v75, 0x7f, v3
; %bb.1404:                             ;   in Loop: Header=BB6_128 Depth=2
	s_or_b32 exec_lo, exec_lo, s10
	v_dual_mov_b32 v4, 0 :: v_dual_lshrrev_b32 v3, 16, v11
	s_mov_b32 s10, exec_lo
	s_delay_alu instid0(VALU_DEP_1) | instskip(NEXT) | instid1(VALU_DEP_1)
	v_and_b32_e32 v5, 0xff, v3
	v_cmpx_ne_u16_e32 0, v5
	s_cbranch_execz .LBB6_1412
; %bb.1405:                             ;   in Loop: Header=BB6_128 Depth=2
	v_bfrev_b32_e32 v4, 1
	s_mov_b32 s41, exec_lo
	v_cmpx_ne_u16_e32 0x80, v5
	s_cbranch_execz .LBB6_1411
; %bb.1406:                             ;   in Loop: Header=BB6_128 Depth=2
	v_bfe_u32 v5, v11, 16, 7
	v_mov_b32_e32 v4, 0x7f800001
	s_mov_b32 s42, exec_lo
	s_delay_alu instid0(VALU_DEP_2)
	v_cmpx_ne_u32_e32 0x7f, v5
	s_cbranch_execz .LBB6_1410
; %bb.1407:                             ;   in Loop: Header=BB6_128 Depth=2
	v_dual_lshrrev_b32 v4, 3, v5 :: v_dual_bitop2_b32 v54, 7, v3 bitop3:0x40
	s_mov_b32 s43, exec_lo
	s_delay_alu instid0(VALU_DEP_1)
	v_mov_b64_e32 v[14:15], v[54:55]
	v_cmpx_gt_u32_e32 8, v5
; %bb.1408:                             ;   in Loop: Header=BB6_128 Depth=2
	v_clz_i32_u32_e32 v4, v54
	s_delay_alu instid0(VALU_DEP_1) | instskip(NEXT) | instid1(VALU_DEP_1)
	v_min_u32_e32 v4, 32, v4
	v_subrev_nc_u32_e32 v5, 28, v4
	s_delay_alu instid0(VALU_DEP_1) | instskip(NEXT) | instid1(VALU_DEP_1)
	v_lshlrev_b64_e32 v[6:7], v5, v[54:55]
	v_dual_sub_nc_u32 v4, 29, v4 :: v_dual_bitop2_b32 v14, 7, v6 bitop3:0x40
; %bb.1409:                             ;   in Loop: Header=BB6_128 Depth=2
	s_or_b32 exec_lo, exec_lo, s43
	s_delay_alu instid0(VALU_DEP_1) | instskip(NEXT) | instid1(VALU_DEP_2)
	v_dual_lshlrev_b32 v3, 24, v3 :: v_dual_lshlrev_b32 v5, 20, v14
	v_lshl_add_u32 v4, v4, 23, 0x3c000000
	s_delay_alu instid0(VALU_DEP_2) | instskip(NEXT) | instid1(VALU_DEP_1)
	v_and_b32_e32 v3, 0x80000000, v3
	v_or3_b32 v4, v5, v3, v4
.LBB6_1410:                             ;   in Loop: Header=BB6_128 Depth=2
	s_or_b32 exec_lo, exec_lo, s42
.LBB6_1411:                             ;   in Loop: Header=BB6_128 Depth=2
	s_delay_alu instid0(SALU_CYCLE_1)
	s_or_b32 exec_lo, exec_lo, s41
.LBB6_1412:                             ;   in Loop: Header=BB6_128 Depth=2
	s_delay_alu instid0(SALU_CYCLE_1) | instskip(NEXT) | instid1(VALU_DEP_1)
	s_or_b32 exec_lo, exec_lo, s10
	v_mul_f32_e32 v4, s40, v4
                                        ; implicit-def: $vgpr77
	s_mov_b32 s10, exec_lo
	s_delay_alu instid0(VALU_DEP_1) | instskip(SKIP_1) | instid1(VALU_DEP_2)
	v_and_b32_e32 v54, 0x7f800000, v4
	v_lshrrev_b32_e32 v3, 24, v4
	v_cmpx_ne_u64_e32 0x7f800000, v[54:55]
	s_xor_b32 s41, exec_lo, s10
	s_cbranch_execz .LBB6_1426
; %bb.1413:                             ;   in Loop: Header=BB6_128 Depth=2
	v_and_b32_e32 v54, 0x7fffffff, v4
	v_and_b32_e32 v3, 0x80, v3
                                        ; implicit-def: $vgpr77
	s_mov_b32 s10, exec_lo
	s_delay_alu instid0(VALU_DEP_2)
	v_cmpx_gt_u64_e32 0x43e00001, v[54:55]
	s_xor_b32 s42, exec_lo, s10
	s_cbranch_execz .LBB6_1423
; %bb.1414:                             ;   in Loop: Header=BB6_128 Depth=2
	v_mov_b32_e32 v77, 0
	s_mov_b32 s43, exec_lo
	v_cmpx_ne_u32_e32 0, v4
	s_cbranch_execz .LBB6_1422
; %bb.1415:                             ;   in Loop: Header=BB6_128 Depth=2
	v_and_b32_e32 v6, 0x7fffff, v4
	v_bfe_u32 v4, v4, 23, 8
	s_mov_b32 s44, exec_lo
	s_delay_alu instid0(VALU_DEP_2) | instskip(NEXT) | instid1(VALU_DEP_2)
	v_or_b32_e32 v7, 0x800000, v6
	v_cmp_eq_u32_e32 vcc_lo, 0, v4
	v_cmp_gt_u32_e64 s10, 0x7a, v4
	s_delay_alu instid0(VALU_DEP_3) | instskip(NEXT) | instid1(VALU_DEP_1)
	v_dual_cndmask_b32 v54, v7, v6 :: v_dual_sub_nc_u32 v5, 0x79, v4
	v_cndmask_b32_e64 v5, 0, v5, s10
	s_delay_alu instid0(VALU_DEP_1) | instskip(NEXT) | instid1(VALU_DEP_1)
	v_cndmask_b32_e64 v5, v5, 0x78, vcc_lo
	v_dual_add_nc_u32 v6, 20, v5 :: v_dual_add_nc_u32 v8, 19, v5
	s_delay_alu instid0(VALU_DEP_4) | instskip(NEXT) | instid1(VALU_DEP_2)
	v_lshrrev_b64 v[14:15], v5, v[54:55]
	v_lshlrev_b64_e64 v[6:7], v6, -1
	s_delay_alu instid0(VALU_DEP_3) | instskip(NEXT) | instid1(VALU_DEP_3)
	v_lshlrev_b64_e64 v[8:9], v8, 1
	v_mov_b64_e32 v[16:17], v[14:15]
	s_delay_alu instid0(VALU_DEP_3) | instskip(NEXT) | instid1(VALU_DEP_4)
	v_bfi_b32 v7, v7, 0, 0
	v_bfi_b32 v6, v6, 0, v54
	s_delay_alu instid0(VALU_DEP_1)
	v_cmpx_eq_u64_e64 v[6:7], v[8:9]
; %bb.1416:                             ;   in Loop: Header=BB6_128 Depth=2
	v_bfe_u32 v54, v14, 20, 1
	s_delay_alu instid0(VALU_DEP_1) | instskip(NEXT) | instid1(VALU_DEP_1)
	v_add_nc_u64_e32 v[6:7], v[14:15], v[54:55]
	v_add_nc_u64_e32 v[16:17], -1, v[6:7]
; %bb.1417:                             ;   in Loop: Header=BB6_128 Depth=2
	s_or_b32 exec_lo, exec_lo, s44
	v_add_nc_u32_e32 v4, 0xffffff81, v4
	v_lshrrev_b32_e32 v6, 23, v14
	s_mov_b32 s10, exec_lo
	s_delay_alu instid0(VALU_DEP_2) | instskip(NEXT) | instid1(VALU_DEP_1)
	v_cndmask_b32_e64 v4, v4, 0xffffff82, vcc_lo
	v_add3_u32 v6, v5, v4, v6
	v_and_b32_e32 v4, 0xfffff, v16
	s_delay_alu instid0(VALU_DEP_2) | instskip(NEXT) | instid1(VALU_DEP_2)
	v_add_nc_u32_e32 v5, 6, v6
	v_add_nc_u32_e32 v54, v4, v14
                                        ; implicit-def: $vgpr14_vgpr15
                                        ; implicit-def: $vgpr4
	s_delay_alu instid0(VALU_DEP_2)
	v_cmpx_ne_u32_e32 0, v5
	s_xor_b32 s10, exec_lo, s10
; %bb.1418:                             ;   in Loop: Header=BB6_128 Depth=2
	s_delay_alu instid0(VALU_DEP_2) | instskip(SKIP_1) | instid1(VALU_DEP_1)
	v_cmp_lt_u64_e32 vcc_lo, 0xffffff, v[54:55]
	v_add_nc_u32_e32 v4, 7, v6
	v_cndmask_b32_e32 v4, v5, v4, vcc_lo
	v_cndmask_b32_e64 v5, 0, 1, vcc_lo
	s_delay_alu instid0(VALU_DEP_1)
	v_lshrrev_b64 v[14:15], v5, v[54:55]
; %bb.1419:                             ;   in Loop: Header=BB6_128 Depth=2
	s_and_not1_saveexec_b32 s10, s10
; %bb.1420:                             ;   in Loop: Header=BB6_128 Depth=2
	v_mov_b64_e32 v[14:15], v[54:55]
	v_bfe_u32 v4, v54, 23, 1
; %bb.1421:                             ;   in Loop: Header=BB6_128 Depth=2
	s_or_b32 exec_lo, exec_lo, s10
	s_delay_alu instid0(VALU_DEP_2) | instskip(NEXT) | instid1(VALU_DEP_2)
	v_lshrrev_b64 v[6:7], 20, v[14:15]
	v_cmp_gt_i32_e32 vcc_lo, 16, v4
	v_min_i32_e32 v5, 15, v4
	v_cmp_eq_u32_e64 s10, 0, v4
	s_delay_alu instid0(VALU_DEP_2) | instskip(SKIP_1) | instid1(VALU_DEP_2)
	v_dual_cndmask_b32 v7, 0, v7, vcc_lo :: v_dual_lshlrev_b32 v5, 3, v5
	v_cndmask_b32_e32 v6, 7, v6, vcc_lo
	v_and_b32_e32 v5, 0xf8, v5
	s_delay_alu instid0(VALU_DEP_2) | instskip(NEXT) | instid1(VALU_DEP_2)
	v_cmp_eq_u64_e32 vcc_lo, 0, v[6:7]
	v_and_or_b32 v4, v6, 7, v5
	s_and_b32 s10, s10, vcc_lo
	s_delay_alu instid0(VALU_DEP_1) | instid1(SALU_CYCLE_1)
	v_cndmask_b32_e64 v4, v4, 0, s10
	s_delay_alu instid0(VALU_DEP_1)
	v_or_b32_e32 v77, v4, v3
.LBB6_1422:                             ;   in Loop: Header=BB6_128 Depth=2
	s_or_b32 exec_lo, exec_lo, s43
                                        ; implicit-def: $vgpr3
.LBB6_1423:                             ;   in Loop: Header=BB6_128 Depth=2
	s_and_not1_saveexec_b32 s10, s42
; %bb.1424:                             ;   in Loop: Header=BB6_128 Depth=2
	v_or_b32_e32 v77, 0x7e, v3
; %bb.1425:                             ;   in Loop: Header=BB6_128 Depth=2
	s_or_b32 exec_lo, exec_lo, s10
                                        ; implicit-def: $vgpr3
.LBB6_1426:                             ;   in Loop: Header=BB6_128 Depth=2
	s_and_not1_saveexec_b32 s10, s41
; %bb.1427:                             ;   in Loop: Header=BB6_128 Depth=2
	v_or_b32_e32 v77, 0x7f, v3
; %bb.1428:                             ;   in Loop: Header=BB6_128 Depth=2
	s_or_b32 exec_lo, exec_lo, s10
	v_mov_b32_e32 v4, 0
	s_mov_b32 s10, exec_lo
	v_cmpx_lt_u64_e64 s[14:15], v[10:11]
	s_cbranch_execz .LBB6_1436
; %bb.1429:                             ;   in Loop: Header=BB6_128 Depth=2
	v_lshrrev_b32_e32 v3, 24, v11
	v_bfrev_b32_e32 v4, 1
	s_mov_b32 s41, exec_lo
	s_delay_alu instid0(VALU_DEP_2)
	v_cmpx_ne_u32_e32 0x80, v3
	s_cbranch_execz .LBB6_1435
; %bb.1430:                             ;   in Loop: Header=BB6_128 Depth=2
	v_bfe_u32 v5, v11, 24, 7
	v_mov_b32_e32 v4, 0x7f800001
	s_mov_b32 s42, exec_lo
	s_delay_alu instid0(VALU_DEP_2)
	v_cmpx_ne_u32_e32 0x7f, v5
	s_cbranch_execz .LBB6_1434
; %bb.1431:                             ;   in Loop: Header=BB6_128 Depth=2
	v_dual_lshrrev_b32 v4, 3, v5 :: v_dual_bitop2_b32 v54, 7, v3 bitop3:0x40
	s_mov_b32 s43, exec_lo
	s_delay_alu instid0(VALU_DEP_1)
	v_mov_b64_e32 v[10:11], v[54:55]
	v_cmpx_gt_u32_e32 8, v5
; %bb.1432:                             ;   in Loop: Header=BB6_128 Depth=2
	v_clz_i32_u32_e32 v4, v54
	s_delay_alu instid0(VALU_DEP_1) | instskip(NEXT) | instid1(VALU_DEP_1)
	v_min_u32_e32 v4, 32, v4
	v_subrev_nc_u32_e32 v5, 28, v4
	s_delay_alu instid0(VALU_DEP_1) | instskip(NEXT) | instid1(VALU_DEP_1)
	v_lshlrev_b64_e32 v[6:7], v5, v[54:55]
	v_dual_sub_nc_u32 v4, 29, v4 :: v_dual_bitop2_b32 v10, 7, v6 bitop3:0x40
; %bb.1433:                             ;   in Loop: Header=BB6_128 Depth=2
	s_or_b32 exec_lo, exec_lo, s43
	s_delay_alu instid0(VALU_DEP_1) | instskip(NEXT) | instid1(VALU_DEP_2)
	v_dual_lshlrev_b32 v3, 24, v3 :: v_dual_lshlrev_b32 v5, 20, v10
	v_lshl_add_u32 v4, v4, 23, 0x3c000000
	s_delay_alu instid0(VALU_DEP_2) | instskip(NEXT) | instid1(VALU_DEP_1)
	v_and_b32_e32 v3, 0x80000000, v3
	v_or3_b32 v4, v5, v3, v4
.LBB6_1434:                             ;   in Loop: Header=BB6_128 Depth=2
	s_or_b32 exec_lo, exec_lo, s42
.LBB6_1435:                             ;   in Loop: Header=BB6_128 Depth=2
	s_delay_alu instid0(SALU_CYCLE_1)
	s_or_b32 exec_lo, exec_lo, s41
.LBB6_1436:                             ;   in Loop: Header=BB6_128 Depth=2
	s_delay_alu instid0(SALU_CYCLE_1) | instskip(NEXT) | instid1(VALU_DEP_1)
	s_or_b32 exec_lo, exec_lo, s10
	v_mul_f32_e32 v5, s40, v4
                                        ; implicit-def: $vgpr3
	s_mov_b32 s10, exec_lo
	s_delay_alu instid0(VALU_DEP_1) | instskip(SKIP_1) | instid1(VALU_DEP_2)
	v_and_b32_e32 v54, 0x7f800000, v5
	v_lshrrev_b32_e32 v4, 24, v5
	v_cmpx_ne_u64_e32 0x7f800000, v[54:55]
	s_xor_b32 s41, exec_lo, s10
	s_cbranch_execz .LBB6_1450
; %bb.1437:                             ;   in Loop: Header=BB6_128 Depth=2
	v_and_b32_e32 v54, 0x7fffffff, v5
	v_and_b32_e32 v4, 0x80, v4
                                        ; implicit-def: $vgpr3
	s_mov_b32 s10, exec_lo
	s_delay_alu instid0(VALU_DEP_2)
	v_cmpx_gt_u64_e32 0x43e00001, v[54:55]
	s_xor_b32 s42, exec_lo, s10
	s_cbranch_execz .LBB6_1447
; %bb.1438:                             ;   in Loop: Header=BB6_128 Depth=2
	v_mov_b32_e32 v3, 0
	s_mov_b32 s43, exec_lo
	v_cmpx_ne_u32_e32 0, v5
	s_cbranch_execz .LBB6_1446
; %bb.1439:                             ;   in Loop: Header=BB6_128 Depth=2
	v_and_b32_e32 v6, 0x7fffff, v5
	v_bfe_u32 v3, v5, 23, 8
	s_mov_b32 s44, exec_lo
	s_delay_alu instid0(VALU_DEP_2) | instskip(NEXT) | instid1(VALU_DEP_2)
	v_or_b32_e32 v7, 0x800000, v6
	v_cmp_eq_u32_e32 vcc_lo, 0, v3
	v_cmp_gt_u32_e64 s10, 0x7a, v3
	s_delay_alu instid0(VALU_DEP_3) | instskip(NEXT) | instid1(VALU_DEP_1)
	v_dual_cndmask_b32 v54, v7, v6 :: v_dual_sub_nc_u32 v5, 0x79, v3
	v_cndmask_b32_e64 v5, 0, v5, s10
	s_delay_alu instid0(VALU_DEP_1) | instskip(NEXT) | instid1(VALU_DEP_1)
	v_cndmask_b32_e64 v5, v5, 0x78, vcc_lo
	v_dual_add_nc_u32 v6, 20, v5 :: v_dual_add_nc_u32 v8, 19, v5
	s_delay_alu instid0(VALU_DEP_4) | instskip(NEXT) | instid1(VALU_DEP_2)
	v_lshrrev_b64 v[10:11], v5, v[54:55]
	v_lshlrev_b64_e64 v[6:7], v6, -1
	s_delay_alu instid0(VALU_DEP_3) | instskip(NEXT) | instid1(VALU_DEP_3)
	v_lshlrev_b64_e64 v[8:9], v8, 1
	v_mov_b64_e32 v[14:15], v[10:11]
	s_delay_alu instid0(VALU_DEP_3) | instskip(NEXT) | instid1(VALU_DEP_4)
	v_bfi_b32 v7, v7, 0, 0
	v_bfi_b32 v6, v6, 0, v54
	s_delay_alu instid0(VALU_DEP_1)
	v_cmpx_eq_u64_e64 v[6:7], v[8:9]
; %bb.1440:                             ;   in Loop: Header=BB6_128 Depth=2
	v_bfe_u32 v54, v10, 20, 1
	s_delay_alu instid0(VALU_DEP_1) | instskip(NEXT) | instid1(VALU_DEP_1)
	v_add_nc_u64_e32 v[6:7], v[10:11], v[54:55]
	v_add_nc_u64_e32 v[14:15], -1, v[6:7]
; %bb.1441:                             ;   in Loop: Header=BB6_128 Depth=2
	s_or_b32 exec_lo, exec_lo, s44
	v_add_nc_u32_e32 v3, 0xffffff81, v3
	v_lshrrev_b32_e32 v6, 23, v10
	s_mov_b32 s10, exec_lo
	s_delay_alu instid0(VALU_DEP_2) | instskip(NEXT) | instid1(VALU_DEP_1)
	v_cndmask_b32_e64 v3, v3, 0xffffff82, vcc_lo
	v_add3_u32 v6, v5, v3, v6
	v_and_b32_e32 v3, 0xfffff, v14
	s_delay_alu instid0(VALU_DEP_2) | instskip(NEXT) | instid1(VALU_DEP_2)
	v_add_nc_u32_e32 v5, 6, v6
	v_add_nc_u32_e32 v54, v3, v10
                                        ; implicit-def: $vgpr10_vgpr11
                                        ; implicit-def: $vgpr3
	s_delay_alu instid0(VALU_DEP_2)
	v_cmpx_ne_u32_e32 0, v5
	s_xor_b32 s10, exec_lo, s10
; %bb.1442:                             ;   in Loop: Header=BB6_128 Depth=2
	s_delay_alu instid0(VALU_DEP_2) | instskip(SKIP_1) | instid1(VALU_DEP_1)
	v_cmp_lt_u64_e32 vcc_lo, 0xffffff, v[54:55]
	v_add_nc_u32_e32 v3, 7, v6
	v_cndmask_b32_e32 v3, v5, v3, vcc_lo
	v_cndmask_b32_e64 v5, 0, 1, vcc_lo
	s_delay_alu instid0(VALU_DEP_1)
	v_lshrrev_b64 v[10:11], v5, v[54:55]
; %bb.1443:                             ;   in Loop: Header=BB6_128 Depth=2
	s_and_not1_saveexec_b32 s10, s10
; %bb.1444:                             ;   in Loop: Header=BB6_128 Depth=2
	v_mov_b64_e32 v[10:11], v[54:55]
	v_bfe_u32 v3, v54, 23, 1
; %bb.1445:                             ;   in Loop: Header=BB6_128 Depth=2
	s_or_b32 exec_lo, exec_lo, s10
	s_delay_alu instid0(VALU_DEP_2) | instskip(NEXT) | instid1(VALU_DEP_2)
	v_lshrrev_b64 v[6:7], 20, v[10:11]
	v_cmp_gt_i32_e32 vcc_lo, 16, v3
	v_min_i32_e32 v5, 15, v3
	v_cmp_eq_u32_e64 s10, 0, v3
	s_delay_alu instid0(VALU_DEP_2) | instskip(SKIP_1) | instid1(VALU_DEP_2)
	v_dual_cndmask_b32 v6, 7, v6 :: v_dual_lshlrev_b32 v5, 3, v5
	v_cndmask_b32_e32 v7, 0, v7, vcc_lo
	v_and_b32_e32 v5, 0xf8, v5
	s_delay_alu instid0(VALU_DEP_2) | instskip(NEXT) | instid1(VALU_DEP_2)
	v_cmp_eq_u64_e32 vcc_lo, 0, v[6:7]
	v_and_or_b32 v3, v6, 7, v5
	s_and_b32 s10, s10, vcc_lo
	s_delay_alu instid0(VALU_DEP_1) | instid1(SALU_CYCLE_1)
	v_cndmask_b32_e64 v3, v3, 0, s10
	s_delay_alu instid0(VALU_DEP_1)
	v_or_b32_e32 v3, v3, v4
.LBB6_1446:                             ;   in Loop: Header=BB6_128 Depth=2
	s_or_b32 exec_lo, exec_lo, s43
                                        ; implicit-def: $vgpr4
.LBB6_1447:                             ;   in Loop: Header=BB6_128 Depth=2
	s_and_not1_saveexec_b32 s10, s42
; %bb.1448:                             ;   in Loop: Header=BB6_128 Depth=2
	v_or_b32_e32 v3, 0x7e, v4
; %bb.1449:                             ;   in Loop: Header=BB6_128 Depth=2
	s_or_b32 exec_lo, exec_lo, s10
                                        ; implicit-def: $vgpr4
.LBB6_1450:                             ;   in Loop: Header=BB6_128 Depth=2
	s_and_not1_saveexec_b32 s10, s41
; %bb.1451:                             ;   in Loop: Header=BB6_128 Depth=2
	v_or_b32_e32 v3, 0x7f, v4
; %bb.1452:                             ;   in Loop: Header=BB6_128 Depth=2
	s_or_b32 exec_lo, exec_lo, s10
	v_and_b32_e32 v5, 0xff, v12
	v_mov_b32_e32 v4, 0
	s_mov_b32 s10, exec_lo
	s_delay_alu instid0(VALU_DEP_2)
	v_cmpx_ne_u16_e32 0, v5
	s_cbranch_execz .LBB6_1458
; %bb.1453:                             ;   in Loop: Header=BB6_128 Depth=2
	v_bfrev_b32_e32 v4, 1
	s_mov_b32 s41, exec_lo
	v_cmpx_ne_u16_e32 0x80, v5
	s_cbranch_execz .LBB6_1457
; %bb.1454:                             ;   in Loop: Header=BB6_128 Depth=2
	v_and_b32_e32 v5, 0x7f, v12
	v_mov_b32_e32 v4, 0x7f800001
	s_mov_b32 s42, exec_lo
	s_delay_alu instid0(VALU_DEP_2)
	v_cmpx_ne_u32_e32 0x7f, v5
	s_cbranch_execz .LBB6_1456
; %bb.1455:                             ;   in Loop: Header=BB6_128 Depth=2
	v_dual_lshrrev_b32 v6, 3, v5 :: v_dual_bitop2_b32 v4, 7, v12 bitop3:0x40
	v_cmp_gt_u32_e32 vcc_lo, 8, v5
	s_delay_alu instid0(VALU_DEP_2) | instskip(NEXT) | instid1(VALU_DEP_1)
	v_clz_i32_u32_e32 v4, v4
	v_min_u32_e32 v4, 32, v4
	s_delay_alu instid0(VALU_DEP_1) | instskip(SKIP_1) | instid1(VALU_DEP_1)
	v_subrev_nc_u32_e32 v5, 28, v4
	v_sub_nc_u32_e32 v4, 29, v4
	v_dual_cndmask_b32 v6, v6, v4, vcc_lo :: v_dual_cndmask_b32 v4, 0, v5, vcc_lo
	s_delay_alu instid0(VALU_DEP_1) | instskip(NEXT) | instid1(VALU_DEP_2)
	v_lshl_add_u32 v6, v6, 23, 0x3c000000
	v_lshlrev_b64_e32 v[4:5], v4, v[12:13]
	v_lshlrev_b32_e32 v5, 24, v12
	s_delay_alu instid0(VALU_DEP_1) | instskip(NEXT) | instid1(VALU_DEP_3)
	v_and_b32_e32 v5, 0x80000000, v5
	v_lshlrev_b32_e32 v4, 20, v4
	s_delay_alu instid0(VALU_DEP_1) | instskip(NEXT) | instid1(VALU_DEP_1)
	v_and_b32_e32 v4, 0x700000, v4
	v_or3_b32 v4, v4, v5, v6
.LBB6_1456:                             ;   in Loop: Header=BB6_128 Depth=2
	s_or_b32 exec_lo, exec_lo, s42
.LBB6_1457:                             ;   in Loop: Header=BB6_128 Depth=2
	s_delay_alu instid0(SALU_CYCLE_1)
	s_or_b32 exec_lo, exec_lo, s41
.LBB6_1458:                             ;   in Loop: Header=BB6_128 Depth=2
	s_delay_alu instid0(SALU_CYCLE_1) | instskip(NEXT) | instid1(VALU_DEP_1)
	s_or_b32 exec_lo, exec_lo, s10
	v_mul_f32_e32 v5, s40, v4
                                        ; implicit-def: $vgpr57
	s_mov_b32 s10, exec_lo
	s_delay_alu instid0(VALU_DEP_1) | instskip(SKIP_1) | instid1(VALU_DEP_2)
	v_and_b32_e32 v54, 0x7f800000, v5
	v_lshrrev_b32_e32 v4, 24, v5
	v_cmpx_ne_u64_e32 0x7f800000, v[54:55]
	s_xor_b32 s41, exec_lo, s10
	s_cbranch_execz .LBB6_1472
; %bb.1459:                             ;   in Loop: Header=BB6_128 Depth=2
	v_and_b32_e32 v54, 0x7fffffff, v5
	v_and_b32_e32 v4, 0x80, v4
                                        ; implicit-def: $vgpr57
	s_mov_b32 s10, exec_lo
	s_delay_alu instid0(VALU_DEP_2)
	v_cmpx_gt_u64_e32 0x43e00001, v[54:55]
	s_xor_b32 s42, exec_lo, s10
	s_cbranch_execz .LBB6_1469
; %bb.1460:                             ;   in Loop: Header=BB6_128 Depth=2
	v_mov_b32_e32 v57, 0
	s_mov_b32 s43, exec_lo
	v_cmpx_ne_u32_e32 0, v5
	s_cbranch_execz .LBB6_1468
; %bb.1461:                             ;   in Loop: Header=BB6_128 Depth=2
	v_and_b32_e32 v7, 0x7fffff, v5
	v_bfe_u32 v5, v5, 23, 8
	s_delay_alu instid0(VALU_DEP_2) | instskip(NEXT) | instid1(VALU_DEP_2)
	v_or_b32_e32 v8, 0x800000, v7
	v_cmp_gt_u32_e64 s10, 0x7a, v5
	v_sub_nc_u32_e32 v6, 0x79, v5
	v_cmp_eq_u32_e32 vcc_lo, 0, v5
	s_delay_alu instid0(VALU_DEP_2) | instskip(NEXT) | instid1(VALU_DEP_1)
	v_dual_cndmask_b32 v6, 0, v6, s10 :: v_dual_cndmask_b32 v54, v8, v7, vcc_lo
	v_cndmask_b32_e64 v6, v6, 0x78, vcc_lo
	s_delay_alu instid0(VALU_DEP_1) | instskip(NEXT) | instid1(VALU_DEP_1)
	v_add_nc_u32_e32 v7, 20, v6
	v_lshlrev_b64_e64 v[8:9], v7, -1
	v_add_nc_u32_e32 v7, 19, v6
	s_delay_alu instid0(VALU_DEP_1) | instskip(NEXT) | instid1(VALU_DEP_3)
	v_lshlrev_b64_e64 v[10:11], v7, 1
	v_bfi_b32 v9, v9, 0, 0
	s_delay_alu instid0(VALU_DEP_4) | instskip(NEXT) | instid1(VALU_DEP_1)
	v_bfi_b32 v8, v8, 0, v54
	v_cmp_eq_u64_e64 s10, v[8:9], v[10:11]
	v_lshrrev_b64 v[10:11], v6, v[54:55]
	s_delay_alu instid0(VALU_DEP_1)
	v_mov_b64_e32 v[14:15], v[10:11]
	s_and_saveexec_b32 s44, s10
; %bb.1462:                             ;   in Loop: Header=BB6_128 Depth=2
	v_bfe_u32 v54, v10, 20, 1
	s_delay_alu instid0(VALU_DEP_1) | instskip(NEXT) | instid1(VALU_DEP_1)
	v_add_nc_u64_e32 v[8:9], v[10:11], v[54:55]
	v_add_nc_u64_e32 v[14:15], -1, v[8:9]
; %bb.1463:                             ;   in Loop: Header=BB6_128 Depth=2
	s_or_b32 exec_lo, exec_lo, s44
	v_add_nc_u32_e32 v5, 0xffffff81, v5
	v_lshrrev_b32_e32 v7, 23, v10
	s_mov_b32 s10, exec_lo
	s_delay_alu instid0(VALU_DEP_2) | instskip(NEXT) | instid1(VALU_DEP_1)
	v_cndmask_b32_e64 v5, v5, 0xffffff82, vcc_lo
	v_add3_u32 v7, v6, v5, v7
	v_and_b32_e32 v5, 0xfffff, v14
	s_delay_alu instid0(VALU_DEP_1) | instskip(NEXT) | instid1(VALU_DEP_1)
	v_dual_add_nc_u32 v6, 6, v7 :: v_dual_add_nc_u32 v54, v5, v10
                                        ; implicit-def: $vgpr10_vgpr11
                                        ; implicit-def: $vgpr5
	v_cmpx_ne_u32_e32 0, v6
	s_xor_b32 s10, exec_lo, s10
; %bb.1464:                             ;   in Loop: Header=BB6_128 Depth=2
	s_delay_alu instid0(VALU_DEP_2) | instskip(SKIP_1) | instid1(VALU_DEP_1)
	v_cmp_lt_u64_e32 vcc_lo, 0xffffff, v[54:55]
	v_add_nc_u32_e32 v5, 7, v7
	v_cndmask_b32_e32 v5, v6, v5, vcc_lo
	v_cndmask_b32_e64 v6, 0, 1, vcc_lo
	s_delay_alu instid0(VALU_DEP_1)
	v_lshrrev_b64 v[10:11], v6, v[54:55]
; %bb.1465:                             ;   in Loop: Header=BB6_128 Depth=2
	s_and_not1_saveexec_b32 s10, s10
; %bb.1466:                             ;   in Loop: Header=BB6_128 Depth=2
	v_mov_b64_e32 v[10:11], v[54:55]
	v_bfe_u32 v5, v54, 23, 1
; %bb.1467:                             ;   in Loop: Header=BB6_128 Depth=2
	s_or_b32 exec_lo, exec_lo, s10
	s_delay_alu instid0(VALU_DEP_2) | instskip(NEXT) | instid1(VALU_DEP_2)
	v_lshrrev_b64 v[6:7], 20, v[10:11]
	v_cmp_gt_i32_e32 vcc_lo, 16, v5
	v_min_i32_e32 v8, 15, v5
	v_cmp_eq_u32_e64 s10, 0, v5
	s_delay_alu instid0(VALU_DEP_2) | instskip(SKIP_1) | instid1(VALU_DEP_2)
	v_dual_cndmask_b32 v7, 0, v7 :: v_dual_lshlrev_b32 v8, 3, v8
	v_cndmask_b32_e32 v6, 7, v6, vcc_lo
	v_and_b32_e32 v8, 0xf8, v8
	s_delay_alu instid0(VALU_DEP_2) | instskip(NEXT) | instid1(VALU_DEP_2)
	v_cmp_eq_u64_e32 vcc_lo, 0, v[6:7]
	v_and_or_b32 v5, v6, 7, v8
	s_and_b32 s10, s10, vcc_lo
	s_delay_alu instid0(VALU_DEP_1) | instid1(SALU_CYCLE_1)
	v_cndmask_b32_e64 v5, v5, 0, s10
	s_delay_alu instid0(VALU_DEP_1)
	v_or_b32_e32 v57, v5, v4
.LBB6_1468:                             ;   in Loop: Header=BB6_128 Depth=2
	s_or_b32 exec_lo, exec_lo, s43
                                        ; implicit-def: $vgpr4
.LBB6_1469:                             ;   in Loop: Header=BB6_128 Depth=2
	s_and_not1_saveexec_b32 s10, s42
; %bb.1470:                             ;   in Loop: Header=BB6_128 Depth=2
	v_or_b32_e32 v57, 0x7e, v4
; %bb.1471:                             ;   in Loop: Header=BB6_128 Depth=2
	s_or_b32 exec_lo, exec_lo, s10
                                        ; implicit-def: $vgpr4
.LBB6_1472:                             ;   in Loop: Header=BB6_128 Depth=2
	s_and_not1_saveexec_b32 s10, s41
; %bb.1473:                             ;   in Loop: Header=BB6_128 Depth=2
	v_or_b32_e32 v57, 0x7f, v4
; %bb.1474:                             ;   in Loop: Header=BB6_128 Depth=2
	s_or_b32 exec_lo, exec_lo, s10
	v_lshrrev_b16 v5, 8, v12
	v_mov_b32_e32 v4, 0
	s_mov_b32 s10, exec_lo
	s_delay_alu instid0(VALU_DEP_2)
	v_cmpx_ne_u16_e32 0, v5
	s_cbranch_execz .LBB6_1482
; %bb.1475:                             ;   in Loop: Header=BB6_128 Depth=2
	v_bfrev_b32_e32 v4, 1
	s_mov_b32 s41, exec_lo
	v_cmpx_ne_u16_e32 0x80, v5
	s_cbranch_execz .LBB6_1481
; %bb.1476:                             ;   in Loop: Header=BB6_128 Depth=2
	v_and_b32_e32 v6, 0xffff, v5
	v_mov_b32_e32 v4, 0x7f800001
	s_mov_b32 s42, exec_lo
	s_delay_alu instid0(VALU_DEP_2) | instskip(NEXT) | instid1(VALU_DEP_1)
	v_and_b32_e32 v5, 0x7f, v6
	v_cmpx_ne_u32_e32 0x7f, v5
	s_cbranch_execz .LBB6_1480
; %bb.1477:                             ;   in Loop: Header=BB6_128 Depth=2
	v_dual_lshrrev_b32 v4, 3, v5 :: v_dual_bitop2_b32 v54, 7, v6 bitop3:0x40
	s_mov_b32 s43, exec_lo
	s_delay_alu instid0(VALU_DEP_1)
	v_mov_b64_e32 v[10:11], v[54:55]
	v_cmpx_gt_u32_e32 8, v5
; %bb.1478:                             ;   in Loop: Header=BB6_128 Depth=2
	v_clz_i32_u32_e32 v4, v54
	s_delay_alu instid0(VALU_DEP_1) | instskip(NEXT) | instid1(VALU_DEP_1)
	v_min_u32_e32 v4, 32, v4
	v_subrev_nc_u32_e32 v5, 28, v4
	s_delay_alu instid0(VALU_DEP_1) | instskip(NEXT) | instid1(VALU_DEP_1)
	v_lshlrev_b64_e32 v[6:7], v5, v[54:55]
	v_dual_sub_nc_u32 v4, 29, v4 :: v_dual_bitop2_b32 v10, 7, v6 bitop3:0x40
; %bb.1479:                             ;   in Loop: Header=BB6_128 Depth=2
	s_or_b32 exec_lo, exec_lo, s43
	s_delay_alu instid0(VALU_DEP_1) | instskip(NEXT) | instid1(VALU_DEP_2)
	v_dual_lshlrev_b32 v5, 16, v12 :: v_dual_lshlrev_b32 v6, 20, v10
	v_lshl_add_u32 v4, v4, 23, 0x3c000000
	s_delay_alu instid0(VALU_DEP_2) | instskip(NEXT) | instid1(VALU_DEP_1)
	v_and_b32_e32 v5, 0x80000000, v5
	v_or3_b32 v4, v6, v5, v4
.LBB6_1480:                             ;   in Loop: Header=BB6_128 Depth=2
	s_or_b32 exec_lo, exec_lo, s42
.LBB6_1481:                             ;   in Loop: Header=BB6_128 Depth=2
	s_delay_alu instid0(SALU_CYCLE_1)
	s_or_b32 exec_lo, exec_lo, s41
.LBB6_1482:                             ;   in Loop: Header=BB6_128 Depth=2
	s_delay_alu instid0(SALU_CYCLE_1) | instskip(NEXT) | instid1(VALU_DEP_1)
	s_or_b32 exec_lo, exec_lo, s10
	v_mul_f32_e32 v5, s40, v4
                                        ; implicit-def: $vgpr62
	s_mov_b32 s10, exec_lo
	s_delay_alu instid0(VALU_DEP_1) | instskip(SKIP_1) | instid1(VALU_DEP_2)
	v_and_b32_e32 v54, 0x7f800000, v5
	v_lshrrev_b32_e32 v4, 24, v5
	v_cmpx_ne_u64_e32 0x7f800000, v[54:55]
	s_xor_b32 s41, exec_lo, s10
	s_cbranch_execz .LBB6_1496
; %bb.1483:                             ;   in Loop: Header=BB6_128 Depth=2
	v_and_b32_e32 v54, 0x7fffffff, v5
	v_and_b32_e32 v4, 0x80, v4
                                        ; implicit-def: $vgpr62
	s_mov_b32 s10, exec_lo
	s_delay_alu instid0(VALU_DEP_2)
	v_cmpx_gt_u64_e32 0x43e00001, v[54:55]
	s_xor_b32 s42, exec_lo, s10
	s_cbranch_execz .LBB6_1493
; %bb.1484:                             ;   in Loop: Header=BB6_128 Depth=2
	v_mov_b32_e32 v62, 0
	s_mov_b32 s43, exec_lo
	v_cmpx_ne_u32_e32 0, v5
	s_cbranch_execz .LBB6_1492
; %bb.1485:                             ;   in Loop: Header=BB6_128 Depth=2
	v_and_b32_e32 v7, 0x7fffff, v5
	v_bfe_u32 v5, v5, 23, 8
	s_delay_alu instid0(VALU_DEP_2) | instskip(NEXT) | instid1(VALU_DEP_2)
	v_or_b32_e32 v8, 0x800000, v7
	v_cmp_gt_u32_e64 s10, 0x7a, v5
	v_sub_nc_u32_e32 v6, 0x79, v5
	v_cmp_eq_u32_e32 vcc_lo, 0, v5
	s_delay_alu instid0(VALU_DEP_2) | instskip(NEXT) | instid1(VALU_DEP_1)
	v_dual_cndmask_b32 v6, 0, v6, s10 :: v_dual_cndmask_b32 v54, v8, v7, vcc_lo
	v_cndmask_b32_e64 v6, v6, 0x78, vcc_lo
	s_delay_alu instid0(VALU_DEP_1) | instskip(NEXT) | instid1(VALU_DEP_1)
	v_add_nc_u32_e32 v7, 20, v6
	v_lshlrev_b64_e64 v[8:9], v7, -1
	v_add_nc_u32_e32 v7, 19, v6
	s_delay_alu instid0(VALU_DEP_1) | instskip(NEXT) | instid1(VALU_DEP_3)
	v_lshlrev_b64_e64 v[10:11], v7, 1
	v_bfi_b32 v9, v9, 0, 0
	s_delay_alu instid0(VALU_DEP_4) | instskip(NEXT) | instid1(VALU_DEP_1)
	v_bfi_b32 v8, v8, 0, v54
	v_cmp_eq_u64_e64 s10, v[8:9], v[10:11]
	v_lshrrev_b64 v[10:11], v6, v[54:55]
	s_delay_alu instid0(VALU_DEP_1)
	v_mov_b64_e32 v[14:15], v[10:11]
	s_and_saveexec_b32 s44, s10
; %bb.1486:                             ;   in Loop: Header=BB6_128 Depth=2
	v_bfe_u32 v54, v10, 20, 1
	s_delay_alu instid0(VALU_DEP_1) | instskip(NEXT) | instid1(VALU_DEP_1)
	v_add_nc_u64_e32 v[8:9], v[10:11], v[54:55]
	v_add_nc_u64_e32 v[14:15], -1, v[8:9]
; %bb.1487:                             ;   in Loop: Header=BB6_128 Depth=2
	s_or_b32 exec_lo, exec_lo, s44
	v_add_nc_u32_e32 v5, 0xffffff81, v5
	v_lshrrev_b32_e32 v7, 23, v10
	s_mov_b32 s10, exec_lo
	s_delay_alu instid0(VALU_DEP_2) | instskip(NEXT) | instid1(VALU_DEP_1)
	v_cndmask_b32_e64 v5, v5, 0xffffff82, vcc_lo
	v_add3_u32 v7, v6, v5, v7
	v_and_b32_e32 v5, 0xfffff, v14
	s_delay_alu instid0(VALU_DEP_1) | instskip(NEXT) | instid1(VALU_DEP_1)
	v_dual_add_nc_u32 v6, 6, v7 :: v_dual_add_nc_u32 v54, v5, v10
                                        ; implicit-def: $vgpr10_vgpr11
                                        ; implicit-def: $vgpr5
	v_cmpx_ne_u32_e32 0, v6
	s_xor_b32 s10, exec_lo, s10
; %bb.1488:                             ;   in Loop: Header=BB6_128 Depth=2
	s_delay_alu instid0(VALU_DEP_2) | instskip(SKIP_1) | instid1(VALU_DEP_1)
	v_cmp_lt_u64_e32 vcc_lo, 0xffffff, v[54:55]
	v_add_nc_u32_e32 v5, 7, v7
	v_cndmask_b32_e32 v5, v6, v5, vcc_lo
	v_cndmask_b32_e64 v6, 0, 1, vcc_lo
	s_delay_alu instid0(VALU_DEP_1)
	v_lshrrev_b64 v[10:11], v6, v[54:55]
; %bb.1489:                             ;   in Loop: Header=BB6_128 Depth=2
	s_and_not1_saveexec_b32 s10, s10
; %bb.1490:                             ;   in Loop: Header=BB6_128 Depth=2
	v_mov_b64_e32 v[10:11], v[54:55]
	v_bfe_u32 v5, v54, 23, 1
; %bb.1491:                             ;   in Loop: Header=BB6_128 Depth=2
	s_or_b32 exec_lo, exec_lo, s10
	s_delay_alu instid0(VALU_DEP_2) | instskip(NEXT) | instid1(VALU_DEP_2)
	v_lshrrev_b64 v[6:7], 20, v[10:11]
	v_cmp_gt_i32_e32 vcc_lo, 16, v5
	v_min_i32_e32 v8, 15, v5
	v_cmp_eq_u32_e64 s10, 0, v5
	s_delay_alu instid0(VALU_DEP_2) | instskip(SKIP_1) | instid1(VALU_DEP_2)
	v_dual_cndmask_b32 v7, 0, v7 :: v_dual_lshlrev_b32 v8, 3, v8
	v_cndmask_b32_e32 v6, 7, v6, vcc_lo
	v_and_b32_e32 v8, 0xf8, v8
	s_delay_alu instid0(VALU_DEP_2) | instskip(NEXT) | instid1(VALU_DEP_2)
	v_cmp_eq_u64_e32 vcc_lo, 0, v[6:7]
	v_and_or_b32 v5, v6, 7, v8
	s_and_b32 s10, s10, vcc_lo
	s_delay_alu instid0(VALU_DEP_1) | instid1(SALU_CYCLE_1)
	v_cndmask_b32_e64 v5, v5, 0, s10
	s_delay_alu instid0(VALU_DEP_1)
	v_or_b32_e32 v62, v5, v4
.LBB6_1492:                             ;   in Loop: Header=BB6_128 Depth=2
	s_or_b32 exec_lo, exec_lo, s43
                                        ; implicit-def: $vgpr4
.LBB6_1493:                             ;   in Loop: Header=BB6_128 Depth=2
	s_and_not1_saveexec_b32 s10, s42
; %bb.1494:                             ;   in Loop: Header=BB6_128 Depth=2
	v_or_b32_e32 v62, 0x7e, v4
; %bb.1495:                             ;   in Loop: Header=BB6_128 Depth=2
	s_or_b32 exec_lo, exec_lo, s10
                                        ; implicit-def: $vgpr4
.LBB6_1496:                             ;   in Loop: Header=BB6_128 Depth=2
	s_and_not1_saveexec_b32 s10, s41
; %bb.1497:                             ;   in Loop: Header=BB6_128 Depth=2
	v_or_b32_e32 v62, 0x7f, v4
; %bb.1498:                             ;   in Loop: Header=BB6_128 Depth=2
	s_or_b32 exec_lo, exec_lo, s10
	v_dual_mov_b32 v5, 0 :: v_dual_lshrrev_b32 v4, 16, v12
	s_mov_b32 s10, exec_lo
	s_delay_alu instid0(VALU_DEP_1) | instskip(NEXT) | instid1(VALU_DEP_1)
	v_and_b32_e32 v6, 0xff, v4
	v_cmpx_ne_u16_e32 0, v6
	s_cbranch_execz .LBB6_1506
; %bb.1499:                             ;   in Loop: Header=BB6_128 Depth=2
	v_bfrev_b32_e32 v5, 1
	s_mov_b32 s41, exec_lo
	v_cmpx_ne_u16_e32 0x80, v6
	s_cbranch_execz .LBB6_1505
; %bb.1500:                             ;   in Loop: Header=BB6_128 Depth=2
	v_bfe_u32 v6, v12, 16, 7
	v_mov_b32_e32 v5, 0x7f800001
	s_mov_b32 s42, exec_lo
	s_delay_alu instid0(VALU_DEP_2)
	v_cmpx_ne_u32_e32 0x7f, v6
	s_cbranch_execz .LBB6_1504
; %bb.1501:                             ;   in Loop: Header=BB6_128 Depth=2
	v_dual_lshrrev_b32 v5, 3, v6 :: v_dual_bitop2_b32 v54, 7, v4 bitop3:0x40
	s_mov_b32 s43, exec_lo
	s_delay_alu instid0(VALU_DEP_1)
	v_mov_b64_e32 v[10:11], v[54:55]
	v_cmpx_gt_u32_e32 8, v6
; %bb.1502:                             ;   in Loop: Header=BB6_128 Depth=2
	v_clz_i32_u32_e32 v5, v54
	s_delay_alu instid0(VALU_DEP_1) | instskip(NEXT) | instid1(VALU_DEP_1)
	v_min_u32_e32 v5, 32, v5
	v_subrev_nc_u32_e32 v6, 28, v5
	s_delay_alu instid0(VALU_DEP_1) | instskip(NEXT) | instid1(VALU_DEP_1)
	v_lshlrev_b64_e32 v[6:7], v6, v[54:55]
	v_dual_sub_nc_u32 v5, 29, v5 :: v_dual_bitop2_b32 v10, 7, v6 bitop3:0x40
; %bb.1503:                             ;   in Loop: Header=BB6_128 Depth=2
	s_or_b32 exec_lo, exec_lo, s43
	s_delay_alu instid0(VALU_DEP_1) | instskip(NEXT) | instid1(VALU_DEP_2)
	v_dual_lshlrev_b32 v4, 24, v4 :: v_dual_lshlrev_b32 v6, 20, v10
	v_lshl_add_u32 v5, v5, 23, 0x3c000000
	s_delay_alu instid0(VALU_DEP_2) | instskip(NEXT) | instid1(VALU_DEP_1)
	v_and_b32_e32 v4, 0x80000000, v4
	v_or3_b32 v5, v6, v4, v5
.LBB6_1504:                             ;   in Loop: Header=BB6_128 Depth=2
	s_or_b32 exec_lo, exec_lo, s42
.LBB6_1505:                             ;   in Loop: Header=BB6_128 Depth=2
	s_delay_alu instid0(SALU_CYCLE_1)
	s_or_b32 exec_lo, exec_lo, s41
.LBB6_1506:                             ;   in Loop: Header=BB6_128 Depth=2
	s_delay_alu instid0(SALU_CYCLE_1) | instskip(NEXT) | instid1(VALU_DEP_1)
	s_or_b32 exec_lo, exec_lo, s10
	v_mul_f32_e32 v5, s40, v5
                                        ; implicit-def: $vgpr74
	s_mov_b32 s10, exec_lo
	s_delay_alu instid0(VALU_DEP_1) | instskip(SKIP_1) | instid1(VALU_DEP_2)
	v_and_b32_e32 v54, 0x7f800000, v5
	v_lshrrev_b32_e32 v4, 24, v5
	v_cmpx_ne_u64_e32 0x7f800000, v[54:55]
	s_xor_b32 s41, exec_lo, s10
	s_cbranch_execz .LBB6_1520
; %bb.1507:                             ;   in Loop: Header=BB6_128 Depth=2
	v_and_b32_e32 v54, 0x7fffffff, v5
	v_and_b32_e32 v4, 0x80, v4
                                        ; implicit-def: $vgpr74
	s_mov_b32 s10, exec_lo
	s_delay_alu instid0(VALU_DEP_2)
	v_cmpx_gt_u64_e32 0x43e00001, v[54:55]
	s_xor_b32 s42, exec_lo, s10
	s_cbranch_execz .LBB6_1517
; %bb.1508:                             ;   in Loop: Header=BB6_128 Depth=2
	v_mov_b32_e32 v74, 0
	s_mov_b32 s43, exec_lo
	v_cmpx_ne_u32_e32 0, v5
	s_cbranch_execz .LBB6_1516
; %bb.1509:                             ;   in Loop: Header=BB6_128 Depth=2
	v_and_b32_e32 v7, 0x7fffff, v5
	v_bfe_u32 v5, v5, 23, 8
	s_delay_alu instid0(VALU_DEP_2) | instskip(NEXT) | instid1(VALU_DEP_2)
	v_or_b32_e32 v8, 0x800000, v7
	v_cmp_gt_u32_e64 s10, 0x7a, v5
	v_sub_nc_u32_e32 v6, 0x79, v5
	v_cmp_eq_u32_e32 vcc_lo, 0, v5
	s_delay_alu instid0(VALU_DEP_2) | instskip(NEXT) | instid1(VALU_DEP_1)
	v_dual_cndmask_b32 v6, 0, v6, s10 :: v_dual_cndmask_b32 v54, v8, v7, vcc_lo
	v_cndmask_b32_e64 v6, v6, 0x78, vcc_lo
	s_delay_alu instid0(VALU_DEP_1) | instskip(NEXT) | instid1(VALU_DEP_1)
	v_add_nc_u32_e32 v7, 20, v6
	v_lshlrev_b64_e64 v[8:9], v7, -1
	v_add_nc_u32_e32 v7, 19, v6
	s_delay_alu instid0(VALU_DEP_1) | instskip(NEXT) | instid1(VALU_DEP_3)
	v_lshlrev_b64_e64 v[10:11], v7, 1
	v_bfi_b32 v9, v9, 0, 0
	s_delay_alu instid0(VALU_DEP_4) | instskip(NEXT) | instid1(VALU_DEP_1)
	v_bfi_b32 v8, v8, 0, v54
	v_cmp_eq_u64_e64 s10, v[8:9], v[10:11]
	v_lshrrev_b64 v[10:11], v6, v[54:55]
	s_delay_alu instid0(VALU_DEP_1)
	v_mov_b64_e32 v[14:15], v[10:11]
	s_and_saveexec_b32 s44, s10
; %bb.1510:                             ;   in Loop: Header=BB6_128 Depth=2
	v_bfe_u32 v54, v10, 20, 1
	s_delay_alu instid0(VALU_DEP_1) | instskip(NEXT) | instid1(VALU_DEP_1)
	v_add_nc_u64_e32 v[8:9], v[10:11], v[54:55]
	v_add_nc_u64_e32 v[14:15], -1, v[8:9]
; %bb.1511:                             ;   in Loop: Header=BB6_128 Depth=2
	s_or_b32 exec_lo, exec_lo, s44
	v_add_nc_u32_e32 v5, 0xffffff81, v5
	v_lshrrev_b32_e32 v7, 23, v10
	s_mov_b32 s10, exec_lo
	s_delay_alu instid0(VALU_DEP_2) | instskip(NEXT) | instid1(VALU_DEP_1)
	v_cndmask_b32_e64 v5, v5, 0xffffff82, vcc_lo
	v_add3_u32 v7, v6, v5, v7
	v_and_b32_e32 v5, 0xfffff, v14
	s_delay_alu instid0(VALU_DEP_1) | instskip(NEXT) | instid1(VALU_DEP_1)
	v_dual_add_nc_u32 v6, 6, v7 :: v_dual_add_nc_u32 v54, v5, v10
                                        ; implicit-def: $vgpr10_vgpr11
                                        ; implicit-def: $vgpr5
	v_cmpx_ne_u32_e32 0, v6
	s_xor_b32 s10, exec_lo, s10
; %bb.1512:                             ;   in Loop: Header=BB6_128 Depth=2
	s_delay_alu instid0(VALU_DEP_2) | instskip(SKIP_1) | instid1(VALU_DEP_1)
	v_cmp_lt_u64_e32 vcc_lo, 0xffffff, v[54:55]
	v_add_nc_u32_e32 v5, 7, v7
	v_cndmask_b32_e32 v5, v6, v5, vcc_lo
	v_cndmask_b32_e64 v6, 0, 1, vcc_lo
	s_delay_alu instid0(VALU_DEP_1)
	v_lshrrev_b64 v[10:11], v6, v[54:55]
; %bb.1513:                             ;   in Loop: Header=BB6_128 Depth=2
	s_and_not1_saveexec_b32 s10, s10
; %bb.1514:                             ;   in Loop: Header=BB6_128 Depth=2
	v_mov_b64_e32 v[10:11], v[54:55]
	v_bfe_u32 v5, v54, 23, 1
; %bb.1515:                             ;   in Loop: Header=BB6_128 Depth=2
	s_or_b32 exec_lo, exec_lo, s10
	s_delay_alu instid0(VALU_DEP_2) | instskip(NEXT) | instid1(VALU_DEP_2)
	v_lshrrev_b64 v[6:7], 20, v[10:11]
	v_cmp_gt_i32_e32 vcc_lo, 16, v5
	v_min_i32_e32 v8, 15, v5
	v_cmp_eq_u32_e64 s10, 0, v5
	s_delay_alu instid0(VALU_DEP_2) | instskip(SKIP_1) | instid1(VALU_DEP_2)
	v_dual_cndmask_b32 v7, 0, v7 :: v_dual_lshlrev_b32 v8, 3, v8
	v_cndmask_b32_e32 v6, 7, v6, vcc_lo
	v_and_b32_e32 v8, 0xf8, v8
	s_delay_alu instid0(VALU_DEP_2) | instskip(NEXT) | instid1(VALU_DEP_2)
	v_cmp_eq_u64_e32 vcc_lo, 0, v[6:7]
	v_and_or_b32 v5, v6, 7, v8
	s_and_b32 s10, s10, vcc_lo
	s_delay_alu instid0(VALU_DEP_1) | instid1(SALU_CYCLE_1)
	v_cndmask_b32_e64 v5, v5, 0, s10
	s_delay_alu instid0(VALU_DEP_1)
	v_or_b32_e32 v74, v5, v4
.LBB6_1516:                             ;   in Loop: Header=BB6_128 Depth=2
	s_or_b32 exec_lo, exec_lo, s43
                                        ; implicit-def: $vgpr4
.LBB6_1517:                             ;   in Loop: Header=BB6_128 Depth=2
	s_and_not1_saveexec_b32 s10, s42
; %bb.1518:                             ;   in Loop: Header=BB6_128 Depth=2
	v_or_b32_e32 v74, 0x7e, v4
; %bb.1519:                             ;   in Loop: Header=BB6_128 Depth=2
	s_or_b32 exec_lo, exec_lo, s10
                                        ; implicit-def: $vgpr4
.LBB6_1520:                             ;   in Loop: Header=BB6_128 Depth=2
	s_and_not1_saveexec_b32 s10, s41
; %bb.1521:                             ;   in Loop: Header=BB6_128 Depth=2
	v_or_b32_e32 v74, 0x7f, v4
; %bb.1522:                             ;   in Loop: Header=BB6_128 Depth=2
	s_or_b32 exec_lo, exec_lo, s10
	v_mov_b32_e32 v5, 0
	s_mov_b32 s10, exec_lo
	v_cmpx_lt_u32_e32 0xffffff, v12
	s_cbranch_execz .LBB6_1530
; %bb.1523:                             ;   in Loop: Header=BB6_128 Depth=2
	v_lshrrev_b32_e32 v4, 24, v12
	v_bfrev_b32_e32 v5, 1
	s_mov_b32 s41, exec_lo
	s_delay_alu instid0(VALU_DEP_2)
	v_cmpx_ne_u32_e32 0x80, v4
	s_cbranch_execz .LBB6_1529
; %bb.1524:                             ;   in Loop: Header=BB6_128 Depth=2
	v_bfe_u32 v6, v12, 24, 7
	v_mov_b32_e32 v5, 0x7f800001
	s_mov_b32 s42, exec_lo
	s_delay_alu instid0(VALU_DEP_2)
	v_cmpx_ne_u32_e32 0x7f, v6
	s_cbranch_execz .LBB6_1528
; %bb.1525:                             ;   in Loop: Header=BB6_128 Depth=2
	v_dual_lshrrev_b32 v5, 3, v6 :: v_dual_bitop2_b32 v54, 7, v4 bitop3:0x40
	s_mov_b32 s43, exec_lo
	s_delay_alu instid0(VALU_DEP_1)
	v_mov_b64_e32 v[10:11], v[54:55]
	v_cmpx_gt_u32_e32 8, v6
; %bb.1526:                             ;   in Loop: Header=BB6_128 Depth=2
	v_clz_i32_u32_e32 v5, v54
	s_delay_alu instid0(VALU_DEP_1) | instskip(NEXT) | instid1(VALU_DEP_1)
	v_min_u32_e32 v5, 32, v5
	v_subrev_nc_u32_e32 v6, 28, v5
	s_delay_alu instid0(VALU_DEP_1) | instskip(NEXT) | instid1(VALU_DEP_1)
	v_lshlrev_b64_e32 v[6:7], v6, v[54:55]
	v_dual_sub_nc_u32 v5, 29, v5 :: v_dual_bitop2_b32 v10, 7, v6 bitop3:0x40
; %bb.1527:                             ;   in Loop: Header=BB6_128 Depth=2
	s_or_b32 exec_lo, exec_lo, s43
	s_delay_alu instid0(VALU_DEP_1) | instskip(NEXT) | instid1(VALU_DEP_2)
	v_dual_lshlrev_b32 v4, 24, v4 :: v_dual_lshlrev_b32 v6, 20, v10
	v_lshl_add_u32 v5, v5, 23, 0x3c000000
	s_delay_alu instid0(VALU_DEP_2) | instskip(NEXT) | instid1(VALU_DEP_1)
	v_and_b32_e32 v4, 0x80000000, v4
	v_or3_b32 v5, v6, v4, v5
.LBB6_1528:                             ;   in Loop: Header=BB6_128 Depth=2
	s_or_b32 exec_lo, exec_lo, s42
.LBB6_1529:                             ;   in Loop: Header=BB6_128 Depth=2
	s_delay_alu instid0(SALU_CYCLE_1)
	s_or_b32 exec_lo, exec_lo, s41
.LBB6_1530:                             ;   in Loop: Header=BB6_128 Depth=2
	s_delay_alu instid0(SALU_CYCLE_1) | instskip(NEXT) | instid1(VALU_DEP_1)
	s_or_b32 exec_lo, exec_lo, s10
	v_mul_f32_e32 v5, s40, v5
                                        ; implicit-def: $vgpr76
	s_mov_b32 s10, exec_lo
	s_delay_alu instid0(VALU_DEP_1) | instskip(SKIP_1) | instid1(VALU_DEP_2)
	v_and_b32_e32 v54, 0x7f800000, v5
	v_lshrrev_b32_e32 v4, 24, v5
	v_cmpx_ne_u64_e32 0x7f800000, v[54:55]
	s_xor_b32 s41, exec_lo, s10
	s_cbranch_execz .LBB6_1544
; %bb.1531:                             ;   in Loop: Header=BB6_128 Depth=2
	v_and_b32_e32 v54, 0x7fffffff, v5
	v_and_b32_e32 v4, 0x80, v4
                                        ; implicit-def: $vgpr76
	s_mov_b32 s10, exec_lo
	s_delay_alu instid0(VALU_DEP_2)
	v_cmpx_gt_u64_e32 0x43e00001, v[54:55]
	s_xor_b32 s42, exec_lo, s10
	s_cbranch_execz .LBB6_1541
; %bb.1532:                             ;   in Loop: Header=BB6_128 Depth=2
	v_mov_b32_e32 v76, 0
	s_mov_b32 s43, exec_lo
	v_cmpx_ne_u32_e32 0, v5
	s_cbranch_execz .LBB6_1540
; %bb.1533:                             ;   in Loop: Header=BB6_128 Depth=2
	v_and_b32_e32 v7, 0x7fffff, v5
	v_bfe_u32 v5, v5, 23, 8
	s_delay_alu instid0(VALU_DEP_2) | instskip(NEXT) | instid1(VALU_DEP_2)
	v_or_b32_e32 v8, 0x800000, v7
	v_cmp_gt_u32_e64 s10, 0x7a, v5
	v_sub_nc_u32_e32 v6, 0x79, v5
	v_cmp_eq_u32_e32 vcc_lo, 0, v5
	s_delay_alu instid0(VALU_DEP_2) | instskip(NEXT) | instid1(VALU_DEP_1)
	v_dual_cndmask_b32 v6, 0, v6, s10 :: v_dual_cndmask_b32 v54, v8, v7, vcc_lo
	v_cndmask_b32_e64 v6, v6, 0x78, vcc_lo
	s_delay_alu instid0(VALU_DEP_1) | instskip(NEXT) | instid1(VALU_DEP_1)
	v_add_nc_u32_e32 v7, 20, v6
	v_lshlrev_b64_e64 v[8:9], v7, -1
	v_add_nc_u32_e32 v7, 19, v6
	s_delay_alu instid0(VALU_DEP_1) | instskip(NEXT) | instid1(VALU_DEP_3)
	v_lshlrev_b64_e64 v[10:11], v7, 1
	v_bfi_b32 v9, v9, 0, 0
	s_delay_alu instid0(VALU_DEP_4) | instskip(NEXT) | instid1(VALU_DEP_1)
	v_bfi_b32 v8, v8, 0, v54
	v_cmp_eq_u64_e64 s10, v[8:9], v[10:11]
	v_lshrrev_b64 v[10:11], v6, v[54:55]
	s_delay_alu instid0(VALU_DEP_1)
	v_mov_b64_e32 v[14:15], v[10:11]
	s_and_saveexec_b32 s44, s10
; %bb.1534:                             ;   in Loop: Header=BB6_128 Depth=2
	v_bfe_u32 v54, v10, 20, 1
	s_delay_alu instid0(VALU_DEP_1) | instskip(NEXT) | instid1(VALU_DEP_1)
	v_add_nc_u64_e32 v[8:9], v[10:11], v[54:55]
	v_add_nc_u64_e32 v[14:15], -1, v[8:9]
; %bb.1535:                             ;   in Loop: Header=BB6_128 Depth=2
	s_or_b32 exec_lo, exec_lo, s44
	v_add_nc_u32_e32 v5, 0xffffff81, v5
	v_lshrrev_b32_e32 v7, 23, v10
	s_mov_b32 s10, exec_lo
	s_delay_alu instid0(VALU_DEP_2) | instskip(NEXT) | instid1(VALU_DEP_1)
	v_cndmask_b32_e64 v5, v5, 0xffffff82, vcc_lo
	v_add3_u32 v7, v6, v5, v7
	v_and_b32_e32 v5, 0xfffff, v14
	s_delay_alu instid0(VALU_DEP_1) | instskip(NEXT) | instid1(VALU_DEP_1)
	v_dual_add_nc_u32 v6, 6, v7 :: v_dual_add_nc_u32 v54, v5, v10
                                        ; implicit-def: $vgpr10_vgpr11
                                        ; implicit-def: $vgpr5
	v_cmpx_ne_u32_e32 0, v6
	s_xor_b32 s10, exec_lo, s10
; %bb.1536:                             ;   in Loop: Header=BB6_128 Depth=2
	s_delay_alu instid0(VALU_DEP_2) | instskip(SKIP_1) | instid1(VALU_DEP_1)
	v_cmp_lt_u64_e32 vcc_lo, 0xffffff, v[54:55]
	v_add_nc_u32_e32 v5, 7, v7
	v_cndmask_b32_e32 v5, v6, v5, vcc_lo
	v_cndmask_b32_e64 v6, 0, 1, vcc_lo
	s_delay_alu instid0(VALU_DEP_1)
	v_lshrrev_b64 v[10:11], v6, v[54:55]
; %bb.1537:                             ;   in Loop: Header=BB6_128 Depth=2
	s_and_not1_saveexec_b32 s10, s10
; %bb.1538:                             ;   in Loop: Header=BB6_128 Depth=2
	v_mov_b64_e32 v[10:11], v[54:55]
	v_bfe_u32 v5, v54, 23, 1
; %bb.1539:                             ;   in Loop: Header=BB6_128 Depth=2
	s_or_b32 exec_lo, exec_lo, s10
	s_delay_alu instid0(VALU_DEP_2) | instskip(NEXT) | instid1(VALU_DEP_2)
	v_lshrrev_b64 v[6:7], 20, v[10:11]
	v_cmp_gt_i32_e32 vcc_lo, 16, v5
	v_min_i32_e32 v8, 15, v5
	v_cmp_eq_u32_e64 s10, 0, v5
	s_delay_alu instid0(VALU_DEP_2) | instskip(SKIP_1) | instid1(VALU_DEP_2)
	v_dual_cndmask_b32 v7, 0, v7 :: v_dual_lshlrev_b32 v8, 3, v8
	v_cndmask_b32_e32 v6, 7, v6, vcc_lo
	v_and_b32_e32 v8, 0xf8, v8
	s_delay_alu instid0(VALU_DEP_2) | instskip(NEXT) | instid1(VALU_DEP_2)
	v_cmp_eq_u64_e32 vcc_lo, 0, v[6:7]
	v_and_or_b32 v5, v6, 7, v8
	s_and_b32 s10, s10, vcc_lo
	s_delay_alu instid0(VALU_DEP_1) | instid1(SALU_CYCLE_1)
	v_cndmask_b32_e64 v5, v5, 0, s10
	s_delay_alu instid0(VALU_DEP_1)
	v_or_b32_e32 v76, v5, v4
.LBB6_1540:                             ;   in Loop: Header=BB6_128 Depth=2
	s_or_b32 exec_lo, exec_lo, s43
                                        ; implicit-def: $vgpr4
.LBB6_1541:                             ;   in Loop: Header=BB6_128 Depth=2
	s_and_not1_saveexec_b32 s10, s42
; %bb.1542:                             ;   in Loop: Header=BB6_128 Depth=2
	v_or_b32_e32 v76, 0x7e, v4
; %bb.1543:                             ;   in Loop: Header=BB6_128 Depth=2
	s_or_b32 exec_lo, exec_lo, s10
                                        ; implicit-def: $vgpr4
.LBB6_1544:                             ;   in Loop: Header=BB6_128 Depth=2
	s_and_not1_saveexec_b32 s10, s41
; %bb.1545:                             ;   in Loop: Header=BB6_128 Depth=2
	v_or_b32_e32 v76, 0x7f, v4
; %bb.1546:                             ;   in Loop: Header=BB6_128 Depth=2
	s_or_b32 exec_lo, exec_lo, s10
	v_and_b32_e32 v5, 0xff, v13
	v_dual_mov_b32 v54, v13 :: v_dual_mov_b32 v4, 0
	s_mov_b32 s10, exec_lo
	s_delay_alu instid0(VALU_DEP_2)
	v_cmpx_ne_u16_e32 0, v5
	s_cbranch_execz .LBB6_1552
; %bb.1547:                             ;   in Loop: Header=BB6_128 Depth=2
	v_bfrev_b32_e32 v4, 1
	s_mov_b32 s41, exec_lo
	v_cmpx_ne_u16_e32 0x80, v5
	s_cbranch_execz .LBB6_1551
; %bb.1548:                             ;   in Loop: Header=BB6_128 Depth=2
	v_and_b32_e32 v5, 0x7f, v13
	v_mov_b32_e32 v4, 0x7f800001
	s_mov_b32 s42, exec_lo
	s_delay_alu instid0(VALU_DEP_2)
	v_cmpx_ne_u32_e32 0x7f, v5
	s_cbranch_execz .LBB6_1550
; %bb.1549:                             ;   in Loop: Header=BB6_128 Depth=2
	v_and_b32_e32 v4, 7, v13
	v_cmp_gt_u32_e32 vcc_lo, 8, v5
	s_delay_alu instid0(VALU_DEP_2) | instskip(NEXT) | instid1(VALU_DEP_1)
	v_clz_i32_u32_e32 v4, v4
	v_min_u32_e32 v4, 32, v4
	v_lshrrev_b32_e32 v6, 3, v5
	s_delay_alu instid0(VALU_DEP_2) | instskip(SKIP_1) | instid1(VALU_DEP_1)
	v_subrev_nc_u32_e32 v5, 28, v4
	v_sub_nc_u32_e32 v4, 29, v4
	v_dual_cndmask_b32 v6, v6, v4, vcc_lo :: v_dual_cndmask_b32 v4, 0, v5, vcc_lo
	s_delay_alu instid0(VALU_DEP_1) | instskip(NEXT) | instid1(VALU_DEP_2)
	v_lshl_add_u32 v6, v6, 23, 0x3c000000
	v_lshlrev_b64_e32 v[4:5], v4, v[54:55]
	v_lshlrev_b32_e32 v5, 24, v54
	s_delay_alu instid0(VALU_DEP_1) | instskip(NEXT) | instid1(VALU_DEP_3)
	v_and_b32_e32 v5, 0x80000000, v5
	v_lshlrev_b32_e32 v4, 20, v4
	s_delay_alu instid0(VALU_DEP_1) | instskip(NEXT) | instid1(VALU_DEP_1)
	v_and_b32_e32 v4, 0x700000, v4
	v_or3_b32 v4, v4, v5, v6
.LBB6_1550:                             ;   in Loop: Header=BB6_128 Depth=2
	s_or_b32 exec_lo, exec_lo, s42
.LBB6_1551:                             ;   in Loop: Header=BB6_128 Depth=2
	s_delay_alu instid0(SALU_CYCLE_1)
	s_or_b32 exec_lo, exec_lo, s41
.LBB6_1552:                             ;   in Loop: Header=BB6_128 Depth=2
	s_delay_alu instid0(SALU_CYCLE_1) | instskip(NEXT) | instid1(VALU_DEP_1)
	s_or_b32 exec_lo, exec_lo, s10
	v_dual_mul_f32 v5, s40, v4 :: v_dual_mov_b32 v7, v55
                                        ; implicit-def: $vgpr47
	s_mov_b32 s10, exec_lo
	s_delay_alu instid0(VALU_DEP_1) | instskip(SKIP_1) | instid1(VALU_DEP_2)
	v_and_b32_e32 v6, 0x7f800000, v5
	v_lshrrev_b32_e32 v4, 24, v5
	v_cmpx_ne_u64_e32 0x7f800000, v[6:7]
	s_xor_b32 s41, exec_lo, s10
	s_cbranch_execz .LBB6_1566
; %bb.1553:                             ;   in Loop: Header=BB6_128 Depth=2
	v_and_b32_e32 v6, 0x7fffffff, v5
	v_mov_b32_e32 v7, v55
	v_and_b32_e32 v4, 0x80, v4
                                        ; implicit-def: $vgpr47
	s_mov_b32 s10, exec_lo
	s_delay_alu instid0(VALU_DEP_2)
	v_cmpx_gt_u64_e32 0x43e00001, v[6:7]
	s_xor_b32 s42, exec_lo, s10
	s_cbranch_execz .LBB6_1563
; %bb.1554:                             ;   in Loop: Header=BB6_128 Depth=2
	v_mov_b32_e32 v47, 0
	s_mov_b32 s43, exec_lo
	v_cmpx_ne_u32_e32 0, v5
	s_cbranch_execz .LBB6_1562
; %bb.1555:                             ;   in Loop: Header=BB6_128 Depth=2
	v_and_b32_e32 v7, 0x7fffff, v5
	v_bfe_u32 v5, v5, 23, 8
	v_mov_b32_e32 v9, v55
	s_delay_alu instid0(VALU_DEP_3) | instskip(NEXT) | instid1(VALU_DEP_3)
	v_or_b32_e32 v8, 0x800000, v7
	v_cmp_gt_u32_e64 s10, 0x7a, v5
	v_sub_nc_u32_e32 v6, 0x79, v5
	v_cmp_eq_u32_e32 vcc_lo, 0, v5
	s_delay_alu instid0(VALU_DEP_2) | instskip(NEXT) | instid1(VALU_DEP_1)
	v_dual_cndmask_b32 v6, 0, v6, s10 :: v_dual_cndmask_b32 v8, v8, v7, vcc_lo
	v_cndmask_b32_e64 v6, v6, 0x78, vcc_lo
	s_delay_alu instid0(VALU_DEP_1) | instskip(NEXT) | instid1(VALU_DEP_1)
	v_add_nc_u32_e32 v7, 20, v6
	v_lshlrev_b64_e64 v[10:11], v7, -1
	v_add_nc_u32_e32 v7, 19, v6
	s_delay_alu instid0(VALU_DEP_1) | instskip(NEXT) | instid1(VALU_DEP_3)
	v_lshlrev_b64_e64 v[14:15], v7, 1
	v_bfi_b32 v11, v11, 0, 0
	s_delay_alu instid0(VALU_DEP_4) | instskip(NEXT) | instid1(VALU_DEP_1)
	v_bfi_b32 v10, v10, 0, v8
	v_cmp_eq_u64_e64 s10, v[10:11], v[14:15]
	v_lshrrev_b64 v[10:11], v6, v[8:9]
	s_delay_alu instid0(VALU_DEP_1)
	v_mov_b64_e32 v[14:15], v[10:11]
	s_and_saveexec_b32 s44, s10
; %bb.1556:                             ;   in Loop: Header=BB6_128 Depth=2
	v_bfe_u32 v8, v10, 20, 1
	v_mov_b32_e32 v9, v55
	s_delay_alu instid0(VALU_DEP_1) | instskip(NEXT) | instid1(VALU_DEP_1)
	v_add_nc_u64_e32 v[8:9], v[10:11], v[8:9]
	v_add_nc_u64_e32 v[14:15], -1, v[8:9]
; %bb.1557:                             ;   in Loop: Header=BB6_128 Depth=2
	s_or_b32 exec_lo, exec_lo, s44
	v_add_nc_u32_e32 v5, 0xffffff81, v5
	v_lshrrev_b32_e32 v7, 23, v10
	s_mov_b32 s10, exec_lo
	v_mov_b32_e32 v11, v55
	s_delay_alu instid0(VALU_DEP_3) | instskip(NEXT) | instid1(VALU_DEP_1)
	v_cndmask_b32_e64 v5, v5, 0xffffff82, vcc_lo
	v_add3_u32 v7, v6, v5, v7
	v_and_b32_e32 v5, 0xfffff, v14
	s_delay_alu instid0(VALU_DEP_1) | instskip(NEXT) | instid1(VALU_DEP_1)
	v_dual_add_nc_u32 v6, 6, v7 :: v_dual_add_nc_u32 v10, v5, v10
                                        ; implicit-def: $vgpr5
	v_cmpx_ne_u32_e32 0, v6
	s_xor_b32 s10, exec_lo, s10
; %bb.1558:                             ;   in Loop: Header=BB6_128 Depth=2
	s_delay_alu instid0(VALU_DEP_2) | instskip(SKIP_1) | instid1(VALU_DEP_1)
	v_cmp_lt_u64_e32 vcc_lo, 0xffffff, v[10:11]
	v_add_nc_u32_e32 v5, 7, v7
	v_cndmask_b32_e32 v5, v6, v5, vcc_lo
	v_cndmask_b32_e64 v6, 0, 1, vcc_lo
	s_delay_alu instid0(VALU_DEP_1)
	v_lshrrev_b64 v[10:11], v6, v[10:11]
; %bb.1559:                             ;   in Loop: Header=BB6_128 Depth=2
	s_and_not1_saveexec_b32 s10, s10
; %bb.1560:                             ;   in Loop: Header=BB6_128 Depth=2
	s_delay_alu instid0(VALU_DEP_1)
	v_bfe_u32 v5, v10, 23, 1
; %bb.1561:                             ;   in Loop: Header=BB6_128 Depth=2
	s_or_b32 exec_lo, exec_lo, s10
	s_delay_alu instid0(VALU_DEP_2) | instskip(NEXT) | instid1(VALU_DEP_2)
	v_lshrrev_b64 v[6:7], 20, v[10:11]
	v_cmp_gt_i32_e32 vcc_lo, 16, v5
	v_min_i32_e32 v8, 15, v5
	v_cmp_eq_u32_e64 s10, 0, v5
	s_delay_alu instid0(VALU_DEP_2) | instskip(SKIP_1) | instid1(VALU_DEP_2)
	v_dual_cndmask_b32 v7, 0, v7 :: v_dual_lshlrev_b32 v8, 3, v8
	v_cndmask_b32_e32 v6, 7, v6, vcc_lo
	v_and_b32_e32 v8, 0xf8, v8
	s_delay_alu instid0(VALU_DEP_2) | instskip(NEXT) | instid1(VALU_DEP_2)
	v_cmp_eq_u64_e32 vcc_lo, 0, v[6:7]
	v_and_or_b32 v5, v6, 7, v8
	s_and_b32 s10, s10, vcc_lo
	s_delay_alu instid0(VALU_DEP_1) | instid1(SALU_CYCLE_1)
	v_cndmask_b32_e64 v5, v5, 0, s10
	s_delay_alu instid0(VALU_DEP_1)
	v_or_b32_e32 v47, v5, v4
.LBB6_1562:                             ;   in Loop: Header=BB6_128 Depth=2
	s_or_b32 exec_lo, exec_lo, s43
                                        ; implicit-def: $vgpr4
.LBB6_1563:                             ;   in Loop: Header=BB6_128 Depth=2
	s_and_not1_saveexec_b32 s10, s42
; %bb.1564:                             ;   in Loop: Header=BB6_128 Depth=2
	v_or_b32_e32 v47, 0x7e, v4
; %bb.1565:                             ;   in Loop: Header=BB6_128 Depth=2
	s_or_b32 exec_lo, exec_lo, s10
                                        ; implicit-def: $vgpr4
.LBB6_1566:                             ;   in Loop: Header=BB6_128 Depth=2
	s_and_not1_saveexec_b32 s10, s41
; %bb.1567:                             ;   in Loop: Header=BB6_128 Depth=2
	v_or_b32_e32 v47, 0x7f, v4
; %bb.1568:                             ;   in Loop: Header=BB6_128 Depth=2
	s_or_b32 exec_lo, exec_lo, s10
	v_lshrrev_b16 v5, 8, v54
	v_mov_b32_e32 v4, 0
	s_mov_b32 s10, exec_lo
	s_delay_alu instid0(VALU_DEP_2)
	v_cmpx_ne_u16_e32 0, v5
	s_cbranch_execz .LBB6_1576
; %bb.1569:                             ;   in Loop: Header=BB6_128 Depth=2
	v_bfrev_b32_e32 v4, 1
	s_mov_b32 s41, exec_lo
	v_cmpx_ne_u16_e32 0x80, v5
	s_cbranch_execz .LBB6_1575
; %bb.1570:                             ;   in Loop: Header=BB6_128 Depth=2
	v_and_b32_e32 v6, 0xffff, v5
	v_mov_b32_e32 v4, 0x7f800001
	s_mov_b32 s42, exec_lo
	s_delay_alu instid0(VALU_DEP_2) | instskip(NEXT) | instid1(VALU_DEP_1)
	v_and_b32_e32 v5, 0x7f, v6
	v_cmpx_ne_u32_e32 0x7f, v5
	s_cbranch_execz .LBB6_1574
; %bb.1571:                             ;   in Loop: Header=BB6_128 Depth=2
	v_dual_mov_b32 v11, v55 :: v_dual_bitop2_b32 v10, 7, v6 bitop3:0x40
	v_lshrrev_b32_e32 v4, 3, v5
	s_mov_b32 s43, exec_lo
	v_cmpx_gt_u32_e32 8, v5
; %bb.1572:                             ;   in Loop: Header=BB6_128 Depth=2
	s_delay_alu instid0(VALU_DEP_3) | instskip(NEXT) | instid1(VALU_DEP_1)
	v_clz_i32_u32_e32 v4, v10
	v_min_u32_e32 v4, 32, v4
	s_delay_alu instid0(VALU_DEP_1) | instskip(NEXT) | instid1(VALU_DEP_1)
	v_subrev_nc_u32_e32 v5, 28, v4
	v_lshlrev_b64_e32 v[6:7], v5, v[10:11]
	s_delay_alu instid0(VALU_DEP_1)
	v_dual_sub_nc_u32 v4, 29, v4 :: v_dual_bitop2_b32 v10, 7, v6 bitop3:0x40
; %bb.1573:                             ;   in Loop: Header=BB6_128 Depth=2
	s_or_b32 exec_lo, exec_lo, s43
	v_lshlrev_b32_e32 v5, 16, v54
	s_delay_alu instid0(VALU_DEP_2) | instskip(NEXT) | instid1(VALU_DEP_3)
	v_lshlrev_b32_e32 v6, 20, v10
	v_lshl_add_u32 v4, v4, 23, 0x3c000000
	s_delay_alu instid0(VALU_DEP_3) | instskip(NEXT) | instid1(VALU_DEP_1)
	v_and_b32_e32 v5, 0x80000000, v5
	v_or3_b32 v4, v6, v5, v4
.LBB6_1574:                             ;   in Loop: Header=BB6_128 Depth=2
	s_or_b32 exec_lo, exec_lo, s42
.LBB6_1575:                             ;   in Loop: Header=BB6_128 Depth=2
	s_delay_alu instid0(SALU_CYCLE_1)
	s_or_b32 exec_lo, exec_lo, s41
.LBB6_1576:                             ;   in Loop: Header=BB6_128 Depth=2
	s_delay_alu instid0(SALU_CYCLE_1) | instskip(NEXT) | instid1(VALU_DEP_1)
	s_or_b32 exec_lo, exec_lo, s10
	v_mul_f32_e32 v5, s40, v4
                                        ; implicit-def: $vgpr58
	s_mov_b32 s10, exec_lo
	s_delay_alu instid0(VALU_DEP_1) | instskip(SKIP_1) | instid1(VALU_DEP_2)
	v_and_b32_e32 v54, 0x7f800000, v5
	v_lshrrev_b32_e32 v4, 24, v5
	v_cmpx_ne_u64_e32 0x7f800000, v[54:55]
	s_xor_b32 s41, exec_lo, s10
	s_cbranch_execz .LBB6_1590
; %bb.1577:                             ;   in Loop: Header=BB6_128 Depth=2
	v_and_b32_e32 v54, 0x7fffffff, v5
	v_and_b32_e32 v4, 0x80, v4
                                        ; implicit-def: $vgpr58
	s_mov_b32 s10, exec_lo
	s_delay_alu instid0(VALU_DEP_2)
	v_cmpx_gt_u64_e32 0x43e00001, v[54:55]
	s_xor_b32 s42, exec_lo, s10
	s_cbranch_execz .LBB6_1587
; %bb.1578:                             ;   in Loop: Header=BB6_128 Depth=2
	v_mov_b32_e32 v58, 0
	s_mov_b32 s43, exec_lo
	v_cmpx_ne_u32_e32 0, v5
	s_cbranch_execz .LBB6_1586
; %bb.1579:                             ;   in Loop: Header=BB6_128 Depth=2
	v_and_b32_e32 v7, 0x7fffff, v5
	v_bfe_u32 v5, v5, 23, 8
	s_delay_alu instid0(VALU_DEP_2) | instskip(NEXT) | instid1(VALU_DEP_2)
	v_or_b32_e32 v8, 0x800000, v7
	v_cmp_gt_u32_e64 s10, 0x7a, v5
	v_sub_nc_u32_e32 v6, 0x79, v5
	v_cmp_eq_u32_e32 vcc_lo, 0, v5
	s_delay_alu instid0(VALU_DEP_2) | instskip(NEXT) | instid1(VALU_DEP_1)
	v_dual_cndmask_b32 v6, 0, v6, s10 :: v_dual_cndmask_b32 v54, v8, v7, vcc_lo
	v_cndmask_b32_e64 v6, v6, 0x78, vcc_lo
	s_delay_alu instid0(VALU_DEP_1) | instskip(NEXT) | instid1(VALU_DEP_1)
	v_add_nc_u32_e32 v7, 20, v6
	v_lshlrev_b64_e64 v[8:9], v7, -1
	v_add_nc_u32_e32 v7, 19, v6
	s_delay_alu instid0(VALU_DEP_1) | instskip(NEXT) | instid1(VALU_DEP_3)
	v_lshlrev_b64_e64 v[10:11], v7, 1
	v_bfi_b32 v9, v9, 0, 0
	s_delay_alu instid0(VALU_DEP_4) | instskip(NEXT) | instid1(VALU_DEP_1)
	v_bfi_b32 v8, v8, 0, v54
	v_cmp_eq_u64_e64 s10, v[8:9], v[10:11]
	v_lshrrev_b64 v[10:11], v6, v[54:55]
	s_delay_alu instid0(VALU_DEP_1)
	v_mov_b64_e32 v[14:15], v[10:11]
	s_and_saveexec_b32 s44, s10
; %bb.1580:                             ;   in Loop: Header=BB6_128 Depth=2
	v_bfe_u32 v54, v10, 20, 1
	s_delay_alu instid0(VALU_DEP_1) | instskip(NEXT) | instid1(VALU_DEP_1)
	v_add_nc_u64_e32 v[8:9], v[10:11], v[54:55]
	v_add_nc_u64_e32 v[14:15], -1, v[8:9]
; %bb.1581:                             ;   in Loop: Header=BB6_128 Depth=2
	s_or_b32 exec_lo, exec_lo, s44
	v_add_nc_u32_e32 v5, 0xffffff81, v5
	v_lshrrev_b32_e32 v7, 23, v10
	s_mov_b32 s10, exec_lo
	s_delay_alu instid0(VALU_DEP_2) | instskip(NEXT) | instid1(VALU_DEP_1)
	v_cndmask_b32_e64 v5, v5, 0xffffff82, vcc_lo
	v_add3_u32 v7, v6, v5, v7
	v_and_b32_e32 v5, 0xfffff, v14
	s_delay_alu instid0(VALU_DEP_1) | instskip(NEXT) | instid1(VALU_DEP_1)
	v_dual_add_nc_u32 v6, 6, v7 :: v_dual_add_nc_u32 v54, v5, v10
                                        ; implicit-def: $vgpr10_vgpr11
                                        ; implicit-def: $vgpr5
	v_cmpx_ne_u32_e32 0, v6
	s_xor_b32 s10, exec_lo, s10
; %bb.1582:                             ;   in Loop: Header=BB6_128 Depth=2
	s_delay_alu instid0(VALU_DEP_2) | instskip(SKIP_1) | instid1(VALU_DEP_1)
	v_cmp_lt_u64_e32 vcc_lo, 0xffffff, v[54:55]
	v_add_nc_u32_e32 v5, 7, v7
	v_cndmask_b32_e32 v5, v6, v5, vcc_lo
	v_cndmask_b32_e64 v6, 0, 1, vcc_lo
	s_delay_alu instid0(VALU_DEP_1)
	v_lshrrev_b64 v[10:11], v6, v[54:55]
; %bb.1583:                             ;   in Loop: Header=BB6_128 Depth=2
	s_and_not1_saveexec_b32 s10, s10
; %bb.1584:                             ;   in Loop: Header=BB6_128 Depth=2
	v_mov_b64_e32 v[10:11], v[54:55]
	v_bfe_u32 v5, v54, 23, 1
; %bb.1585:                             ;   in Loop: Header=BB6_128 Depth=2
	s_or_b32 exec_lo, exec_lo, s10
	s_delay_alu instid0(VALU_DEP_2) | instskip(NEXT) | instid1(VALU_DEP_2)
	v_lshrrev_b64 v[6:7], 20, v[10:11]
	v_cmp_gt_i32_e32 vcc_lo, 16, v5
	v_min_i32_e32 v8, 15, v5
	v_cmp_eq_u32_e64 s10, 0, v5
	s_delay_alu instid0(VALU_DEP_2) | instskip(SKIP_1) | instid1(VALU_DEP_2)
	v_dual_cndmask_b32 v7, 0, v7 :: v_dual_lshlrev_b32 v8, 3, v8
	v_cndmask_b32_e32 v6, 7, v6, vcc_lo
	v_and_b32_e32 v8, 0xf8, v8
	s_delay_alu instid0(VALU_DEP_2) | instskip(NEXT) | instid1(VALU_DEP_2)
	v_cmp_eq_u64_e32 vcc_lo, 0, v[6:7]
	v_and_or_b32 v5, v6, 7, v8
	s_and_b32 s10, s10, vcc_lo
	s_delay_alu instid0(VALU_DEP_1) | instid1(SALU_CYCLE_1)
	v_cndmask_b32_e64 v5, v5, 0, s10
	s_delay_alu instid0(VALU_DEP_1)
	v_or_b32_e32 v58, v5, v4
.LBB6_1586:                             ;   in Loop: Header=BB6_128 Depth=2
	s_or_b32 exec_lo, exec_lo, s43
                                        ; implicit-def: $vgpr4
.LBB6_1587:                             ;   in Loop: Header=BB6_128 Depth=2
	s_and_not1_saveexec_b32 s10, s42
; %bb.1588:                             ;   in Loop: Header=BB6_128 Depth=2
	v_or_b32_e32 v58, 0x7e, v4
; %bb.1589:                             ;   in Loop: Header=BB6_128 Depth=2
	s_or_b32 exec_lo, exec_lo, s10
                                        ; implicit-def: $vgpr4
.LBB6_1590:                             ;   in Loop: Header=BB6_128 Depth=2
	s_and_not1_saveexec_b32 s10, s41
; %bb.1591:                             ;   in Loop: Header=BB6_128 Depth=2
	v_or_b32_e32 v58, 0x7f, v4
; %bb.1592:                             ;   in Loop: Header=BB6_128 Depth=2
	s_or_b32 exec_lo, exec_lo, s10
	v_dual_mov_b32 v5, 0 :: v_dual_lshrrev_b32 v4, 16, v13
	s_mov_b32 s10, exec_lo
	s_delay_alu instid0(VALU_DEP_1) | instskip(NEXT) | instid1(VALU_DEP_1)
	v_and_b32_e32 v6, 0xff, v4
	v_cmpx_ne_u16_e32 0, v6
	s_cbranch_execz .LBB6_1600
; %bb.1593:                             ;   in Loop: Header=BB6_128 Depth=2
	v_bfrev_b32_e32 v5, 1
	s_mov_b32 s41, exec_lo
	v_cmpx_ne_u16_e32 0x80, v6
	s_cbranch_execz .LBB6_1599
; %bb.1594:                             ;   in Loop: Header=BB6_128 Depth=2
	v_bfe_u32 v6, v13, 16, 7
	v_mov_b32_e32 v5, 0x7f800001
	s_mov_b32 s42, exec_lo
	s_delay_alu instid0(VALU_DEP_2)
	v_cmpx_ne_u32_e32 0x7f, v6
	s_cbranch_execz .LBB6_1598
; %bb.1595:                             ;   in Loop: Header=BB6_128 Depth=2
	v_dual_lshrrev_b32 v5, 3, v6 :: v_dual_bitop2_b32 v54, 7, v4 bitop3:0x40
	s_mov_b32 s43, exec_lo
	s_delay_alu instid0(VALU_DEP_1)
	v_mov_b64_e32 v[10:11], v[54:55]
	v_cmpx_gt_u32_e32 8, v6
; %bb.1596:                             ;   in Loop: Header=BB6_128 Depth=2
	v_clz_i32_u32_e32 v5, v54
	s_delay_alu instid0(VALU_DEP_1) | instskip(NEXT) | instid1(VALU_DEP_1)
	v_min_u32_e32 v5, 32, v5
	v_subrev_nc_u32_e32 v6, 28, v5
	s_delay_alu instid0(VALU_DEP_1) | instskip(NEXT) | instid1(VALU_DEP_1)
	v_lshlrev_b64_e32 v[6:7], v6, v[54:55]
	v_dual_sub_nc_u32 v5, 29, v5 :: v_dual_bitop2_b32 v10, 7, v6 bitop3:0x40
; %bb.1597:                             ;   in Loop: Header=BB6_128 Depth=2
	s_or_b32 exec_lo, exec_lo, s43
	s_delay_alu instid0(VALU_DEP_1) | instskip(NEXT) | instid1(VALU_DEP_2)
	v_dual_lshlrev_b32 v4, 24, v4 :: v_dual_lshlrev_b32 v6, 20, v10
	v_lshl_add_u32 v5, v5, 23, 0x3c000000
	s_delay_alu instid0(VALU_DEP_2) | instskip(NEXT) | instid1(VALU_DEP_1)
	v_and_b32_e32 v4, 0x80000000, v4
	v_or3_b32 v5, v6, v4, v5
.LBB6_1598:                             ;   in Loop: Header=BB6_128 Depth=2
	s_or_b32 exec_lo, exec_lo, s42
.LBB6_1599:                             ;   in Loop: Header=BB6_128 Depth=2
	s_delay_alu instid0(SALU_CYCLE_1)
	s_or_b32 exec_lo, exec_lo, s41
.LBB6_1600:                             ;   in Loop: Header=BB6_128 Depth=2
	s_delay_alu instid0(SALU_CYCLE_1) | instskip(NEXT) | instid1(VALU_DEP_1)
	s_or_b32 exec_lo, exec_lo, s10
	v_mul_f32_e32 v5, s40, v5
                                        ; implicit-def: $vgpr61
	s_mov_b32 s10, exec_lo
	s_delay_alu instid0(VALU_DEP_1) | instskip(SKIP_1) | instid1(VALU_DEP_2)
	v_and_b32_e32 v54, 0x7f800000, v5
	v_lshrrev_b32_e32 v4, 24, v5
	v_cmpx_ne_u64_e32 0x7f800000, v[54:55]
	s_xor_b32 s41, exec_lo, s10
	s_cbranch_execz .LBB6_1614
; %bb.1601:                             ;   in Loop: Header=BB6_128 Depth=2
	v_and_b32_e32 v54, 0x7fffffff, v5
	v_and_b32_e32 v4, 0x80, v4
                                        ; implicit-def: $vgpr61
	s_mov_b32 s10, exec_lo
	s_delay_alu instid0(VALU_DEP_2)
	v_cmpx_gt_u64_e32 0x43e00001, v[54:55]
	s_xor_b32 s42, exec_lo, s10
	s_cbranch_execz .LBB6_1611
; %bb.1602:                             ;   in Loop: Header=BB6_128 Depth=2
	v_mov_b32_e32 v61, 0
	s_mov_b32 s43, exec_lo
	v_cmpx_ne_u32_e32 0, v5
	s_cbranch_execz .LBB6_1610
; %bb.1603:                             ;   in Loop: Header=BB6_128 Depth=2
	v_and_b32_e32 v7, 0x7fffff, v5
	v_bfe_u32 v5, v5, 23, 8
	s_delay_alu instid0(VALU_DEP_2) | instskip(NEXT) | instid1(VALU_DEP_2)
	v_or_b32_e32 v8, 0x800000, v7
	v_cmp_gt_u32_e64 s10, 0x7a, v5
	v_sub_nc_u32_e32 v6, 0x79, v5
	v_cmp_eq_u32_e32 vcc_lo, 0, v5
	s_delay_alu instid0(VALU_DEP_2) | instskip(NEXT) | instid1(VALU_DEP_1)
	v_dual_cndmask_b32 v6, 0, v6, s10 :: v_dual_cndmask_b32 v54, v8, v7, vcc_lo
	v_cndmask_b32_e64 v6, v6, 0x78, vcc_lo
	s_delay_alu instid0(VALU_DEP_1) | instskip(NEXT) | instid1(VALU_DEP_1)
	v_add_nc_u32_e32 v7, 20, v6
	v_lshlrev_b64_e64 v[8:9], v7, -1
	v_add_nc_u32_e32 v7, 19, v6
	s_delay_alu instid0(VALU_DEP_1) | instskip(NEXT) | instid1(VALU_DEP_3)
	v_lshlrev_b64_e64 v[10:11], v7, 1
	v_bfi_b32 v9, v9, 0, 0
	s_delay_alu instid0(VALU_DEP_4) | instskip(NEXT) | instid1(VALU_DEP_1)
	v_bfi_b32 v8, v8, 0, v54
	v_cmp_eq_u64_e64 s10, v[8:9], v[10:11]
	v_lshrrev_b64 v[10:11], v6, v[54:55]
	s_delay_alu instid0(VALU_DEP_1)
	v_mov_b64_e32 v[14:15], v[10:11]
	s_and_saveexec_b32 s44, s10
; %bb.1604:                             ;   in Loop: Header=BB6_128 Depth=2
	v_bfe_u32 v54, v10, 20, 1
	s_delay_alu instid0(VALU_DEP_1) | instskip(NEXT) | instid1(VALU_DEP_1)
	v_add_nc_u64_e32 v[8:9], v[10:11], v[54:55]
	v_add_nc_u64_e32 v[14:15], -1, v[8:9]
; %bb.1605:                             ;   in Loop: Header=BB6_128 Depth=2
	s_or_b32 exec_lo, exec_lo, s44
	v_add_nc_u32_e32 v5, 0xffffff81, v5
	v_lshrrev_b32_e32 v7, 23, v10
	s_mov_b32 s10, exec_lo
	s_delay_alu instid0(VALU_DEP_2) | instskip(NEXT) | instid1(VALU_DEP_1)
	v_cndmask_b32_e64 v5, v5, 0xffffff82, vcc_lo
	v_add3_u32 v7, v6, v5, v7
	v_and_b32_e32 v5, 0xfffff, v14
	s_delay_alu instid0(VALU_DEP_1) | instskip(NEXT) | instid1(VALU_DEP_1)
	v_dual_add_nc_u32 v6, 6, v7 :: v_dual_add_nc_u32 v54, v5, v10
                                        ; implicit-def: $vgpr10_vgpr11
                                        ; implicit-def: $vgpr5
	v_cmpx_ne_u32_e32 0, v6
	s_xor_b32 s10, exec_lo, s10
; %bb.1606:                             ;   in Loop: Header=BB6_128 Depth=2
	s_delay_alu instid0(VALU_DEP_2) | instskip(SKIP_1) | instid1(VALU_DEP_1)
	v_cmp_lt_u64_e32 vcc_lo, 0xffffff, v[54:55]
	v_add_nc_u32_e32 v5, 7, v7
	v_cndmask_b32_e32 v5, v6, v5, vcc_lo
	v_cndmask_b32_e64 v6, 0, 1, vcc_lo
	s_delay_alu instid0(VALU_DEP_1)
	v_lshrrev_b64 v[10:11], v6, v[54:55]
; %bb.1607:                             ;   in Loop: Header=BB6_128 Depth=2
	s_and_not1_saveexec_b32 s10, s10
; %bb.1608:                             ;   in Loop: Header=BB6_128 Depth=2
	v_mov_b64_e32 v[10:11], v[54:55]
	v_bfe_u32 v5, v54, 23, 1
; %bb.1609:                             ;   in Loop: Header=BB6_128 Depth=2
	s_or_b32 exec_lo, exec_lo, s10
	s_delay_alu instid0(VALU_DEP_2) | instskip(NEXT) | instid1(VALU_DEP_2)
	v_lshrrev_b64 v[6:7], 20, v[10:11]
	v_cmp_gt_i32_e32 vcc_lo, 16, v5
	v_min_i32_e32 v8, 15, v5
	v_cmp_eq_u32_e64 s10, 0, v5
	s_delay_alu instid0(VALU_DEP_2) | instskip(SKIP_1) | instid1(VALU_DEP_2)
	v_dual_cndmask_b32 v7, 0, v7 :: v_dual_lshlrev_b32 v8, 3, v8
	v_cndmask_b32_e32 v6, 7, v6, vcc_lo
	v_and_b32_e32 v8, 0xf8, v8
	s_delay_alu instid0(VALU_DEP_2) | instskip(NEXT) | instid1(VALU_DEP_2)
	v_cmp_eq_u64_e32 vcc_lo, 0, v[6:7]
	v_and_or_b32 v5, v6, 7, v8
	s_and_b32 s10, s10, vcc_lo
	s_delay_alu instid0(VALU_DEP_1) | instid1(SALU_CYCLE_1)
	v_cndmask_b32_e64 v5, v5, 0, s10
	s_delay_alu instid0(VALU_DEP_1)
	v_or_b32_e32 v61, v5, v4
.LBB6_1610:                             ;   in Loop: Header=BB6_128 Depth=2
	s_or_b32 exec_lo, exec_lo, s43
                                        ; implicit-def: $vgpr4
.LBB6_1611:                             ;   in Loop: Header=BB6_128 Depth=2
	s_and_not1_saveexec_b32 s10, s42
; %bb.1612:                             ;   in Loop: Header=BB6_128 Depth=2
	v_or_b32_e32 v61, 0x7e, v4
; %bb.1613:                             ;   in Loop: Header=BB6_128 Depth=2
	s_or_b32 exec_lo, exec_lo, s10
                                        ; implicit-def: $vgpr4
.LBB6_1614:                             ;   in Loop: Header=BB6_128 Depth=2
	s_and_not1_saveexec_b32 s10, s41
; %bb.1615:                             ;   in Loop: Header=BB6_128 Depth=2
	v_or_b32_e32 v61, 0x7f, v4
; %bb.1616:                             ;   in Loop: Header=BB6_128 Depth=2
	s_or_b32 exec_lo, exec_lo, s10
	v_mov_b32_e32 v5, 0
	s_mov_b32 s10, exec_lo
	v_cmpx_lt_u64_e64 s[14:15], v[12:13]
	s_cbranch_execz .LBB6_1624
; %bb.1617:                             ;   in Loop: Header=BB6_128 Depth=2
	v_lshrrev_b32_e32 v4, 24, v13
	v_bfrev_b32_e32 v5, 1
	s_mov_b32 s41, exec_lo
	s_delay_alu instid0(VALU_DEP_2)
	v_cmpx_ne_u32_e32 0x80, v4
	s_cbranch_execz .LBB6_1623
; %bb.1618:                             ;   in Loop: Header=BB6_128 Depth=2
	v_bfe_u32 v6, v13, 24, 7
	v_mov_b32_e32 v5, 0x7f800001
	s_mov_b32 s42, exec_lo
	s_delay_alu instid0(VALU_DEP_2)
	v_cmpx_ne_u32_e32 0x7f, v6
	s_cbranch_execz .LBB6_1622
; %bb.1619:                             ;   in Loop: Header=BB6_128 Depth=2
	v_dual_lshrrev_b32 v5, 3, v6 :: v_dual_bitop2_b32 v54, 7, v4 bitop3:0x40
	s_mov_b32 s43, exec_lo
	s_delay_alu instid0(VALU_DEP_1)
	v_mov_b64_e32 v[10:11], v[54:55]
	v_cmpx_gt_u32_e32 8, v6
; %bb.1620:                             ;   in Loop: Header=BB6_128 Depth=2
	v_clz_i32_u32_e32 v5, v54
	s_delay_alu instid0(VALU_DEP_1) | instskip(NEXT) | instid1(VALU_DEP_1)
	v_min_u32_e32 v5, 32, v5
	v_subrev_nc_u32_e32 v6, 28, v5
	s_delay_alu instid0(VALU_DEP_1) | instskip(NEXT) | instid1(VALU_DEP_1)
	v_lshlrev_b64_e32 v[6:7], v6, v[54:55]
	v_dual_sub_nc_u32 v5, 29, v5 :: v_dual_bitop2_b32 v10, 7, v6 bitop3:0x40
; %bb.1621:                             ;   in Loop: Header=BB6_128 Depth=2
	s_or_b32 exec_lo, exec_lo, s43
	s_delay_alu instid0(VALU_DEP_1) | instskip(NEXT) | instid1(VALU_DEP_2)
	v_dual_lshlrev_b32 v4, 24, v4 :: v_dual_lshlrev_b32 v6, 20, v10
	v_lshl_add_u32 v5, v5, 23, 0x3c000000
	s_delay_alu instid0(VALU_DEP_2) | instskip(NEXT) | instid1(VALU_DEP_1)
	v_and_b32_e32 v4, 0x80000000, v4
	v_or3_b32 v5, v6, v4, v5
.LBB6_1622:                             ;   in Loop: Header=BB6_128 Depth=2
	s_or_b32 exec_lo, exec_lo, s42
.LBB6_1623:                             ;   in Loop: Header=BB6_128 Depth=2
	s_delay_alu instid0(SALU_CYCLE_1)
	s_or_b32 exec_lo, exec_lo, s41
.LBB6_1624:                             ;   in Loop: Header=BB6_128 Depth=2
	s_delay_alu instid0(SALU_CYCLE_1) | instskip(NEXT) | instid1(VALU_DEP_1)
	s_or_b32 exec_lo, exec_lo, s10
	v_mul_f32_e32 v5, s40, v5
                                        ; implicit-def: $vgpr72
	s_mov_b32 s10, exec_lo
	s_delay_alu instid0(VALU_DEP_1) | instskip(SKIP_1) | instid1(VALU_DEP_2)
	v_and_b32_e32 v54, 0x7f800000, v5
	v_lshrrev_b32_e32 v4, 24, v5
	v_cmpx_ne_u64_e32 0x7f800000, v[54:55]
	s_xor_b32 s40, exec_lo, s10
	s_cbranch_execz .LBB6_1638
; %bb.1625:                             ;   in Loop: Header=BB6_128 Depth=2
	v_and_b32_e32 v54, 0x7fffffff, v5
	v_and_b32_e32 v4, 0x80, v4
                                        ; implicit-def: $vgpr72
	s_mov_b32 s10, exec_lo
	s_delay_alu instid0(VALU_DEP_2)
	v_cmpx_gt_u64_e32 0x43e00001, v[54:55]
	s_xor_b32 s41, exec_lo, s10
	s_cbranch_execz .LBB6_1635
; %bb.1626:                             ;   in Loop: Header=BB6_128 Depth=2
	v_mov_b32_e32 v72, 0
	s_mov_b32 s42, exec_lo
	v_cmpx_ne_u32_e32 0, v5
	s_cbranch_execz .LBB6_1634
; %bb.1627:                             ;   in Loop: Header=BB6_128 Depth=2
	v_and_b32_e32 v7, 0x7fffff, v5
	v_bfe_u32 v5, v5, 23, 8
	s_delay_alu instid0(VALU_DEP_2) | instskip(NEXT) | instid1(VALU_DEP_2)
	v_or_b32_e32 v8, 0x800000, v7
	v_cmp_gt_u32_e64 s10, 0x7a, v5
	v_sub_nc_u32_e32 v6, 0x79, v5
	v_cmp_eq_u32_e32 vcc_lo, 0, v5
	s_delay_alu instid0(VALU_DEP_2) | instskip(NEXT) | instid1(VALU_DEP_1)
	v_dual_cndmask_b32 v6, 0, v6, s10 :: v_dual_cndmask_b32 v54, v8, v7, vcc_lo
	v_cndmask_b32_e64 v6, v6, 0x78, vcc_lo
	s_delay_alu instid0(VALU_DEP_1) | instskip(NEXT) | instid1(VALU_DEP_1)
	v_add_nc_u32_e32 v7, 20, v6
	v_lshlrev_b64_e64 v[8:9], v7, -1
	v_add_nc_u32_e32 v7, 19, v6
	s_delay_alu instid0(VALU_DEP_1) | instskip(NEXT) | instid1(VALU_DEP_3)
	v_lshlrev_b64_e64 v[10:11], v7, 1
	v_bfi_b32 v9, v9, 0, 0
	s_delay_alu instid0(VALU_DEP_4) | instskip(NEXT) | instid1(VALU_DEP_1)
	v_bfi_b32 v8, v8, 0, v54
	v_cmp_eq_u64_e64 s10, v[8:9], v[10:11]
	v_lshrrev_b64 v[10:11], v6, v[54:55]
	s_delay_alu instid0(VALU_DEP_1)
	v_mov_b64_e32 v[12:13], v[10:11]
	s_and_saveexec_b32 s43, s10
; %bb.1628:                             ;   in Loop: Header=BB6_128 Depth=2
	v_bfe_u32 v54, v10, 20, 1
	s_delay_alu instid0(VALU_DEP_1) | instskip(NEXT) | instid1(VALU_DEP_1)
	v_add_nc_u64_e32 v[8:9], v[10:11], v[54:55]
	v_add_nc_u64_e32 v[12:13], -1, v[8:9]
; %bb.1629:                             ;   in Loop: Header=BB6_128 Depth=2
	s_or_b32 exec_lo, exec_lo, s43
	v_add_nc_u32_e32 v5, 0xffffff81, v5
	v_lshrrev_b32_e32 v7, 23, v10
	s_mov_b32 s10, exec_lo
	s_delay_alu instid0(VALU_DEP_2) | instskip(NEXT) | instid1(VALU_DEP_1)
	v_cndmask_b32_e64 v5, v5, 0xffffff82, vcc_lo
	v_add3_u32 v7, v6, v5, v7
	v_and_b32_e32 v5, 0xfffff, v12
	s_delay_alu instid0(VALU_DEP_1) | instskip(NEXT) | instid1(VALU_DEP_1)
	v_dual_add_nc_u32 v6, 6, v7 :: v_dual_add_nc_u32 v54, v5, v10
                                        ; implicit-def: $vgpr10_vgpr11
                                        ; implicit-def: $vgpr5
	v_cmpx_ne_u32_e32 0, v6
	s_xor_b32 s10, exec_lo, s10
; %bb.1630:                             ;   in Loop: Header=BB6_128 Depth=2
	s_delay_alu instid0(VALU_DEP_2) | instskip(SKIP_1) | instid1(VALU_DEP_1)
	v_cmp_lt_u64_e32 vcc_lo, 0xffffff, v[54:55]
	v_add_nc_u32_e32 v5, 7, v7
	v_cndmask_b32_e32 v5, v6, v5, vcc_lo
	v_cndmask_b32_e64 v6, 0, 1, vcc_lo
	s_delay_alu instid0(VALU_DEP_1)
	v_lshrrev_b64 v[10:11], v6, v[54:55]
; %bb.1631:                             ;   in Loop: Header=BB6_128 Depth=2
	s_and_not1_saveexec_b32 s10, s10
; %bb.1632:                             ;   in Loop: Header=BB6_128 Depth=2
	v_mov_b64_e32 v[10:11], v[54:55]
	v_bfe_u32 v5, v54, 23, 1
; %bb.1633:                             ;   in Loop: Header=BB6_128 Depth=2
	s_or_b32 exec_lo, exec_lo, s10
	s_delay_alu instid0(VALU_DEP_2) | instskip(NEXT) | instid1(VALU_DEP_2)
	v_lshrrev_b64 v[6:7], 20, v[10:11]
	v_cmp_gt_i32_e32 vcc_lo, 16, v5
	v_min_i32_e32 v8, 15, v5
	v_cmp_eq_u32_e64 s10, 0, v5
	s_delay_alu instid0(VALU_DEP_2) | instskip(SKIP_1) | instid1(VALU_DEP_2)
	v_dual_cndmask_b32 v7, 0, v7 :: v_dual_lshlrev_b32 v8, 3, v8
	v_cndmask_b32_e32 v6, 7, v6, vcc_lo
	v_and_b32_e32 v8, 0xf8, v8
	s_delay_alu instid0(VALU_DEP_2) | instskip(NEXT) | instid1(VALU_DEP_2)
	v_cmp_eq_u64_e32 vcc_lo, 0, v[6:7]
	v_and_or_b32 v5, v6, 7, v8
	s_and_b32 s10, s10, vcc_lo
	s_delay_alu instid0(VALU_DEP_1) | instid1(SALU_CYCLE_1)
	v_cndmask_b32_e64 v5, v5, 0, s10
	s_delay_alu instid0(VALU_DEP_1)
	v_or_b32_e32 v72, v5, v4
.LBB6_1634:                             ;   in Loop: Header=BB6_128 Depth=2
	s_or_b32 exec_lo, exec_lo, s42
                                        ; implicit-def: $vgpr4
.LBB6_1635:                             ;   in Loop: Header=BB6_128 Depth=2
	s_and_not1_saveexec_b32 s10, s41
; %bb.1636:                             ;   in Loop: Header=BB6_128 Depth=2
	v_or_b32_e32 v72, 0x7e, v4
; %bb.1637:                             ;   in Loop: Header=BB6_128 Depth=2
	s_or_b32 exec_lo, exec_lo, s10
                                        ; implicit-def: $vgpr4
.LBB6_1638:                             ;   in Loop: Header=BB6_128 Depth=2
	s_and_not1_saveexec_b32 s10, s40
; %bb.1639:                             ;   in Loop: Header=BB6_128 Depth=2
	v_or_b32_e32 v72, 0x7f, v4
; %bb.1640:                             ;   in Loop: Header=BB6_128 Depth=2
	s_or_b32 exec_lo, exec_lo, s10
	s_clause 0x3
	global_load_b128 v[22:25], v[114:115], off th:TH_LOAD_NT
	global_load_b128 v[18:21], v[114:115], off offset:512 th:TH_LOAD_NT
	global_load_b128 v[14:17], v[114:115], off offset:1024 th:TH_LOAD_NT
	;; [unrolled: 1-line block ×3, first 2 shown]
	v_lshl_or_b32 v1, v1, 8, v116
	v_dual_lshlrev_b32 v4, 16, v117 :: v_dual_lshlrev_b32 v5, 24, v50
	s_mov_b32 s10, exec_lo
	s_delay_alu instid0(VALU_DEP_1)
	v_or3_b32 v54, v4, v5, v1
	v_dual_mov_b32 v4, 0 :: v_dual_mov_b32 v5, 0
	s_wait_xcnt 0x0
	v_cmpx_ne_u32_e32 0, v116
	s_cbranch_execz .LBB6_1646
; %bb.1641:                             ;   in Loop: Header=BB6_128 Depth=2
	v_bfrev_b32_e32 v5, 1
	s_mov_b32 s40, exec_lo
	v_cmpx_ne_u32_e32 0x80, v116
	s_cbranch_execz .LBB6_1645
; %bb.1642:                             ;   in Loop: Header=BB6_128 Depth=2
	v_and_b32_e32 v6, 0x7f, v116
	v_mov_b32_e32 v5, 0x7f800001
	s_mov_b32 s41, exec_lo
	s_delay_alu instid0(VALU_DEP_2)
	v_cmpx_ne_u32_e32 0x7f, v6
	s_cbranch_execz .LBB6_1644
; %bb.1643:                             ;   in Loop: Header=BB6_128 Depth=2
	v_dual_lshrrev_b32 v7, 3, v6 :: v_dual_bitop2_b32 v5, 7, v116 bitop3:0x40
	v_cmp_gt_u32_e32 vcc_lo, 8, v6
	s_delay_alu instid0(VALU_DEP_2) | instskip(NEXT) | instid1(VALU_DEP_1)
	v_clz_i32_u32_e32 v5, v5
	v_min_u32_e32 v5, 32, v5
	s_delay_alu instid0(VALU_DEP_1) | instskip(NEXT) | instid1(VALU_DEP_1)
	v_subrev_nc_u32_e32 v6, 28, v5
	v_dual_cndmask_b32 v6, 0, v6 :: v_dual_sub_nc_u32 v5, 29, v5
	s_delay_alu instid0(VALU_DEP_1) | instskip(NEXT) | instid1(VALU_DEP_2)
	v_cndmask_b32_e32 v5, v7, v5, vcc_lo
	v_lshlrev_b64_e32 v[6:7], v6, v[54:55]
	v_lshlrev_b32_e32 v7, 24, v54
	s_delay_alu instid0(VALU_DEP_1) | instskip(NEXT) | instid1(VALU_DEP_3)
	v_and_b32_e32 v7, 0x80000000, v7
	v_lshlrev_b32_e32 v6, 20, v6
	v_lshl_add_u32 v5, v5, 23, 0x3c000000
	s_delay_alu instid0(VALU_DEP_2) | instskip(NEXT) | instid1(VALU_DEP_1)
	v_and_b32_e32 v6, 0x700000, v6
	v_or3_b32 v5, v6, v7, v5
.LBB6_1644:                             ;   in Loop: Header=BB6_128 Depth=2
	s_or_b32 exec_lo, exec_lo, s41
.LBB6_1645:                             ;   in Loop: Header=BB6_128 Depth=2
	s_delay_alu instid0(SALU_CYCLE_1)
	s_or_b32 exec_lo, exec_lo, s40
.LBB6_1646:                             ;   in Loop: Header=BB6_128 Depth=2
	s_delay_alu instid0(SALU_CYCLE_1) | instskip(SKIP_3) | instid1(VALU_DEP_1)
	s_or_b32 exec_lo, exec_lo, s10
	s_wait_loadcnt 0x3
	v_and_b32_e32 v6, 0xff, v22
	s_mov_b32 s10, exec_lo
	v_cmpx_ne_u16_e32 0, v6
	s_cbranch_execz .LBB6_1652
; %bb.1647:                             ;   in Loop: Header=BB6_128 Depth=2
	v_bfrev_b32_e32 v4, 1
	s_mov_b32 s40, exec_lo
	v_cmpx_ne_u16_e32 0x80, v6
	s_cbranch_execz .LBB6_1651
; %bb.1648:                             ;   in Loop: Header=BB6_128 Depth=2
	v_and_b32_e32 v6, 0x7f, v22
	v_mov_b32_e32 v4, 0x7f800001
	s_mov_b32 s41, exec_lo
	s_delay_alu instid0(VALU_DEP_2)
	v_cmpx_ne_u32_e32 0x7f, v6
	s_cbranch_execz .LBB6_1650
; %bb.1649:                             ;   in Loop: Header=BB6_128 Depth=2
	v_and_b32_e32 v4, 7, v22
	v_cmp_gt_u32_e32 vcc_lo, 8, v6
	s_delay_alu instid0(VALU_DEP_2) | instskip(NEXT) | instid1(VALU_DEP_1)
	v_clz_i32_u32_e32 v4, v4
	v_min_u32_e32 v4, 32, v4
	v_lshrrev_b32_e32 v7, 3, v6
	s_delay_alu instid0(VALU_DEP_2) | instskip(NEXT) | instid1(VALU_DEP_1)
	v_subrev_nc_u32_e32 v6, 28, v4
	v_dual_sub_nc_u32 v4, 29, v4 :: v_dual_cndmask_b32 v6, 0, v6, vcc_lo
	s_delay_alu instid0(VALU_DEP_1) | instskip(NEXT) | instid1(VALU_DEP_2)
	v_cndmask_b32_e32 v4, v7, v4, vcc_lo
	v_lshlrev_b64_e32 v[6:7], v6, v[22:23]
	v_lshlrev_b32_e32 v7, 24, v22
	s_delay_alu instid0(VALU_DEP_3) | instskip(NEXT) | instid1(VALU_DEP_2)
	v_lshl_add_u32 v4, v4, 23, 0x3c000000
	v_and_b32_e32 v7, 0x80000000, v7
	s_delay_alu instid0(VALU_DEP_4) | instskip(NEXT) | instid1(VALU_DEP_1)
	v_lshlrev_b32_e32 v6, 20, v6
	v_and_b32_e32 v6, 0x700000, v6
	s_delay_alu instid0(VALU_DEP_1)
	v_or3_b32 v4, v6, v7, v4
.LBB6_1650:                             ;   in Loop: Header=BB6_128 Depth=2
	s_or_b32 exec_lo, exec_lo, s41
.LBB6_1651:                             ;   in Loop: Header=BB6_128 Depth=2
	s_delay_alu instid0(SALU_CYCLE_1)
	s_or_b32 exec_lo, exec_lo, s40
.LBB6_1652:                             ;   in Loop: Header=BB6_128 Depth=2
	s_delay_alu instid0(SALU_CYCLE_1) | instskip(NEXT) | instid1(VALU_DEP_1)
	s_or_b32 exec_lo, exec_lo, s10
	v_dual_add_f32 v5, v5, v4 :: v_dual_mov_b32 v7, v55
                                        ; implicit-def: $vgpr46
	s_mov_b32 s10, exec_lo
	s_delay_alu instid0(VALU_DEP_1) | instskip(SKIP_1) | instid1(VALU_DEP_2)
	v_and_b32_e32 v6, 0x7f800000, v5
	v_lshrrev_b32_e32 v4, 24, v5
	v_cmpx_ne_u64_e32 0x7f800000, v[6:7]
	s_xor_b32 s40, exec_lo, s10
	s_cbranch_execz .LBB6_1666
; %bb.1653:                             ;   in Loop: Header=BB6_128 Depth=2
	v_and_b32_e32 v6, 0x7fffffff, v5
	v_mov_b32_e32 v7, v55
	v_and_b32_e32 v4, 0x80, v4
                                        ; implicit-def: $vgpr46
	s_mov_b32 s10, exec_lo
	s_delay_alu instid0(VALU_DEP_2)
	v_cmpx_gt_u64_e32 0x43e00001, v[6:7]
	s_xor_b32 s41, exec_lo, s10
	s_cbranch_execz .LBB6_1663
; %bb.1654:                             ;   in Loop: Header=BB6_128 Depth=2
	v_mov_b32_e32 v46, 0
	s_mov_b32 s42, exec_lo
	v_cmpx_ne_u32_e32 0, v5
	s_cbranch_execz .LBB6_1662
; %bb.1655:                             ;   in Loop: Header=BB6_128 Depth=2
	v_and_b32_e32 v7, 0x7fffff, v5
	v_bfe_u32 v5, v5, 23, 8
	s_mov_b32 s43, exec_lo
	v_mov_b32_e32 v9, v55
	s_delay_alu instid0(VALU_DEP_3) | instskip(NEXT) | instid1(VALU_DEP_3)
	v_or_b32_e32 v8, 0x800000, v7
	v_cmp_gt_u32_e64 s10, 0x7a, v5
	v_sub_nc_u32_e32 v6, 0x79, v5
	v_cmp_eq_u32_e32 vcc_lo, 0, v5
	s_delay_alu instid0(VALU_DEP_2) | instskip(NEXT) | instid1(VALU_DEP_1)
	v_dual_cndmask_b32 v6, 0, v6, s10 :: v_dual_cndmask_b32 v8, v8, v7, vcc_lo
	v_cndmask_b32_e64 v6, v6, 0x78, vcc_lo
	s_delay_alu instid0(VALU_DEP_1) | instskip(NEXT) | instid1(VALU_DEP_3)
	v_add_nc_u32_e32 v7, 20, v6
	v_lshrrev_b64 v[116:117], v6, v[8:9]
	s_delay_alu instid0(VALU_DEP_2) | instskip(SKIP_1) | instid1(VALU_DEP_3)
	v_lshlrev_b64_e64 v[38:39], v7, -1
	v_add_nc_u32_e32 v7, 19, v6
	v_mov_b64_e32 v[118:119], v[116:117]
	s_delay_alu instid0(VALU_DEP_2) | instskip(NEXT) | instid1(VALU_DEP_4)
	v_lshlrev_b64_e64 v[50:51], v7, 1
	v_bfi_b32 v39, v39, 0, 0
	v_bfi_b32 v38, v38, 0, v8
	s_delay_alu instid0(VALU_DEP_1)
	v_cmpx_eq_u64_e64 v[38:39], v[50:51]
; %bb.1656:                             ;   in Loop: Header=BB6_128 Depth=2
	v_bfe_u32 v8, v116, 20, 1
	v_mov_b32_e32 v9, v55
	s_delay_alu instid0(VALU_DEP_1) | instskip(NEXT) | instid1(VALU_DEP_1)
	v_add_nc_u64_e32 v[8:9], v[116:117], v[8:9]
	v_add_nc_u64_e32 v[118:119], -1, v[8:9]
; %bb.1657:                             ;   in Loop: Header=BB6_128 Depth=2
	s_or_b32 exec_lo, exec_lo, s43
	v_add_nc_u32_e32 v5, 0xffffff81, v5
	v_lshrrev_b32_e32 v7, 23, v116
	s_mov_b32 s10, exec_lo
	v_mov_b32_e32 v117, v55
	s_delay_alu instid0(VALU_DEP_3) | instskip(NEXT) | instid1(VALU_DEP_1)
	v_cndmask_b32_e64 v5, v5, 0xffffff82, vcc_lo
	v_add3_u32 v7, v6, v5, v7
	v_and_b32_e32 v5, 0xfffff, v118
	s_delay_alu instid0(VALU_DEP_1) | instskip(NEXT) | instid1(VALU_DEP_1)
	v_dual_add_nc_u32 v6, 6, v7 :: v_dual_add_nc_u32 v116, v5, v116
                                        ; implicit-def: $vgpr5
	v_cmpx_ne_u32_e32 0, v6
	s_xor_b32 s10, exec_lo, s10
; %bb.1658:                             ;   in Loop: Header=BB6_128 Depth=2
	s_delay_alu instid0(VALU_DEP_2) | instskip(SKIP_1) | instid1(VALU_DEP_1)
	v_cmp_lt_u64_e32 vcc_lo, 0xffffff, v[116:117]
	v_add_nc_u32_e32 v5, 7, v7
	v_cndmask_b32_e32 v5, v6, v5, vcc_lo
	v_cndmask_b32_e64 v6, 0, 1, vcc_lo
	s_delay_alu instid0(VALU_DEP_1)
	v_lshrrev_b64 v[116:117], v6, v[116:117]
; %bb.1659:                             ;   in Loop: Header=BB6_128 Depth=2
	s_and_not1_saveexec_b32 s10, s10
; %bb.1660:                             ;   in Loop: Header=BB6_128 Depth=2
	s_delay_alu instid0(VALU_DEP_1)
	v_bfe_u32 v5, v116, 23, 1
; %bb.1661:                             ;   in Loop: Header=BB6_128 Depth=2
	s_or_b32 exec_lo, exec_lo, s10
	s_delay_alu instid0(VALU_DEP_2) | instskip(NEXT) | instid1(VALU_DEP_2)
	v_lshrrev_b64 v[6:7], 20, v[116:117]
	v_cmp_gt_i32_e32 vcc_lo, 16, v5
	v_min_i32_e32 v8, 15, v5
	v_cmp_eq_u32_e64 s10, 0, v5
	s_delay_alu instid0(VALU_DEP_2) | instskip(SKIP_1) | instid1(VALU_DEP_2)
	v_dual_cndmask_b32 v7, 0, v7 :: v_dual_lshlrev_b32 v8, 3, v8
	v_cndmask_b32_e32 v6, 7, v6, vcc_lo
	v_and_b32_e32 v8, 0xf8, v8
	s_delay_alu instid0(VALU_DEP_2) | instskip(NEXT) | instid1(VALU_DEP_2)
	v_cmp_eq_u64_e32 vcc_lo, 0, v[6:7]
	v_and_or_b32 v5, v6, 7, v8
	s_and_b32 s10, s10, vcc_lo
	s_delay_alu instid0(VALU_DEP_1) | instid1(SALU_CYCLE_1)
	v_cndmask_b32_e64 v5, v5, 0, s10
	s_delay_alu instid0(VALU_DEP_1)
	v_or_b32_e32 v46, v5, v4
.LBB6_1662:                             ;   in Loop: Header=BB6_128 Depth=2
	s_or_b32 exec_lo, exec_lo, s42
                                        ; implicit-def: $vgpr4
.LBB6_1663:                             ;   in Loop: Header=BB6_128 Depth=2
	s_and_not1_saveexec_b32 s10, s41
; %bb.1664:                             ;   in Loop: Header=BB6_128 Depth=2
	v_or_b32_e32 v46, 0x7e, v4
; %bb.1665:                             ;   in Loop: Header=BB6_128 Depth=2
	s_or_b32 exec_lo, exec_lo, s10
                                        ; implicit-def: $vgpr4
.LBB6_1666:                             ;   in Loop: Header=BB6_128 Depth=2
	s_and_not1_saveexec_b32 s10, s40
; %bb.1667:                             ;   in Loop: Header=BB6_128 Depth=2
	v_or_b32_e32 v46, 0x7f, v4
; %bb.1668:                             ;   in Loop: Header=BB6_128 Depth=2
	s_or_b32 exec_lo, exec_lo, s10
	v_lshrrev_b16 v6, 8, v1
	v_dual_mov_b32 v4, 0 :: v_dual_mov_b32 v5, 0
	s_mov_b32 s10, exec_lo
	s_delay_alu instid0(VALU_DEP_2)
	v_cmpx_ne_u16_e32 0, v6
	s_cbranch_execz .LBB6_1676
; %bb.1669:                             ;   in Loop: Header=BB6_128 Depth=2
	v_bfrev_b32_e32 v5, 1
	s_mov_b32 s40, exec_lo
	v_cmpx_ne_u16_e32 0x80, v6
	s_cbranch_execz .LBB6_1675
; %bb.1670:                             ;   in Loop: Header=BB6_128 Depth=2
	v_and_b32_e32 v7, 0xffff, v6
	v_mov_b32_e32 v5, 0x7f800001
	s_mov_b32 s41, exec_lo
	s_delay_alu instid0(VALU_DEP_2) | instskip(NEXT) | instid1(VALU_DEP_1)
	v_and_b32_e32 v6, 0x7f, v7
	v_cmpx_ne_u32_e32 0x7f, v6
	s_cbranch_execz .LBB6_1674
; %bb.1671:                             ;   in Loop: Header=BB6_128 Depth=2
	v_dual_mov_b32 v117, v55 :: v_dual_bitop2_b32 v116, 7, v7 bitop3:0x40
	v_lshrrev_b32_e32 v5, 3, v6
	s_mov_b32 s42, exec_lo
	v_cmpx_gt_u32_e32 8, v6
; %bb.1672:                             ;   in Loop: Header=BB6_128 Depth=2
	s_delay_alu instid0(VALU_DEP_3) | instskip(NEXT) | instid1(VALU_DEP_1)
	v_clz_i32_u32_e32 v5, v116
	v_min_u32_e32 v5, 32, v5
	s_delay_alu instid0(VALU_DEP_1) | instskip(NEXT) | instid1(VALU_DEP_1)
	v_subrev_nc_u32_e32 v6, 28, v5
	v_lshlrev_b64_e32 v[6:7], v6, v[116:117]
	s_delay_alu instid0(VALU_DEP_1)
	v_dual_sub_nc_u32 v5, 29, v5 :: v_dual_bitop2_b32 v116, 7, v6 bitop3:0x40
; %bb.1673:                             ;   in Loop: Header=BB6_128 Depth=2
	s_or_b32 exec_lo, exec_lo, s42
	s_delay_alu instid0(VALU_DEP_1) | instskip(NEXT) | instid1(VALU_DEP_2)
	v_dual_lshlrev_b32 v1, 16, v1 :: v_dual_lshlrev_b32 v6, 20, v116
	v_lshl_add_u32 v5, v5, 23, 0x3c000000
	s_delay_alu instid0(VALU_DEP_2) | instskip(NEXT) | instid1(VALU_DEP_1)
	v_and_b32_e32 v1, 0x80000000, v1
	v_or3_b32 v5, v6, v1, v5
.LBB6_1674:                             ;   in Loop: Header=BB6_128 Depth=2
	s_or_b32 exec_lo, exec_lo, s41
.LBB6_1675:                             ;   in Loop: Header=BB6_128 Depth=2
	s_delay_alu instid0(SALU_CYCLE_1)
	s_or_b32 exec_lo, exec_lo, s40
.LBB6_1676:                             ;   in Loop: Header=BB6_128 Depth=2
	s_delay_alu instid0(SALU_CYCLE_1) | instskip(SKIP_2) | instid1(VALU_DEP_1)
	s_or_b32 exec_lo, exec_lo, s10
	v_lshrrev_b16 v1, 8, v22
	s_mov_b32 s10, exec_lo
	v_cmpx_ne_u16_e32 0, v1
	s_cbranch_execz .LBB6_1684
; %bb.1677:                             ;   in Loop: Header=BB6_128 Depth=2
	v_bfrev_b32_e32 v4, 1
	s_mov_b32 s40, exec_lo
	v_cmpx_ne_u16_e32 0x80, v1
	s_cbranch_execz .LBB6_1683
; %bb.1678:                             ;   in Loop: Header=BB6_128 Depth=2
	v_and_b32_e32 v1, 0xffff, v1
	v_mov_b32_e32 v4, 0x7f800001
	s_mov_b32 s41, exec_lo
	s_delay_alu instid0(VALU_DEP_2) | instskip(NEXT) | instid1(VALU_DEP_1)
	v_and_b32_e32 v6, 0x7f, v1
	v_cmpx_ne_u32_e32 0x7f, v6
	s_cbranch_execz .LBB6_1682
; %bb.1679:                             ;   in Loop: Header=BB6_128 Depth=2
	v_dual_mov_b32 v117, v55 :: v_dual_bitop2_b32 v116, 7, v1 bitop3:0x40
	v_lshrrev_b32_e32 v1, 3, v6
	s_mov_b32 s42, exec_lo
	v_cmpx_gt_u32_e32 8, v6
; %bb.1680:                             ;   in Loop: Header=BB6_128 Depth=2
	s_delay_alu instid0(VALU_DEP_3) | instskip(NEXT) | instid1(VALU_DEP_1)
	v_clz_i32_u32_e32 v1, v116
	v_min_u32_e32 v1, 32, v1
	s_delay_alu instid0(VALU_DEP_1) | instskip(NEXT) | instid1(VALU_DEP_1)
	v_subrev_nc_u32_e32 v4, 28, v1
	v_lshlrev_b64_e32 v[6:7], v4, v[116:117]
	s_delay_alu instid0(VALU_DEP_1)
	v_dual_sub_nc_u32 v1, 29, v1 :: v_dual_bitop2_b32 v116, 7, v6 bitop3:0x40
; %bb.1681:                             ;   in Loop: Header=BB6_128 Depth=2
	s_or_b32 exec_lo, exec_lo, s42
	s_delay_alu instid0(VALU_DEP_1) | instskip(NEXT) | instid1(VALU_DEP_2)
	v_dual_lshlrev_b32 v4, 16, v22 :: v_dual_lshlrev_b32 v6, 20, v116
	v_lshl_add_u32 v1, v1, 23, 0x3c000000
	s_delay_alu instid0(VALU_DEP_2) | instskip(NEXT) | instid1(VALU_DEP_1)
	v_and_b32_e32 v4, 0x80000000, v4
	v_or3_b32 v4, v6, v4, v1
.LBB6_1682:                             ;   in Loop: Header=BB6_128 Depth=2
	s_or_b32 exec_lo, exec_lo, s41
.LBB6_1683:                             ;   in Loop: Header=BB6_128 Depth=2
	s_delay_alu instid0(SALU_CYCLE_1)
	s_or_b32 exec_lo, exec_lo, s40
.LBB6_1684:                             ;   in Loop: Header=BB6_128 Depth=2
	s_delay_alu instid0(SALU_CYCLE_1) | instskip(NEXT) | instid1(VALU_DEP_1)
	s_or_b32 exec_lo, exec_lo, s10
	v_dual_add_f32 v4, v5, v4 :: v_dual_mov_b32 v7, v55
                                        ; implicit-def: $vgpr56
	s_mov_b32 s10, exec_lo
	s_delay_alu instid0(VALU_DEP_1) | instskip(SKIP_1) | instid1(VALU_DEP_2)
	v_and_b32_e32 v6, 0x7f800000, v4
	v_lshrrev_b32_e32 v1, 24, v4
	v_cmpx_ne_u64_e32 0x7f800000, v[6:7]
	s_xor_b32 s40, exec_lo, s10
	s_cbranch_execz .LBB6_1698
; %bb.1685:                             ;   in Loop: Header=BB6_128 Depth=2
	v_and_b32_e32 v6, 0x7fffffff, v4
	v_mov_b32_e32 v7, v55
	v_and_b32_e32 v1, 0x80, v1
                                        ; implicit-def: $vgpr56
	s_mov_b32 s10, exec_lo
	s_delay_alu instid0(VALU_DEP_2)
	v_cmpx_gt_u64_e32 0x43e00001, v[6:7]
	s_xor_b32 s41, exec_lo, s10
	s_cbranch_execz .LBB6_1695
; %bb.1686:                             ;   in Loop: Header=BB6_128 Depth=2
	v_mov_b32_e32 v56, 0
	s_mov_b32 s42, exec_lo
	v_cmpx_ne_u32_e32 0, v4
	s_cbranch_execz .LBB6_1694
; %bb.1687:                             ;   in Loop: Header=BB6_128 Depth=2
	v_and_b32_e32 v6, 0x7fffff, v4
	v_bfe_u32 v4, v4, 23, 8
	s_mov_b32 s43, exec_lo
	s_delay_alu instid0(VALU_DEP_2) | instskip(NEXT) | instid1(VALU_DEP_2)
	v_or_b32_e32 v7, 0x800000, v6
	v_cmp_eq_u32_e32 vcc_lo, 0, v4
	v_cmp_gt_u32_e64 s10, 0x7a, v4
	s_delay_alu instid0(VALU_DEP_3) | instskip(NEXT) | instid1(VALU_DEP_1)
	v_dual_cndmask_b32 v6, v7, v6 :: v_dual_sub_nc_u32 v5, 0x79, v4
	v_dual_mov_b32 v7, v55 :: v_dual_cndmask_b32 v5, 0, v5, s10
	s_delay_alu instid0(VALU_DEP_1) | instskip(NEXT) | instid1(VALU_DEP_1)
	v_cndmask_b32_e64 v5, v5, 0x78, vcc_lo
	v_dual_add_nc_u32 v8, 20, v5 :: v_dual_add_nc_u32 v30, 19, v5
	s_delay_alu instid0(VALU_DEP_3) | instskip(NEXT) | instid1(VALU_DEP_2)
	v_lshrrev_b64 v[116:117], v5, v[6:7]
	v_lshlrev_b64_e64 v[8:9], v8, -1
	s_delay_alu instid0(VALU_DEP_3) | instskip(NEXT) | instid1(VALU_DEP_3)
	v_lshlrev_b64_e64 v[38:39], v30, 1
	v_mov_b64_e32 v[118:119], v[116:117]
	s_delay_alu instid0(VALU_DEP_3) | instskip(NEXT) | instid1(VALU_DEP_4)
	v_bfi_b32 v9, v9, 0, 0
	v_bfi_b32 v8, v8, 0, v6
	s_delay_alu instid0(VALU_DEP_1)
	v_cmpx_eq_u64_e64 v[8:9], v[38:39]
; %bb.1688:                             ;   in Loop: Header=BB6_128 Depth=2
	v_bfe_u32 v6, v116, 20, 1
	v_mov_b32_e32 v7, v55
	s_delay_alu instid0(VALU_DEP_1) | instskip(NEXT) | instid1(VALU_DEP_1)
	v_add_nc_u64_e32 v[6:7], v[116:117], v[6:7]
	v_add_nc_u64_e32 v[118:119], -1, v[6:7]
; %bb.1689:                             ;   in Loop: Header=BB6_128 Depth=2
	s_or_b32 exec_lo, exec_lo, s43
	v_dual_mov_b32 v117, v55 :: v_dual_add_nc_u32 v4, 0xffffff81, v4
	v_lshrrev_b32_e32 v6, 23, v116
	s_mov_b32 s10, exec_lo
	s_delay_alu instid0(VALU_DEP_2) | instskip(NEXT) | instid1(VALU_DEP_1)
	v_cndmask_b32_e64 v4, v4, 0xffffff82, vcc_lo
	v_add3_u32 v6, v5, v4, v6
	v_and_b32_e32 v4, 0xfffff, v118
	s_delay_alu instid0(VALU_DEP_1) | instskip(NEXT) | instid1(VALU_DEP_1)
	v_dual_add_nc_u32 v5, 6, v6 :: v_dual_add_nc_u32 v116, v4, v116
                                        ; implicit-def: $vgpr4
	v_cmpx_ne_u32_e32 0, v5
	s_xor_b32 s10, exec_lo, s10
; %bb.1690:                             ;   in Loop: Header=BB6_128 Depth=2
	s_delay_alu instid0(VALU_DEP_2) | instskip(SKIP_1) | instid1(VALU_DEP_1)
	v_cmp_lt_u64_e32 vcc_lo, 0xffffff, v[116:117]
	v_add_nc_u32_e32 v4, 7, v6
	v_cndmask_b32_e32 v4, v5, v4, vcc_lo
	v_cndmask_b32_e64 v5, 0, 1, vcc_lo
	s_delay_alu instid0(VALU_DEP_1)
	v_lshrrev_b64 v[116:117], v5, v[116:117]
; %bb.1691:                             ;   in Loop: Header=BB6_128 Depth=2
	s_and_not1_saveexec_b32 s10, s10
; %bb.1692:                             ;   in Loop: Header=BB6_128 Depth=2
	s_delay_alu instid0(VALU_DEP_1)
	v_bfe_u32 v4, v116, 23, 1
; %bb.1693:                             ;   in Loop: Header=BB6_128 Depth=2
	s_or_b32 exec_lo, exec_lo, s10
	s_delay_alu instid0(VALU_DEP_2) | instskip(NEXT) | instid1(VALU_DEP_2)
	v_lshrrev_b64 v[6:7], 20, v[116:117]
	v_cmp_gt_i32_e32 vcc_lo, 16, v4
	v_min_i32_e32 v5, 15, v4
	v_cmp_eq_u32_e64 s10, 0, v4
	s_delay_alu instid0(VALU_DEP_2) | instskip(SKIP_1) | instid1(VALU_DEP_2)
	v_dual_cndmask_b32 v7, 0, v7, vcc_lo :: v_dual_lshlrev_b32 v5, 3, v5
	v_cndmask_b32_e32 v6, 7, v6, vcc_lo
	v_and_b32_e32 v5, 0xf8, v5
	s_delay_alu instid0(VALU_DEP_2) | instskip(NEXT) | instid1(VALU_DEP_2)
	v_cmp_eq_u64_e32 vcc_lo, 0, v[6:7]
	v_and_or_b32 v4, v6, 7, v5
	s_and_b32 s10, s10, vcc_lo
	s_delay_alu instid0(VALU_DEP_1) | instid1(SALU_CYCLE_1)
	v_cndmask_b32_e64 v4, v4, 0, s10
	s_delay_alu instid0(VALU_DEP_1)
	v_or_b32_e32 v56, v4, v1
.LBB6_1694:                             ;   in Loop: Header=BB6_128 Depth=2
	s_or_b32 exec_lo, exec_lo, s42
                                        ; implicit-def: $vgpr1
.LBB6_1695:                             ;   in Loop: Header=BB6_128 Depth=2
	s_and_not1_saveexec_b32 s10, s41
; %bb.1696:                             ;   in Loop: Header=BB6_128 Depth=2
	v_or_b32_e32 v56, 0x7e, v1
; %bb.1697:                             ;   in Loop: Header=BB6_128 Depth=2
	s_or_b32 exec_lo, exec_lo, s10
                                        ; implicit-def: $vgpr1
.LBB6_1698:                             ;   in Loop: Header=BB6_128 Depth=2
	s_and_not1_saveexec_b32 s10, s40
; %bb.1699:                             ;   in Loop: Header=BB6_128 Depth=2
	v_or_b32_e32 v56, 0x7f, v1
; %bb.1700:                             ;   in Loop: Header=BB6_128 Depth=2
	s_or_b32 exec_lo, exec_lo, s10
	v_dual_lshrrev_b32 v5, 16, v54 :: v_dual_mov_b32 v1, 0
	v_mov_b32_e32 v4, 0
	s_mov_b32 s10, exec_lo
	s_delay_alu instid0(VALU_DEP_2) | instskip(NEXT) | instid1(VALU_DEP_1)
	v_and_b32_e32 v6, 0xff, v5
	v_cmpx_ne_u16_e32 0, v6
	s_cbranch_execz .LBB6_1708
; %bb.1701:                             ;   in Loop: Header=BB6_128 Depth=2
	v_bfrev_b32_e32 v4, 1
	s_mov_b32 s40, exec_lo
	v_cmpx_ne_u16_e32 0x80, v6
	s_cbranch_execz .LBB6_1707
; %bb.1702:                             ;   in Loop: Header=BB6_128 Depth=2
	v_bfe_u32 v6, v54, 16, 7
	v_mov_b32_e32 v4, 0x7f800001
	s_mov_b32 s41, exec_lo
	s_delay_alu instid0(VALU_DEP_2)
	v_cmpx_ne_u32_e32 0x7f, v6
	s_cbranch_execz .LBB6_1706
; %bb.1703:                             ;   in Loop: Header=BB6_128 Depth=2
	v_dual_mov_b32 v117, v55 :: v_dual_bitop2_b32 v116, 7, v5 bitop3:0x40
	v_lshrrev_b32_e32 v4, 3, v6
	s_mov_b32 s42, exec_lo
	v_cmpx_gt_u32_e32 8, v6
; %bb.1704:                             ;   in Loop: Header=BB6_128 Depth=2
	s_delay_alu instid0(VALU_DEP_3) | instskip(NEXT) | instid1(VALU_DEP_1)
	v_clz_i32_u32_e32 v4, v116
	v_min_u32_e32 v4, 32, v4
	s_delay_alu instid0(VALU_DEP_1) | instskip(NEXT) | instid1(VALU_DEP_1)
	v_subrev_nc_u32_e32 v6, 28, v4
	v_lshlrev_b64_e32 v[6:7], v6, v[116:117]
	s_delay_alu instid0(VALU_DEP_1)
	v_dual_sub_nc_u32 v4, 29, v4 :: v_dual_bitop2_b32 v116, 7, v6 bitop3:0x40
; %bb.1705:                             ;   in Loop: Header=BB6_128 Depth=2
	s_or_b32 exec_lo, exec_lo, s42
	s_delay_alu instid0(VALU_DEP_1) | instskip(NEXT) | instid1(VALU_DEP_2)
	v_dual_lshlrev_b32 v5, 24, v5 :: v_dual_lshlrev_b32 v6, 20, v116
	v_lshl_add_u32 v4, v4, 23, 0x3c000000
	s_delay_alu instid0(VALU_DEP_2) | instskip(NEXT) | instid1(VALU_DEP_1)
	v_and_b32_e32 v5, 0x80000000, v5
	v_or3_b32 v4, v6, v5, v4
.LBB6_1706:                             ;   in Loop: Header=BB6_128 Depth=2
	s_or_b32 exec_lo, exec_lo, s41
.LBB6_1707:                             ;   in Loop: Header=BB6_128 Depth=2
	s_delay_alu instid0(SALU_CYCLE_1)
	s_or_b32 exec_lo, exec_lo, s40
.LBB6_1708:                             ;   in Loop: Header=BB6_128 Depth=2
	s_delay_alu instid0(SALU_CYCLE_1) | instskip(SKIP_2) | instid1(VALU_DEP_1)
	s_or_b32 exec_lo, exec_lo, s10
	v_lshrrev_b32_e32 v5, 16, v22
	s_mov_b32 s10, exec_lo
	v_and_b32_e32 v6, 0xff, v5
	s_delay_alu instid0(VALU_DEP_1)
	v_cmpx_ne_u16_e32 0, v6
	s_cbranch_execz .LBB6_1716
; %bb.1709:                             ;   in Loop: Header=BB6_128 Depth=2
	v_bfrev_b32_e32 v1, 1
	s_mov_b32 s40, exec_lo
	v_cmpx_ne_u16_e32 0x80, v6
	s_cbranch_execz .LBB6_1715
; %bb.1710:                             ;   in Loop: Header=BB6_128 Depth=2
	v_bfe_u32 v6, v22, 16, 7
	v_mov_b32_e32 v1, 0x7f800001
	s_mov_b32 s41, exec_lo
	s_delay_alu instid0(VALU_DEP_2)
	v_cmpx_ne_u32_e32 0x7f, v6
	s_cbranch_execz .LBB6_1714
; %bb.1711:                             ;   in Loop: Header=BB6_128 Depth=2
	v_dual_mov_b32 v117, v55 :: v_dual_bitop2_b32 v116, 7, v5 bitop3:0x40
	v_lshrrev_b32_e32 v1, 3, v6
	s_mov_b32 s42, exec_lo
	v_cmpx_gt_u32_e32 8, v6
; %bb.1712:                             ;   in Loop: Header=BB6_128 Depth=2
	s_delay_alu instid0(VALU_DEP_3) | instskip(NEXT) | instid1(VALU_DEP_1)
	v_clz_i32_u32_e32 v1, v116
	v_min_u32_e32 v1, 32, v1
	s_delay_alu instid0(VALU_DEP_1) | instskip(NEXT) | instid1(VALU_DEP_1)
	v_subrev_nc_u32_e32 v5, 28, v1
	v_lshlrev_b64_e32 v[6:7], v5, v[116:117]
	s_delay_alu instid0(VALU_DEP_1)
	v_dual_sub_nc_u32 v1, 29, v1 :: v_dual_bitop2_b32 v116, 7, v6 bitop3:0x40
; %bb.1713:                             ;   in Loop: Header=BB6_128 Depth=2
	s_or_b32 exec_lo, exec_lo, s42
	s_delay_alu instid0(VALU_DEP_1) | instskip(NEXT) | instid1(VALU_DEP_2)
	v_dual_lshlrev_b32 v5, 8, v22 :: v_dual_lshlrev_b32 v6, 20, v116
	v_lshl_add_u32 v1, v1, 23, 0x3c000000
	s_delay_alu instid0(VALU_DEP_2) | instskip(NEXT) | instid1(VALU_DEP_1)
	v_and_b32_e32 v5, 0x80000000, v5
	v_or3_b32 v1, v6, v5, v1
.LBB6_1714:                             ;   in Loop: Header=BB6_128 Depth=2
	s_or_b32 exec_lo, exec_lo, s41
.LBB6_1715:                             ;   in Loop: Header=BB6_128 Depth=2
	s_delay_alu instid0(SALU_CYCLE_1)
	s_or_b32 exec_lo, exec_lo, s40
.LBB6_1716:                             ;   in Loop: Header=BB6_128 Depth=2
	s_delay_alu instid0(SALU_CYCLE_1) | instskip(NEXT) | instid1(VALU_DEP_1)
	s_or_b32 exec_lo, exec_lo, s10
	v_dual_add_f32 v4, v4, v1 :: v_dual_mov_b32 v7, v55
                                        ; implicit-def: $vgpr59
	s_mov_b32 s10, exec_lo
	s_delay_alu instid0(VALU_DEP_1) | instskip(SKIP_1) | instid1(VALU_DEP_2)
	v_and_b32_e32 v6, 0x7f800000, v4
	v_lshrrev_b32_e32 v1, 24, v4
	v_cmpx_ne_u64_e32 0x7f800000, v[6:7]
	s_xor_b32 s40, exec_lo, s10
	s_cbranch_execz .LBB6_1730
; %bb.1717:                             ;   in Loop: Header=BB6_128 Depth=2
	v_and_b32_e32 v6, 0x7fffffff, v4
	v_mov_b32_e32 v7, v55
	v_and_b32_e32 v1, 0x80, v1
                                        ; implicit-def: $vgpr59
	s_mov_b32 s10, exec_lo
	s_delay_alu instid0(VALU_DEP_2)
	v_cmpx_gt_u64_e32 0x43e00001, v[6:7]
	s_xor_b32 s41, exec_lo, s10
	s_cbranch_execz .LBB6_1727
; %bb.1718:                             ;   in Loop: Header=BB6_128 Depth=2
	v_mov_b32_e32 v59, 0
	s_mov_b32 s42, exec_lo
	v_cmpx_ne_u32_e32 0, v4
	s_cbranch_execz .LBB6_1726
; %bb.1719:                             ;   in Loop: Header=BB6_128 Depth=2
	v_and_b32_e32 v6, 0x7fffff, v4
	v_bfe_u32 v4, v4, 23, 8
	s_mov_b32 s43, exec_lo
	s_delay_alu instid0(VALU_DEP_2) | instskip(NEXT) | instid1(VALU_DEP_2)
	v_or_b32_e32 v7, 0x800000, v6
	v_cmp_eq_u32_e32 vcc_lo, 0, v4
	v_cmp_gt_u32_e64 s10, 0x7a, v4
	s_delay_alu instid0(VALU_DEP_3) | instskip(NEXT) | instid1(VALU_DEP_1)
	v_dual_cndmask_b32 v6, v7, v6 :: v_dual_sub_nc_u32 v5, 0x79, v4
	v_dual_mov_b32 v7, v55 :: v_dual_cndmask_b32 v5, 0, v5, s10
	s_delay_alu instid0(VALU_DEP_1) | instskip(NEXT) | instid1(VALU_DEP_1)
	v_cndmask_b32_e64 v5, v5, 0x78, vcc_lo
	v_dual_add_nc_u32 v8, 20, v5 :: v_dual_add_nc_u32 v30, 19, v5
	s_delay_alu instid0(VALU_DEP_3) | instskip(NEXT) | instid1(VALU_DEP_2)
	v_lshrrev_b64 v[116:117], v5, v[6:7]
	v_lshlrev_b64_e64 v[8:9], v8, -1
	s_delay_alu instid0(VALU_DEP_3) | instskip(NEXT) | instid1(VALU_DEP_3)
	v_lshlrev_b64_e64 v[38:39], v30, 1
	v_mov_b64_e32 v[118:119], v[116:117]
	s_delay_alu instid0(VALU_DEP_3) | instskip(NEXT) | instid1(VALU_DEP_4)
	v_bfi_b32 v9, v9, 0, 0
	v_bfi_b32 v8, v8, 0, v6
	s_delay_alu instid0(VALU_DEP_1)
	v_cmpx_eq_u64_e64 v[8:9], v[38:39]
; %bb.1720:                             ;   in Loop: Header=BB6_128 Depth=2
	v_bfe_u32 v6, v116, 20, 1
	v_mov_b32_e32 v7, v55
	s_delay_alu instid0(VALU_DEP_1) | instskip(NEXT) | instid1(VALU_DEP_1)
	v_add_nc_u64_e32 v[6:7], v[116:117], v[6:7]
	v_add_nc_u64_e32 v[118:119], -1, v[6:7]
; %bb.1721:                             ;   in Loop: Header=BB6_128 Depth=2
	s_or_b32 exec_lo, exec_lo, s43
	v_dual_mov_b32 v117, v55 :: v_dual_add_nc_u32 v4, 0xffffff81, v4
	v_lshrrev_b32_e32 v6, 23, v116
	s_mov_b32 s10, exec_lo
	s_delay_alu instid0(VALU_DEP_2) | instskip(NEXT) | instid1(VALU_DEP_1)
	v_cndmask_b32_e64 v4, v4, 0xffffff82, vcc_lo
	v_add3_u32 v6, v5, v4, v6
	v_and_b32_e32 v4, 0xfffff, v118
	s_delay_alu instid0(VALU_DEP_1) | instskip(NEXT) | instid1(VALU_DEP_1)
	v_dual_add_nc_u32 v5, 6, v6 :: v_dual_add_nc_u32 v116, v4, v116
                                        ; implicit-def: $vgpr4
	v_cmpx_ne_u32_e32 0, v5
	s_xor_b32 s10, exec_lo, s10
; %bb.1722:                             ;   in Loop: Header=BB6_128 Depth=2
	s_delay_alu instid0(VALU_DEP_2) | instskip(SKIP_1) | instid1(VALU_DEP_1)
	v_cmp_lt_u64_e32 vcc_lo, 0xffffff, v[116:117]
	v_add_nc_u32_e32 v4, 7, v6
	v_cndmask_b32_e32 v4, v5, v4, vcc_lo
	v_cndmask_b32_e64 v5, 0, 1, vcc_lo
	s_delay_alu instid0(VALU_DEP_1)
	v_lshrrev_b64 v[116:117], v5, v[116:117]
; %bb.1723:                             ;   in Loop: Header=BB6_128 Depth=2
	s_and_not1_saveexec_b32 s10, s10
; %bb.1724:                             ;   in Loop: Header=BB6_128 Depth=2
	s_delay_alu instid0(VALU_DEP_1)
	v_bfe_u32 v4, v116, 23, 1
; %bb.1725:                             ;   in Loop: Header=BB6_128 Depth=2
	s_or_b32 exec_lo, exec_lo, s10
	s_delay_alu instid0(VALU_DEP_2) | instskip(NEXT) | instid1(VALU_DEP_2)
	v_lshrrev_b64 v[6:7], 20, v[116:117]
	v_cmp_gt_i32_e32 vcc_lo, 16, v4
	v_min_i32_e32 v5, 15, v4
	v_cmp_eq_u32_e64 s10, 0, v4
	s_delay_alu instid0(VALU_DEP_2) | instskip(SKIP_1) | instid1(VALU_DEP_2)
	v_dual_cndmask_b32 v7, 0, v7, vcc_lo :: v_dual_lshlrev_b32 v5, 3, v5
	v_cndmask_b32_e32 v6, 7, v6, vcc_lo
	v_and_b32_e32 v5, 0xf8, v5
	s_delay_alu instid0(VALU_DEP_2) | instskip(NEXT) | instid1(VALU_DEP_2)
	v_cmp_eq_u64_e32 vcc_lo, 0, v[6:7]
	v_and_or_b32 v4, v6, 7, v5
	s_and_b32 s10, s10, vcc_lo
	s_delay_alu instid0(VALU_DEP_1) | instid1(SALU_CYCLE_1)
	v_cndmask_b32_e64 v4, v4, 0, s10
	s_delay_alu instid0(VALU_DEP_1)
	v_or_b32_e32 v59, v4, v1
.LBB6_1726:                             ;   in Loop: Header=BB6_128 Depth=2
	s_or_b32 exec_lo, exec_lo, s42
                                        ; implicit-def: $vgpr1
.LBB6_1727:                             ;   in Loop: Header=BB6_128 Depth=2
	s_and_not1_saveexec_b32 s10, s41
; %bb.1728:                             ;   in Loop: Header=BB6_128 Depth=2
	v_or_b32_e32 v59, 0x7e, v1
; %bb.1729:                             ;   in Loop: Header=BB6_128 Depth=2
	s_or_b32 exec_lo, exec_lo, s10
                                        ; implicit-def: $vgpr1
.LBB6_1730:                             ;   in Loop: Header=BB6_128 Depth=2
	s_and_not1_saveexec_b32 s10, s40
; %bb.1731:                             ;   in Loop: Header=BB6_128 Depth=2
	v_or_b32_e32 v59, 0x7f, v1
; %bb.1732:                             ;   in Loop: Header=BB6_128 Depth=2
	s_or_b32 exec_lo, exec_lo, s10
	v_dual_mov_b32 v1, 0 :: v_dual_mov_b32 v4, 0
	s_mov_b32 s10, exec_lo
	v_cmpx_lt_u32_e32 0xffffff, v54
	s_cbranch_execz .LBB6_1740
; %bb.1733:                             ;   in Loop: Header=BB6_128 Depth=2
	v_lshrrev_b32_e32 v5, 24, v54
	v_bfrev_b32_e32 v4, 1
	s_mov_b32 s40, exec_lo
	s_delay_alu instid0(VALU_DEP_2)
	v_cmpx_ne_u32_e32 0x80, v5
	s_cbranch_execz .LBB6_1739
; %bb.1734:                             ;   in Loop: Header=BB6_128 Depth=2
	v_bfe_u32 v6, v54, 24, 7
	v_mov_b32_e32 v4, 0x7f800001
	s_mov_b32 s41, exec_lo
	s_delay_alu instid0(VALU_DEP_2)
	v_cmpx_ne_u32_e32 0x7f, v6
	s_cbranch_execz .LBB6_1738
; %bb.1735:                             ;   in Loop: Header=BB6_128 Depth=2
	v_dual_lshrrev_b32 v4, 3, v6 :: v_dual_bitop2_b32 v54, 7, v5 bitop3:0x40
	s_mov_b32 s42, exec_lo
	s_delay_alu instid0(VALU_DEP_1)
	v_mov_b64_e32 v[116:117], v[54:55]
	v_cmpx_gt_u32_e32 8, v6
; %bb.1736:                             ;   in Loop: Header=BB6_128 Depth=2
	v_clz_i32_u32_e32 v4, v54
	s_delay_alu instid0(VALU_DEP_1) | instskip(NEXT) | instid1(VALU_DEP_1)
	v_min_u32_e32 v4, 32, v4
	v_subrev_nc_u32_e32 v6, 28, v4
	s_delay_alu instid0(VALU_DEP_1) | instskip(NEXT) | instid1(VALU_DEP_1)
	v_lshlrev_b64_e32 v[6:7], v6, v[54:55]
	v_dual_sub_nc_u32 v4, 29, v4 :: v_dual_bitop2_b32 v116, 7, v6 bitop3:0x40
; %bb.1737:                             ;   in Loop: Header=BB6_128 Depth=2
	s_or_b32 exec_lo, exec_lo, s42
	s_delay_alu instid0(VALU_DEP_1) | instskip(NEXT) | instid1(VALU_DEP_2)
	v_dual_lshlrev_b32 v5, 24, v5 :: v_dual_lshlrev_b32 v6, 20, v116
	v_lshl_add_u32 v4, v4, 23, 0x3c000000
	s_delay_alu instid0(VALU_DEP_2) | instskip(NEXT) | instid1(VALU_DEP_1)
	v_and_b32_e32 v5, 0x80000000, v5
	v_or3_b32 v4, v6, v5, v4
.LBB6_1738:                             ;   in Loop: Header=BB6_128 Depth=2
	s_or_b32 exec_lo, exec_lo, s41
.LBB6_1739:                             ;   in Loop: Header=BB6_128 Depth=2
	s_delay_alu instid0(SALU_CYCLE_1)
	s_or_b32 exec_lo, exec_lo, s40
.LBB6_1740:                             ;   in Loop: Header=BB6_128 Depth=2
	s_delay_alu instid0(SALU_CYCLE_1) | instskip(NEXT) | instid1(SALU_CYCLE_1)
	s_or_b32 exec_lo, exec_lo, s10
	s_mov_b32 s10, exec_lo
	v_cmpx_lt_u32_e32 0xffffff, v22
	s_cbranch_execz .LBB6_1748
; %bb.1741:                             ;   in Loop: Header=BB6_128 Depth=2
	v_lshrrev_b32_e32 v5, 24, v22
	v_bfrev_b32_e32 v1, 1
	s_mov_b32 s40, exec_lo
	s_delay_alu instid0(VALU_DEP_2)
	v_cmpx_ne_u32_e32 0x80, v5
	s_cbranch_execz .LBB6_1747
; %bb.1742:                             ;   in Loop: Header=BB6_128 Depth=2
	v_bfe_u32 v6, v22, 24, 7
	v_mov_b32_e32 v1, 0x7f800001
	s_mov_b32 s41, exec_lo
	s_delay_alu instid0(VALU_DEP_2)
	v_cmpx_ne_u32_e32 0x7f, v6
	s_cbranch_execz .LBB6_1746
; %bb.1743:                             ;   in Loop: Header=BB6_128 Depth=2
	v_dual_lshrrev_b32 v1, 3, v6 :: v_dual_bitop2_b32 v54, 7, v5 bitop3:0x40
	s_mov_b32 s42, exec_lo
	s_delay_alu instid0(VALU_DEP_1)
	v_mov_b64_e32 v[116:117], v[54:55]
	v_cmpx_gt_u32_e32 8, v6
; %bb.1744:                             ;   in Loop: Header=BB6_128 Depth=2
	v_clz_i32_u32_e32 v1, v54
	s_delay_alu instid0(VALU_DEP_1) | instskip(NEXT) | instid1(VALU_DEP_1)
	v_min_u32_e32 v1, 32, v1
	v_subrev_nc_u32_e32 v6, 28, v1
	s_delay_alu instid0(VALU_DEP_1) | instskip(NEXT) | instid1(VALU_DEP_1)
	v_lshlrev_b64_e32 v[6:7], v6, v[54:55]
	v_dual_sub_nc_u32 v1, 29, v1 :: v_dual_bitop2_b32 v116, 7, v6 bitop3:0x40
; %bb.1745:                             ;   in Loop: Header=BB6_128 Depth=2
	s_or_b32 exec_lo, exec_lo, s42
	s_delay_alu instid0(VALU_DEP_1) | instskip(NEXT) | instid1(VALU_DEP_2)
	v_dual_lshlrev_b32 v5, 24, v5 :: v_dual_lshlrev_b32 v6, 20, v116
	v_lshl_add_u32 v1, v1, 23, 0x3c000000
	s_delay_alu instid0(VALU_DEP_2) | instskip(NEXT) | instid1(VALU_DEP_1)
	v_and_b32_e32 v5, 0x80000000, v5
	v_or3_b32 v1, v6, v5, v1
.LBB6_1746:                             ;   in Loop: Header=BB6_128 Depth=2
	s_or_b32 exec_lo, exec_lo, s41
.LBB6_1747:                             ;   in Loop: Header=BB6_128 Depth=2
	s_delay_alu instid0(SALU_CYCLE_1)
	s_or_b32 exec_lo, exec_lo, s40
.LBB6_1748:                             ;   in Loop: Header=BB6_128 Depth=2
	s_delay_alu instid0(SALU_CYCLE_1) | instskip(NEXT) | instid1(VALU_DEP_1)
	s_or_b32 exec_lo, exec_lo, s10
	v_add_f32_e32 v4, v4, v1
                                        ; implicit-def: $vgpr63
	s_mov_b32 s10, exec_lo
	s_delay_alu instid0(VALU_DEP_1) | instskip(SKIP_1) | instid1(VALU_DEP_2)
	v_and_b32_e32 v54, 0x7f800000, v4
	v_lshrrev_b32_e32 v1, 24, v4
	v_cmpx_ne_u64_e32 0x7f800000, v[54:55]
	s_xor_b32 s40, exec_lo, s10
	s_cbranch_execz .LBB6_1762
; %bb.1749:                             ;   in Loop: Header=BB6_128 Depth=2
	v_and_b32_e32 v54, 0x7fffffff, v4
	v_and_b32_e32 v1, 0x80, v1
                                        ; implicit-def: $vgpr63
	s_mov_b32 s10, exec_lo
	s_delay_alu instid0(VALU_DEP_2)
	v_cmpx_gt_u64_e32 0x43e00001, v[54:55]
	s_xor_b32 s41, exec_lo, s10
	s_cbranch_execz .LBB6_1759
; %bb.1750:                             ;   in Loop: Header=BB6_128 Depth=2
	v_mov_b32_e32 v63, 0
	s_mov_b32 s42, exec_lo
	v_cmpx_ne_u32_e32 0, v4
	s_cbranch_execz .LBB6_1758
; %bb.1751:                             ;   in Loop: Header=BB6_128 Depth=2
	v_and_b32_e32 v6, 0x7fffff, v4
	v_bfe_u32 v4, v4, 23, 8
	s_mov_b32 s43, exec_lo
	s_delay_alu instid0(VALU_DEP_2) | instskip(NEXT) | instid1(VALU_DEP_2)
	v_or_b32_e32 v7, 0x800000, v6
	v_cmp_eq_u32_e32 vcc_lo, 0, v4
	v_cmp_gt_u32_e64 s10, 0x7a, v4
	s_delay_alu instid0(VALU_DEP_3) | instskip(NEXT) | instid1(VALU_DEP_1)
	v_dual_cndmask_b32 v54, v7, v6 :: v_dual_sub_nc_u32 v5, 0x79, v4
	v_cndmask_b32_e64 v5, 0, v5, s10
	s_delay_alu instid0(VALU_DEP_1) | instskip(NEXT) | instid1(VALU_DEP_1)
	v_cndmask_b32_e64 v5, v5, 0x78, vcc_lo
	v_dual_add_nc_u32 v6, 20, v5 :: v_dual_add_nc_u32 v8, 19, v5
	s_delay_alu instid0(VALU_DEP_4) | instskip(NEXT) | instid1(VALU_DEP_2)
	v_lshrrev_b64 v[116:117], v5, v[54:55]
	v_lshlrev_b64_e64 v[6:7], v6, -1
	s_delay_alu instid0(VALU_DEP_3) | instskip(NEXT) | instid1(VALU_DEP_3)
	v_lshlrev_b64_e64 v[8:9], v8, 1
	v_mov_b64_e32 v[118:119], v[116:117]
	s_delay_alu instid0(VALU_DEP_3) | instskip(NEXT) | instid1(VALU_DEP_4)
	v_bfi_b32 v7, v7, 0, 0
	v_bfi_b32 v6, v6, 0, v54
	s_delay_alu instid0(VALU_DEP_1)
	v_cmpx_eq_u64_e64 v[6:7], v[8:9]
; %bb.1752:                             ;   in Loop: Header=BB6_128 Depth=2
	v_bfe_u32 v54, v116, 20, 1
	s_delay_alu instid0(VALU_DEP_1) | instskip(NEXT) | instid1(VALU_DEP_1)
	v_add_nc_u64_e32 v[6:7], v[116:117], v[54:55]
	v_add_nc_u64_e32 v[118:119], -1, v[6:7]
; %bb.1753:                             ;   in Loop: Header=BB6_128 Depth=2
	s_or_b32 exec_lo, exec_lo, s43
	v_add_nc_u32_e32 v4, 0xffffff81, v4
	v_lshrrev_b32_e32 v6, 23, v116
	s_mov_b32 s10, exec_lo
	s_delay_alu instid0(VALU_DEP_2) | instskip(NEXT) | instid1(VALU_DEP_1)
	v_cndmask_b32_e64 v4, v4, 0xffffff82, vcc_lo
	v_add3_u32 v6, v5, v4, v6
	v_and_b32_e32 v4, 0xfffff, v118
	s_delay_alu instid0(VALU_DEP_1) | instskip(NEXT) | instid1(VALU_DEP_1)
	v_dual_add_nc_u32 v5, 6, v6 :: v_dual_add_nc_u32 v54, v4, v116
                                        ; implicit-def: $vgpr116_vgpr117
                                        ; implicit-def: $vgpr4
	v_cmpx_ne_u32_e32 0, v5
	s_xor_b32 s10, exec_lo, s10
; %bb.1754:                             ;   in Loop: Header=BB6_128 Depth=2
	s_delay_alu instid0(VALU_DEP_2) | instskip(SKIP_1) | instid1(VALU_DEP_1)
	v_cmp_lt_u64_e32 vcc_lo, 0xffffff, v[54:55]
	v_add_nc_u32_e32 v4, 7, v6
	v_cndmask_b32_e32 v4, v5, v4, vcc_lo
	v_cndmask_b32_e64 v5, 0, 1, vcc_lo
	s_delay_alu instid0(VALU_DEP_1)
	v_lshrrev_b64 v[116:117], v5, v[54:55]
; %bb.1755:                             ;   in Loop: Header=BB6_128 Depth=2
	s_and_not1_saveexec_b32 s10, s10
; %bb.1756:                             ;   in Loop: Header=BB6_128 Depth=2
	v_mov_b64_e32 v[116:117], v[54:55]
	v_bfe_u32 v4, v54, 23, 1
; %bb.1757:                             ;   in Loop: Header=BB6_128 Depth=2
	s_or_b32 exec_lo, exec_lo, s10
	s_delay_alu instid0(VALU_DEP_2) | instskip(NEXT) | instid1(VALU_DEP_2)
	v_lshrrev_b64 v[6:7], 20, v[116:117]
	v_cmp_gt_i32_e32 vcc_lo, 16, v4
	v_min_i32_e32 v5, 15, v4
	v_cmp_eq_u32_e64 s10, 0, v4
	s_delay_alu instid0(VALU_DEP_2) | instskip(SKIP_1) | instid1(VALU_DEP_2)
	v_dual_cndmask_b32 v7, 0, v7, vcc_lo :: v_dual_lshlrev_b32 v5, 3, v5
	v_cndmask_b32_e32 v6, 7, v6, vcc_lo
	v_and_b32_e32 v5, 0xf8, v5
	s_delay_alu instid0(VALU_DEP_2) | instskip(NEXT) | instid1(VALU_DEP_2)
	v_cmp_eq_u64_e32 vcc_lo, 0, v[6:7]
	v_and_or_b32 v4, v6, 7, v5
	s_and_b32 s10, s10, vcc_lo
	s_delay_alu instid0(VALU_DEP_1) | instid1(SALU_CYCLE_1)
	v_cndmask_b32_e64 v4, v4, 0, s10
	s_delay_alu instid0(VALU_DEP_1)
	v_or_b32_e32 v63, v4, v1
.LBB6_1758:                             ;   in Loop: Header=BB6_128 Depth=2
	s_or_b32 exec_lo, exec_lo, s42
                                        ; implicit-def: $vgpr1
.LBB6_1759:                             ;   in Loop: Header=BB6_128 Depth=2
	s_and_not1_saveexec_b32 s10, s41
; %bb.1760:                             ;   in Loop: Header=BB6_128 Depth=2
	v_or_b32_e32 v63, 0x7e, v1
; %bb.1761:                             ;   in Loop: Header=BB6_128 Depth=2
	s_or_b32 exec_lo, exec_lo, s10
                                        ; implicit-def: $vgpr1
.LBB6_1762:                             ;   in Loop: Header=BB6_128 Depth=2
	s_and_not1_saveexec_b32 s10, s40
; %bb.1763:                             ;   in Loop: Header=BB6_128 Depth=2
	v_or_b32_e32 v63, 0x7f, v1
; %bb.1764:                             ;   in Loop: Header=BB6_128 Depth=2
	s_or_b32 exec_lo, exec_lo, s10
	v_lshl_or_b32 v1, v89, 8, v79
	v_dual_lshlrev_b32 v4, 16, v123 :: v_dual_lshlrev_b32 v0, 24, v0
	s_mov_b32 s10, exec_lo
	s_delay_alu instid0(VALU_DEP_1)
	v_or3_b32 v54, v4, v0, v1
	v_dual_mov_b32 v0, 0 :: v_dual_mov_b32 v4, 0
	v_cmpx_ne_u32_e32 0, v79
	s_cbranch_execz .LBB6_1770
; %bb.1765:                             ;   in Loop: Header=BB6_128 Depth=2
	v_bfrev_b32_e32 v4, 1
	s_mov_b32 s40, exec_lo
	v_cmpx_ne_u32_e32 0x80, v79
	s_cbranch_execz .LBB6_1769
; %bb.1766:                             ;   in Loop: Header=BB6_128 Depth=2
	v_and_b32_e32 v5, 0x7f, v79
	v_mov_b32_e32 v4, 0x7f800001
	s_mov_b32 s41, exec_lo
	s_delay_alu instid0(VALU_DEP_2)
	v_cmpx_ne_u32_e32 0x7f, v5
	s_cbranch_execz .LBB6_1768
; %bb.1767:                             ;   in Loop: Header=BB6_128 Depth=2
	v_dual_lshrrev_b32 v6, 3, v5 :: v_dual_bitop2_b32 v4, 7, v79 bitop3:0x40
	v_cmp_gt_u32_e32 vcc_lo, 8, v5
	s_delay_alu instid0(VALU_DEP_2) | instskip(NEXT) | instid1(VALU_DEP_1)
	v_clz_i32_u32_e32 v4, v4
	v_min_u32_e32 v4, 32, v4
	s_delay_alu instid0(VALU_DEP_1) | instskip(SKIP_1) | instid1(VALU_DEP_1)
	v_subrev_nc_u32_e32 v5, 28, v4
	v_sub_nc_u32_e32 v4, 29, v4
	v_dual_cndmask_b32 v6, v6, v4, vcc_lo :: v_dual_cndmask_b32 v4, 0, v5, vcc_lo
	s_delay_alu instid0(VALU_DEP_1) | instskip(NEXT) | instid1(VALU_DEP_2)
	v_lshl_add_u32 v6, v6, 23, 0x3c000000
	v_lshlrev_b64_e32 v[4:5], v4, v[54:55]
	v_lshlrev_b32_e32 v5, 24, v54
	s_delay_alu instid0(VALU_DEP_1) | instskip(NEXT) | instid1(VALU_DEP_3)
	v_and_b32_e32 v5, 0x80000000, v5
	v_lshlrev_b32_e32 v4, 20, v4
	s_delay_alu instid0(VALU_DEP_1) | instskip(NEXT) | instid1(VALU_DEP_1)
	v_and_b32_e32 v4, 0x700000, v4
	v_or3_b32 v4, v4, v5, v6
.LBB6_1768:                             ;   in Loop: Header=BB6_128 Depth=2
	s_or_b32 exec_lo, exec_lo, s41
.LBB6_1769:                             ;   in Loop: Header=BB6_128 Depth=2
	s_delay_alu instid0(SALU_CYCLE_1)
	s_or_b32 exec_lo, exec_lo, s40
.LBB6_1770:                             ;   in Loop: Header=BB6_128 Depth=2
	s_delay_alu instid0(SALU_CYCLE_1) | instskip(SKIP_2) | instid1(VALU_DEP_1)
	s_or_b32 exec_lo, exec_lo, s10
	v_and_b32_e32 v5, 0xff, v23
	s_mov_b32 s10, exec_lo
	v_cmpx_ne_u16_e32 0, v5
	s_cbranch_execz .LBB6_1776
; %bb.1771:                             ;   in Loop: Header=BB6_128 Depth=2
	v_bfrev_b32_e32 v0, 1
	s_mov_b32 s40, exec_lo
	v_cmpx_ne_u16_e32 0x80, v5
	s_cbranch_execz .LBB6_1775
; %bb.1772:                             ;   in Loop: Header=BB6_128 Depth=2
	v_and_b32_e32 v5, 0x7f, v23
	v_mov_b32_e32 v0, 0x7f800001
	s_mov_b32 s41, exec_lo
	s_delay_alu instid0(VALU_DEP_2)
	v_cmpx_ne_u32_e32 0x7f, v5
	s_cbranch_execz .LBB6_1774
; %bb.1773:                             ;   in Loop: Header=BB6_128 Depth=2
	v_dual_lshrrev_b32 v8, 3, v5 :: v_dual_bitop2_b32 v0, 7, v23 bitop3:0x40
	v_cmp_gt_u32_e32 vcc_lo, 8, v5
	v_mov_b32_e32 v6, v23
	s_delay_alu instid0(VALU_DEP_3) | instskip(NEXT) | instid1(VALU_DEP_1)
	v_clz_i32_u32_e32 v0, v0
	v_min_u32_e32 v0, 32, v0
	s_delay_alu instid0(VALU_DEP_1) | instskip(SKIP_1) | instid1(VALU_DEP_2)
	v_sub_nc_u32_e32 v9, 29, v0
	v_subrev_nc_u32_e32 v0, 28, v0
	v_dual_mov_b32 v7, v55 :: v_dual_cndmask_b32 v5, v8, v9, vcc_lo
	s_delay_alu instid0(VALU_DEP_2) | instskip(NEXT) | instid1(VALU_DEP_2)
	v_cndmask_b32_e32 v0, 0, v0, vcc_lo
	v_lshl_add_u32 v5, v5, 23, 0x3c000000
	s_delay_alu instid0(VALU_DEP_2) | instskip(NEXT) | instid1(VALU_DEP_1)
	v_lshlrev_b64_e32 v[8:9], v0, v[6:7]
	v_dual_lshlrev_b32 v0, 24, v6 :: v_dual_lshlrev_b32 v6, 20, v8
	s_delay_alu instid0(VALU_DEP_1) | instskip(NEXT) | instid1(VALU_DEP_2)
	v_and_b32_e32 v0, 0x80000000, v0
	v_and_b32_e32 v6, 0x700000, v6
	s_delay_alu instid0(VALU_DEP_1)
	v_or3_b32 v0, v6, v0, v5
.LBB6_1774:                             ;   in Loop: Header=BB6_128 Depth=2
	s_or_b32 exec_lo, exec_lo, s41
.LBB6_1775:                             ;   in Loop: Header=BB6_128 Depth=2
	s_delay_alu instid0(SALU_CYCLE_1)
	s_or_b32 exec_lo, exec_lo, s40
.LBB6_1776:                             ;   in Loop: Header=BB6_128 Depth=2
	s_delay_alu instid0(SALU_CYCLE_1) | instskip(NEXT) | instid1(VALU_DEP_1)
	s_or_b32 exec_lo, exec_lo, s10
	v_dual_add_f32 v4, v4, v0 :: v_dual_mov_b32 v7, v55
                                        ; implicit-def: $vgpr79
	s_mov_b32 s10, exec_lo
	s_delay_alu instid0(VALU_DEP_1) | instskip(SKIP_1) | instid1(VALU_DEP_2)
	v_and_b32_e32 v6, 0x7f800000, v4
	v_lshrrev_b32_e32 v0, 24, v4
	v_cmpx_ne_u64_e32 0x7f800000, v[6:7]
	s_xor_b32 s40, exec_lo, s10
	s_cbranch_execz .LBB6_1790
; %bb.1777:                             ;   in Loop: Header=BB6_128 Depth=2
	v_and_b32_e32 v6, 0x7fffffff, v4
	v_mov_b32_e32 v7, v55
	v_and_b32_e32 v0, 0x80, v0
                                        ; implicit-def: $vgpr79
	s_mov_b32 s10, exec_lo
	s_delay_alu instid0(VALU_DEP_2)
	v_cmpx_gt_u64_e32 0x43e00001, v[6:7]
	s_xor_b32 s41, exec_lo, s10
	s_cbranch_execz .LBB6_1787
; %bb.1778:                             ;   in Loop: Header=BB6_128 Depth=2
	v_mov_b32_e32 v79, 0
	s_mov_b32 s42, exec_lo
	v_cmpx_ne_u32_e32 0, v4
	s_cbranch_execz .LBB6_1786
; %bb.1779:                             ;   in Loop: Header=BB6_128 Depth=2
	v_and_b32_e32 v6, 0x7fffff, v4
	v_bfe_u32 v4, v4, 23, 8
	s_mov_b32 s43, exec_lo
	s_delay_alu instid0(VALU_DEP_2) | instskip(NEXT) | instid1(VALU_DEP_2)
	v_or_b32_e32 v7, 0x800000, v6
	v_cmp_eq_u32_e32 vcc_lo, 0, v4
	v_cmp_gt_u32_e64 s10, 0x7a, v4
	s_delay_alu instid0(VALU_DEP_3) | instskip(NEXT) | instid1(VALU_DEP_1)
	v_dual_cndmask_b32 v6, v7, v6 :: v_dual_sub_nc_u32 v5, 0x79, v4
	v_dual_mov_b32 v7, v55 :: v_dual_cndmask_b32 v5, 0, v5, s10
	s_delay_alu instid0(VALU_DEP_1) | instskip(NEXT) | instid1(VALU_DEP_1)
	v_cndmask_b32_e64 v5, v5, 0x78, vcc_lo
	v_dual_add_nc_u32 v8, 20, v5 :: v_dual_add_nc_u32 v30, 19, v5
	s_delay_alu instid0(VALU_DEP_3) | instskip(NEXT) | instid1(VALU_DEP_2)
	v_lshrrev_b64 v[116:117], v5, v[6:7]
	v_lshlrev_b64_e64 v[8:9], v8, -1
	s_delay_alu instid0(VALU_DEP_3) | instskip(NEXT) | instid1(VALU_DEP_3)
	v_lshlrev_b64_e64 v[38:39], v30, 1
	v_mov_b64_e32 v[118:119], v[116:117]
	s_delay_alu instid0(VALU_DEP_3) | instskip(NEXT) | instid1(VALU_DEP_4)
	v_bfi_b32 v9, v9, 0, 0
	v_bfi_b32 v8, v8, 0, v6
	s_delay_alu instid0(VALU_DEP_1)
	v_cmpx_eq_u64_e64 v[8:9], v[38:39]
; %bb.1780:                             ;   in Loop: Header=BB6_128 Depth=2
	v_bfe_u32 v6, v116, 20, 1
	v_mov_b32_e32 v7, v55
	s_delay_alu instid0(VALU_DEP_1) | instskip(NEXT) | instid1(VALU_DEP_1)
	v_add_nc_u64_e32 v[6:7], v[116:117], v[6:7]
	v_add_nc_u64_e32 v[118:119], -1, v[6:7]
; %bb.1781:                             ;   in Loop: Header=BB6_128 Depth=2
	s_or_b32 exec_lo, exec_lo, s43
	v_dual_mov_b32 v117, v55 :: v_dual_add_nc_u32 v4, 0xffffff81, v4
	v_lshrrev_b32_e32 v6, 23, v116
	s_mov_b32 s10, exec_lo
	s_delay_alu instid0(VALU_DEP_2) | instskip(NEXT) | instid1(VALU_DEP_1)
	v_cndmask_b32_e64 v4, v4, 0xffffff82, vcc_lo
	v_add3_u32 v6, v5, v4, v6
	v_and_b32_e32 v4, 0xfffff, v118
	s_delay_alu instid0(VALU_DEP_1) | instskip(NEXT) | instid1(VALU_DEP_1)
	v_dual_add_nc_u32 v5, 6, v6 :: v_dual_add_nc_u32 v116, v4, v116
                                        ; implicit-def: $vgpr4
	v_cmpx_ne_u32_e32 0, v5
	s_xor_b32 s10, exec_lo, s10
; %bb.1782:                             ;   in Loop: Header=BB6_128 Depth=2
	s_delay_alu instid0(VALU_DEP_2) | instskip(SKIP_1) | instid1(VALU_DEP_1)
	v_cmp_lt_u64_e32 vcc_lo, 0xffffff, v[116:117]
	v_add_nc_u32_e32 v4, 7, v6
	v_cndmask_b32_e32 v4, v5, v4, vcc_lo
	v_cndmask_b32_e64 v5, 0, 1, vcc_lo
	s_delay_alu instid0(VALU_DEP_1)
	v_lshrrev_b64 v[116:117], v5, v[116:117]
; %bb.1783:                             ;   in Loop: Header=BB6_128 Depth=2
	s_and_not1_saveexec_b32 s10, s10
; %bb.1784:                             ;   in Loop: Header=BB6_128 Depth=2
	s_delay_alu instid0(VALU_DEP_1)
	v_bfe_u32 v4, v116, 23, 1
; %bb.1785:                             ;   in Loop: Header=BB6_128 Depth=2
	s_or_b32 exec_lo, exec_lo, s10
	s_delay_alu instid0(VALU_DEP_2) | instskip(NEXT) | instid1(VALU_DEP_2)
	v_lshrrev_b64 v[6:7], 20, v[116:117]
	v_cmp_gt_i32_e32 vcc_lo, 16, v4
	v_min_i32_e32 v5, 15, v4
	v_cmp_eq_u32_e64 s10, 0, v4
	s_delay_alu instid0(VALU_DEP_2) | instskip(SKIP_1) | instid1(VALU_DEP_2)
	v_dual_cndmask_b32 v7, 0, v7, vcc_lo :: v_dual_lshlrev_b32 v5, 3, v5
	v_cndmask_b32_e32 v6, 7, v6, vcc_lo
	v_and_b32_e32 v5, 0xf8, v5
	s_delay_alu instid0(VALU_DEP_2) | instskip(NEXT) | instid1(VALU_DEP_2)
	v_cmp_eq_u64_e32 vcc_lo, 0, v[6:7]
	v_and_or_b32 v4, v6, 7, v5
	s_and_b32 s10, s10, vcc_lo
	s_delay_alu instid0(VALU_DEP_1) | instid1(SALU_CYCLE_1)
	v_cndmask_b32_e64 v4, v4, 0, s10
	s_delay_alu instid0(VALU_DEP_1)
	v_or_b32_e32 v79, v4, v0
.LBB6_1786:                             ;   in Loop: Header=BB6_128 Depth=2
	s_or_b32 exec_lo, exec_lo, s42
                                        ; implicit-def: $vgpr0
.LBB6_1787:                             ;   in Loop: Header=BB6_128 Depth=2
	s_and_not1_saveexec_b32 s10, s41
; %bb.1788:                             ;   in Loop: Header=BB6_128 Depth=2
	v_or_b32_e32 v79, 0x7e, v0
; %bb.1789:                             ;   in Loop: Header=BB6_128 Depth=2
	s_or_b32 exec_lo, exec_lo, s10
                                        ; implicit-def: $vgpr0
.LBB6_1790:                             ;   in Loop: Header=BB6_128 Depth=2
	s_and_not1_saveexec_b32 s10, s40
; %bb.1791:                             ;   in Loop: Header=BB6_128 Depth=2
	v_or_b32_e32 v79, 0x7f, v0
; %bb.1792:                             ;   in Loop: Header=BB6_128 Depth=2
	s_or_b32 exec_lo, exec_lo, s10
	v_lshrrev_b16 v5, 8, v1
	v_dual_mov_b32 v0, 0 :: v_dual_mov_b32 v4, 0
	s_mov_b32 s10, exec_lo
	s_delay_alu instid0(VALU_DEP_2)
	v_cmpx_ne_u16_e32 0, v5
	s_cbranch_execz .LBB6_1800
; %bb.1793:                             ;   in Loop: Header=BB6_128 Depth=2
	v_bfrev_b32_e32 v4, 1
	s_mov_b32 s40, exec_lo
	v_cmpx_ne_u16_e32 0x80, v5
	s_cbranch_execz .LBB6_1799
; %bb.1794:                             ;   in Loop: Header=BB6_128 Depth=2
	v_and_b32_e32 v6, 0xffff, v5
	v_mov_b32_e32 v4, 0x7f800001
	s_mov_b32 s41, exec_lo
	s_delay_alu instid0(VALU_DEP_2) | instskip(NEXT) | instid1(VALU_DEP_1)
	v_and_b32_e32 v5, 0x7f, v6
	v_cmpx_ne_u32_e32 0x7f, v5
	s_cbranch_execz .LBB6_1798
; %bb.1795:                             ;   in Loop: Header=BB6_128 Depth=2
	v_dual_mov_b32 v117, v55 :: v_dual_bitop2_b32 v116, 7, v6 bitop3:0x40
	v_lshrrev_b32_e32 v4, 3, v5
	s_mov_b32 s42, exec_lo
	v_cmpx_gt_u32_e32 8, v5
; %bb.1796:                             ;   in Loop: Header=BB6_128 Depth=2
	s_delay_alu instid0(VALU_DEP_3) | instskip(NEXT) | instid1(VALU_DEP_1)
	v_clz_i32_u32_e32 v4, v116
	v_min_u32_e32 v4, 32, v4
	s_delay_alu instid0(VALU_DEP_1) | instskip(NEXT) | instid1(VALU_DEP_1)
	v_subrev_nc_u32_e32 v5, 28, v4
	v_lshlrev_b64_e32 v[6:7], v5, v[116:117]
	s_delay_alu instid0(VALU_DEP_1)
	v_dual_sub_nc_u32 v4, 29, v4 :: v_dual_bitop2_b32 v116, 7, v6 bitop3:0x40
; %bb.1797:                             ;   in Loop: Header=BB6_128 Depth=2
	s_or_b32 exec_lo, exec_lo, s42
	s_delay_alu instid0(VALU_DEP_1) | instskip(NEXT) | instid1(VALU_DEP_2)
	v_dual_lshlrev_b32 v1, 16, v1 :: v_dual_lshlrev_b32 v5, 20, v116
	v_lshl_add_u32 v4, v4, 23, 0x3c000000
	s_delay_alu instid0(VALU_DEP_2) | instskip(NEXT) | instid1(VALU_DEP_1)
	v_and_b32_e32 v1, 0x80000000, v1
	v_or3_b32 v4, v5, v1, v4
.LBB6_1798:                             ;   in Loop: Header=BB6_128 Depth=2
	s_or_b32 exec_lo, exec_lo, s41
.LBB6_1799:                             ;   in Loop: Header=BB6_128 Depth=2
	s_delay_alu instid0(SALU_CYCLE_1)
	s_or_b32 exec_lo, exec_lo, s40
.LBB6_1800:                             ;   in Loop: Header=BB6_128 Depth=2
	s_delay_alu instid0(SALU_CYCLE_1) | instskip(SKIP_2) | instid1(VALU_DEP_1)
	s_or_b32 exec_lo, exec_lo, s10
	v_lshrrev_b16 v1, 8, v23
	s_mov_b32 s10, exec_lo
	v_cmpx_ne_u16_e32 0, v1
	s_cbranch_execz .LBB6_1808
; %bb.1801:                             ;   in Loop: Header=BB6_128 Depth=2
	v_bfrev_b32_e32 v0, 1
	s_mov_b32 s40, exec_lo
	v_cmpx_ne_u16_e32 0x80, v1
	s_cbranch_execz .LBB6_1807
; %bb.1802:                             ;   in Loop: Header=BB6_128 Depth=2
	v_and_b32_e32 v5, 0xffff, v1
	v_mov_b32_e32 v0, 0x7f800001
	s_mov_b32 s41, exec_lo
	s_delay_alu instid0(VALU_DEP_2) | instskip(NEXT) | instid1(VALU_DEP_1)
	v_and_b32_e32 v1, 0x7f, v5
	v_cmpx_ne_u32_e32 0x7f, v1
	s_cbranch_execz .LBB6_1806
; %bb.1803:                             ;   in Loop: Header=BB6_128 Depth=2
	v_dual_mov_b32 v117, v55 :: v_dual_bitop2_b32 v116, 7, v5 bitop3:0x40
	v_lshrrev_b32_e32 v0, 3, v1
	s_mov_b32 s42, exec_lo
	v_cmpx_gt_u32_e32 8, v1
; %bb.1804:                             ;   in Loop: Header=BB6_128 Depth=2
	s_delay_alu instid0(VALU_DEP_3) | instskip(NEXT) | instid1(VALU_DEP_1)
	v_clz_i32_u32_e32 v0, v116
	v_min_u32_e32 v0, 32, v0
	s_delay_alu instid0(VALU_DEP_1) | instskip(NEXT) | instid1(VALU_DEP_1)
	v_subrev_nc_u32_e32 v1, 28, v0
	v_lshlrev_b64_e32 v[6:7], v1, v[116:117]
	s_delay_alu instid0(VALU_DEP_1)
	v_dual_sub_nc_u32 v0, 29, v0 :: v_dual_bitop2_b32 v116, 7, v6 bitop3:0x40
; %bb.1805:                             ;   in Loop: Header=BB6_128 Depth=2
	s_or_b32 exec_lo, exec_lo, s42
	s_delay_alu instid0(VALU_DEP_1) | instskip(NEXT) | instid1(VALU_DEP_2)
	v_dual_lshlrev_b32 v1, 16, v23 :: v_dual_lshlrev_b32 v5, 20, v116
	v_lshl_add_u32 v0, v0, 23, 0x3c000000
	s_delay_alu instid0(VALU_DEP_2) | instskip(NEXT) | instid1(VALU_DEP_1)
	v_and_b32_e32 v1, 0x80000000, v1
	v_or3_b32 v0, v5, v1, v0
.LBB6_1806:                             ;   in Loop: Header=BB6_128 Depth=2
	s_or_b32 exec_lo, exec_lo, s41
.LBB6_1807:                             ;   in Loop: Header=BB6_128 Depth=2
	s_delay_alu instid0(SALU_CYCLE_1)
	s_or_b32 exec_lo, exec_lo, s40
.LBB6_1808:                             ;   in Loop: Header=BB6_128 Depth=2
	s_delay_alu instid0(SALU_CYCLE_1) | instskip(NEXT) | instid1(VALU_DEP_1)
	s_or_b32 exec_lo, exec_lo, s10
	v_dual_add_f32 v1, v4, v0 :: v_dual_mov_b32 v5, v55
                                        ; implicit-def: $vgpr89
	s_mov_b32 s10, exec_lo
	s_delay_alu instid0(VALU_DEP_1) | instskip(SKIP_1) | instid1(VALU_DEP_2)
	v_and_b32_e32 v4, 0x7f800000, v1
	v_lshrrev_b32_e32 v0, 24, v1
	v_cmpx_ne_u64_e32 0x7f800000, v[4:5]
	s_xor_b32 s40, exec_lo, s10
	s_cbranch_execz .LBB6_1822
; %bb.1809:                             ;   in Loop: Header=BB6_128 Depth=2
	v_and_b32_e32 v4, 0x7fffffff, v1
	v_mov_b32_e32 v5, v55
	v_and_b32_e32 v0, 0x80, v0
                                        ; implicit-def: $vgpr89
	s_mov_b32 s10, exec_lo
	s_delay_alu instid0(VALU_DEP_2)
	v_cmpx_gt_u64_e32 0x43e00001, v[4:5]
	s_xor_b32 s41, exec_lo, s10
	s_cbranch_execz .LBB6_1819
; %bb.1810:                             ;   in Loop: Header=BB6_128 Depth=2
	v_mov_b32_e32 v89, 0
	s_mov_b32 s42, exec_lo
	v_cmpx_ne_u32_e32 0, v1
	s_cbranch_execz .LBB6_1818
; %bb.1811:                             ;   in Loop: Header=BB6_128 Depth=2
	v_and_b32_e32 v5, 0x7fffff, v1
	v_bfe_u32 v1, v1, 23, 8
	s_mov_b32 s43, exec_lo
	v_mov_b32_e32 v7, v55
	s_delay_alu instid0(VALU_DEP_3) | instskip(NEXT) | instid1(VALU_DEP_3)
	v_or_b32_e32 v6, 0x800000, v5
	v_cmp_gt_u32_e64 s10, 0x7a, v1
	v_sub_nc_u32_e32 v4, 0x79, v1
	v_cmp_eq_u32_e32 vcc_lo, 0, v1
	s_delay_alu instid0(VALU_DEP_2) | instskip(NEXT) | instid1(VALU_DEP_1)
	v_dual_cndmask_b32 v4, 0, v4, s10 :: v_dual_cndmask_b32 v6, v6, v5, vcc_lo
	v_cndmask_b32_e64 v4, v4, 0x78, vcc_lo
	s_delay_alu instid0(VALU_DEP_1) | instskip(NEXT) | instid1(VALU_DEP_3)
	v_add_nc_u32_e32 v5, 20, v4
	v_lshrrev_b64 v[116:117], v4, v[6:7]
	s_delay_alu instid0(VALU_DEP_2) | instskip(SKIP_1) | instid1(VALU_DEP_3)
	v_lshlrev_b64_e64 v[8:9], v5, -1
	v_add_nc_u32_e32 v5, 19, v4
	v_mov_b64_e32 v[118:119], v[116:117]
	s_delay_alu instid0(VALU_DEP_2) | instskip(NEXT) | instid1(VALU_DEP_4)
	v_lshlrev_b64_e64 v[38:39], v5, 1
	v_bfi_b32 v9, v9, 0, 0
	v_bfi_b32 v8, v8, 0, v6
	s_delay_alu instid0(VALU_DEP_1)
	v_cmpx_eq_u64_e64 v[8:9], v[38:39]
; %bb.1812:                             ;   in Loop: Header=BB6_128 Depth=2
	v_bfe_u32 v6, v116, 20, 1
	v_mov_b32_e32 v7, v55
	s_delay_alu instid0(VALU_DEP_1) | instskip(NEXT) | instid1(VALU_DEP_1)
	v_add_nc_u64_e32 v[6:7], v[116:117], v[6:7]
	v_add_nc_u64_e32 v[118:119], -1, v[6:7]
; %bb.1813:                             ;   in Loop: Header=BB6_128 Depth=2
	s_or_b32 exec_lo, exec_lo, s43
	v_add_nc_u32_e32 v1, 0xffffff81, v1
	v_lshrrev_b32_e32 v5, 23, v116
	s_mov_b32 s10, exec_lo
	v_mov_b32_e32 v117, v55
	s_delay_alu instid0(VALU_DEP_3) | instskip(NEXT) | instid1(VALU_DEP_1)
	v_cndmask_b32_e64 v1, v1, 0xffffff82, vcc_lo
	v_add3_u32 v5, v4, v1, v5
	v_and_b32_e32 v1, 0xfffff, v118
	s_delay_alu instid0(VALU_DEP_1) | instskip(NEXT) | instid1(VALU_DEP_1)
	v_dual_add_nc_u32 v4, 6, v5 :: v_dual_add_nc_u32 v116, v1, v116
                                        ; implicit-def: $vgpr1
	v_cmpx_ne_u32_e32 0, v4
	s_xor_b32 s10, exec_lo, s10
; %bb.1814:                             ;   in Loop: Header=BB6_128 Depth=2
	s_delay_alu instid0(VALU_DEP_2) | instskip(SKIP_1) | instid1(VALU_DEP_1)
	v_cmp_lt_u64_e32 vcc_lo, 0xffffff, v[116:117]
	v_add_nc_u32_e32 v1, 7, v5
	v_cndmask_b32_e32 v1, v4, v1, vcc_lo
	v_cndmask_b32_e64 v4, 0, 1, vcc_lo
	s_delay_alu instid0(VALU_DEP_1)
	v_lshrrev_b64 v[116:117], v4, v[116:117]
; %bb.1815:                             ;   in Loop: Header=BB6_128 Depth=2
	s_and_not1_saveexec_b32 s10, s10
; %bb.1816:                             ;   in Loop: Header=BB6_128 Depth=2
	s_delay_alu instid0(VALU_DEP_1)
	v_bfe_u32 v1, v116, 23, 1
; %bb.1817:                             ;   in Loop: Header=BB6_128 Depth=2
	s_or_b32 exec_lo, exec_lo, s10
	s_delay_alu instid0(VALU_DEP_2) | instskip(NEXT) | instid1(VALU_DEP_2)
	v_lshrrev_b64 v[4:5], 20, v[116:117]
	v_cmp_gt_i32_e32 vcc_lo, 16, v1
	v_min_i32_e32 v6, 15, v1
	v_cmp_eq_u32_e64 s10, 0, v1
	s_delay_alu instid0(VALU_DEP_2) | instskip(SKIP_1) | instid1(VALU_DEP_2)
	v_dual_cndmask_b32 v4, 7, v4, vcc_lo :: v_dual_lshlrev_b32 v6, 3, v6
	v_cndmask_b32_e32 v5, 0, v5, vcc_lo
	v_and_b32_e32 v6, 0xf8, v6
	s_delay_alu instid0(VALU_DEP_2) | instskip(NEXT) | instid1(VALU_DEP_2)
	v_cmp_eq_u64_e32 vcc_lo, 0, v[4:5]
	v_and_or_b32 v1, v4, 7, v6
	s_and_b32 s10, s10, vcc_lo
	s_delay_alu instid0(VALU_DEP_1) | instid1(SALU_CYCLE_1)
	v_cndmask_b32_e64 v1, v1, 0, s10
	s_delay_alu instid0(VALU_DEP_1)
	v_or_b32_e32 v89, v1, v0
.LBB6_1818:                             ;   in Loop: Header=BB6_128 Depth=2
	s_or_b32 exec_lo, exec_lo, s42
                                        ; implicit-def: $vgpr0
.LBB6_1819:                             ;   in Loop: Header=BB6_128 Depth=2
	s_and_not1_saveexec_b32 s10, s41
; %bb.1820:                             ;   in Loop: Header=BB6_128 Depth=2
	v_or_b32_e32 v89, 0x7e, v0
; %bb.1821:                             ;   in Loop: Header=BB6_128 Depth=2
	s_or_b32 exec_lo, exec_lo, s10
                                        ; implicit-def: $vgpr0
.LBB6_1822:                             ;   in Loop: Header=BB6_128 Depth=2
	s_and_not1_saveexec_b32 s10, s40
; %bb.1823:                             ;   in Loop: Header=BB6_128 Depth=2
	v_or_b32_e32 v89, 0x7f, v0
; %bb.1824:                             ;   in Loop: Header=BB6_128 Depth=2
	s_or_b32 exec_lo, exec_lo, s10
	v_dual_lshrrev_b32 v4, 16, v54 :: v_dual_mov_b32 v0, 0
	v_mov_b32_e32 v1, 0
	s_mov_b32 s10, exec_lo
	s_delay_alu instid0(VALU_DEP_2) | instskip(NEXT) | instid1(VALU_DEP_1)
	v_and_b32_e32 v5, 0xff, v4
	v_cmpx_ne_u16_e32 0, v5
	s_cbranch_execz .LBB6_1832
; %bb.1825:                             ;   in Loop: Header=BB6_128 Depth=2
	v_bfrev_b32_e32 v1, 1
	s_mov_b32 s40, exec_lo
	v_cmpx_ne_u16_e32 0x80, v5
	s_cbranch_execz .LBB6_1831
; %bb.1826:                             ;   in Loop: Header=BB6_128 Depth=2
	v_bfe_u32 v5, v54, 16, 7
	v_mov_b32_e32 v1, 0x7f800001
	s_mov_b32 s41, exec_lo
	s_delay_alu instid0(VALU_DEP_2)
	v_cmpx_ne_u32_e32 0x7f, v5
	s_cbranch_execz .LBB6_1830
; %bb.1827:                             ;   in Loop: Header=BB6_128 Depth=2
	v_dual_mov_b32 v117, v55 :: v_dual_bitop2_b32 v116, 7, v4 bitop3:0x40
	v_lshrrev_b32_e32 v1, 3, v5
	s_mov_b32 s42, exec_lo
	v_cmpx_gt_u32_e32 8, v5
; %bb.1828:                             ;   in Loop: Header=BB6_128 Depth=2
	s_delay_alu instid0(VALU_DEP_3) | instskip(NEXT) | instid1(VALU_DEP_1)
	v_clz_i32_u32_e32 v1, v116
	v_min_u32_e32 v1, 32, v1
	s_delay_alu instid0(VALU_DEP_1) | instskip(NEXT) | instid1(VALU_DEP_1)
	v_subrev_nc_u32_e32 v5, 28, v1
	v_lshlrev_b64_e32 v[6:7], v5, v[116:117]
	s_delay_alu instid0(VALU_DEP_1)
	v_dual_sub_nc_u32 v1, 29, v1 :: v_dual_bitop2_b32 v116, 7, v6 bitop3:0x40
; %bb.1829:                             ;   in Loop: Header=BB6_128 Depth=2
	s_or_b32 exec_lo, exec_lo, s42
	v_lshlrev_b32_e32 v4, 24, v4
	s_delay_alu instid0(VALU_DEP_2) | instskip(NEXT) | instid1(VALU_DEP_3)
	v_lshlrev_b32_e32 v5, 20, v116
	v_lshl_add_u32 v1, v1, 23, 0x3c000000
	s_delay_alu instid0(VALU_DEP_3) | instskip(NEXT) | instid1(VALU_DEP_1)
	v_and_b32_e32 v4, 0x80000000, v4
	v_or3_b32 v1, v5, v4, v1
.LBB6_1830:                             ;   in Loop: Header=BB6_128 Depth=2
	s_or_b32 exec_lo, exec_lo, s41
.LBB6_1831:                             ;   in Loop: Header=BB6_128 Depth=2
	s_delay_alu instid0(SALU_CYCLE_1)
	s_or_b32 exec_lo, exec_lo, s40
.LBB6_1832:                             ;   in Loop: Header=BB6_128 Depth=2
	s_delay_alu instid0(SALU_CYCLE_1) | instskip(SKIP_2) | instid1(VALU_DEP_1)
	s_or_b32 exec_lo, exec_lo, s10
	v_lshrrev_b32_e32 v4, 16, v23
	s_mov_b32 s10, exec_lo
	v_and_b32_e32 v5, 0xff, v4
	s_delay_alu instid0(VALU_DEP_1)
	v_cmpx_ne_u16_e32 0, v5
	s_cbranch_execz .LBB6_1840
; %bb.1833:                             ;   in Loop: Header=BB6_128 Depth=2
	v_bfrev_b32_e32 v0, 1
	s_mov_b32 s40, exec_lo
	v_cmpx_ne_u16_e32 0x80, v5
	s_cbranch_execz .LBB6_1839
; %bb.1834:                             ;   in Loop: Header=BB6_128 Depth=2
	v_bfe_u32 v5, v23, 16, 7
	v_mov_b32_e32 v0, 0x7f800001
	s_mov_b32 s41, exec_lo
	s_delay_alu instid0(VALU_DEP_2)
	v_cmpx_ne_u32_e32 0x7f, v5
	s_cbranch_execz .LBB6_1838
; %bb.1835:                             ;   in Loop: Header=BB6_128 Depth=2
	v_dual_mov_b32 v117, v55 :: v_dual_bitop2_b32 v116, 7, v4 bitop3:0x40
	v_lshrrev_b32_e32 v0, 3, v5
	s_mov_b32 s42, exec_lo
	v_cmpx_gt_u32_e32 8, v5
; %bb.1836:                             ;   in Loop: Header=BB6_128 Depth=2
	s_delay_alu instid0(VALU_DEP_3) | instskip(NEXT) | instid1(VALU_DEP_1)
	v_clz_i32_u32_e32 v0, v116
	v_min_u32_e32 v0, 32, v0
	s_delay_alu instid0(VALU_DEP_1) | instskip(SKIP_1) | instid1(VALU_DEP_2)
	v_subrev_nc_u32_e32 v4, 28, v0
	v_sub_nc_u32_e32 v0, 29, v0
	v_lshlrev_b64_e32 v[4:5], v4, v[116:117]
	s_delay_alu instid0(VALU_DEP_1)
	v_and_b32_e32 v116, 7, v4
; %bb.1837:                             ;   in Loop: Header=BB6_128 Depth=2
	s_or_b32 exec_lo, exec_lo, s42
	s_delay_alu instid0(VALU_DEP_1) | instskip(SKIP_1) | instid1(VALU_DEP_2)
	v_dual_lshlrev_b32 v4, 8, v23 :: v_dual_lshlrev_b32 v5, 20, v116
	v_lshl_add_u32 v0, v0, 23, 0x3c000000
	v_and_b32_e32 v4, 0x80000000, v4
	s_delay_alu instid0(VALU_DEP_1)
	v_or3_b32 v0, v5, v4, v0
.LBB6_1838:                             ;   in Loop: Header=BB6_128 Depth=2
	s_or_b32 exec_lo, exec_lo, s41
.LBB6_1839:                             ;   in Loop: Header=BB6_128 Depth=2
	s_delay_alu instid0(SALU_CYCLE_1)
	s_or_b32 exec_lo, exec_lo, s40
.LBB6_1840:                             ;   in Loop: Header=BB6_128 Depth=2
	s_delay_alu instid0(SALU_CYCLE_1) | instskip(NEXT) | instid1(VALU_DEP_1)
	s_or_b32 exec_lo, exec_lo, s10
	v_dual_add_f32 v1, v1, v0 :: v_dual_mov_b32 v5, v55
                                        ; implicit-def: $vgpr118
	s_mov_b32 s10, exec_lo
	s_delay_alu instid0(VALU_DEP_1) | instskip(SKIP_1) | instid1(VALU_DEP_2)
	v_and_b32_e32 v4, 0x7f800000, v1
	v_lshrrev_b32_e32 v0, 24, v1
	v_cmpx_ne_u64_e32 0x7f800000, v[4:5]
	s_xor_b32 s40, exec_lo, s10
	s_cbranch_execz .LBB6_1854
; %bb.1841:                             ;   in Loop: Header=BB6_128 Depth=2
	v_and_b32_e32 v4, 0x7fffffff, v1
	v_mov_b32_e32 v5, v55
	v_and_b32_e32 v0, 0x80, v0
                                        ; implicit-def: $vgpr118
	s_mov_b32 s10, exec_lo
	s_delay_alu instid0(VALU_DEP_2)
	v_cmpx_gt_u64_e32 0x43e00001, v[4:5]
	s_xor_b32 s41, exec_lo, s10
	s_cbranch_execz .LBB6_1851
; %bb.1842:                             ;   in Loop: Header=BB6_128 Depth=2
	v_mov_b32_e32 v118, 0
	s_mov_b32 s42, exec_lo
	v_cmpx_ne_u32_e32 0, v1
	s_cbranch_execz .LBB6_1850
; %bb.1843:                             ;   in Loop: Header=BB6_128 Depth=2
	v_and_b32_e32 v5, 0x7fffff, v1
	v_bfe_u32 v1, v1, 23, 8
	s_mov_b32 s43, exec_lo
	v_mov_b32_e32 v7, v55
	s_delay_alu instid0(VALU_DEP_3) | instskip(NEXT) | instid1(VALU_DEP_3)
	v_or_b32_e32 v6, 0x800000, v5
	v_cmp_gt_u32_e64 s10, 0x7a, v1
	v_sub_nc_u32_e32 v4, 0x79, v1
	v_cmp_eq_u32_e32 vcc_lo, 0, v1
	s_delay_alu instid0(VALU_DEP_2) | instskip(NEXT) | instid1(VALU_DEP_1)
	v_dual_cndmask_b32 v4, 0, v4, s10 :: v_dual_cndmask_b32 v6, v6, v5, vcc_lo
	v_cndmask_b32_e64 v4, v4, 0x78, vcc_lo
	s_delay_alu instid0(VALU_DEP_1) | instskip(NEXT) | instid1(VALU_DEP_3)
	v_add_nc_u32_e32 v5, 20, v4
	v_lshrrev_b64 v[116:117], v4, v[6:7]
	s_delay_alu instid0(VALU_DEP_2) | instskip(SKIP_1) | instid1(VALU_DEP_3)
	v_lshlrev_b64_e64 v[8:9], v5, -1
	v_add_nc_u32_e32 v5, 19, v4
	v_mov_b64_e32 v[118:119], v[116:117]
	s_delay_alu instid0(VALU_DEP_2) | instskip(NEXT) | instid1(VALU_DEP_4)
	v_lshlrev_b64_e64 v[38:39], v5, 1
	v_bfi_b32 v9, v9, 0, 0
	v_bfi_b32 v8, v8, 0, v6
	s_delay_alu instid0(VALU_DEP_1)
	v_cmpx_eq_u64_e64 v[8:9], v[38:39]
; %bb.1844:                             ;   in Loop: Header=BB6_128 Depth=2
	v_bfe_u32 v6, v116, 20, 1
	v_mov_b32_e32 v7, v55
	s_delay_alu instid0(VALU_DEP_1) | instskip(NEXT) | instid1(VALU_DEP_1)
	v_add_nc_u64_e32 v[6:7], v[116:117], v[6:7]
	v_add_nc_u64_e32 v[118:119], -1, v[6:7]
; %bb.1845:                             ;   in Loop: Header=BB6_128 Depth=2
	s_or_b32 exec_lo, exec_lo, s43
	v_add_nc_u32_e32 v1, 0xffffff81, v1
	v_lshrrev_b32_e32 v5, 23, v116
	s_mov_b32 s10, exec_lo
	v_mov_b32_e32 v117, v55
	s_delay_alu instid0(VALU_DEP_3) | instskip(NEXT) | instid1(VALU_DEP_1)
	v_cndmask_b32_e64 v1, v1, 0xffffff82, vcc_lo
	v_add3_u32 v5, v4, v1, v5
	v_and_b32_e32 v1, 0xfffff, v118
	s_delay_alu instid0(VALU_DEP_1) | instskip(NEXT) | instid1(VALU_DEP_1)
	v_dual_add_nc_u32 v4, 6, v5 :: v_dual_add_nc_u32 v116, v1, v116
                                        ; implicit-def: $vgpr1
	v_cmpx_ne_u32_e32 0, v4
	s_xor_b32 s10, exec_lo, s10
; %bb.1846:                             ;   in Loop: Header=BB6_128 Depth=2
	s_delay_alu instid0(VALU_DEP_2) | instskip(SKIP_1) | instid1(VALU_DEP_1)
	v_cmp_lt_u64_e32 vcc_lo, 0xffffff, v[116:117]
	v_add_nc_u32_e32 v1, 7, v5
	v_cndmask_b32_e32 v1, v4, v1, vcc_lo
	v_cndmask_b32_e64 v4, 0, 1, vcc_lo
	s_delay_alu instid0(VALU_DEP_1)
	v_lshrrev_b64 v[116:117], v4, v[116:117]
; %bb.1847:                             ;   in Loop: Header=BB6_128 Depth=2
	s_and_not1_saveexec_b32 s10, s10
; %bb.1848:                             ;   in Loop: Header=BB6_128 Depth=2
	s_delay_alu instid0(VALU_DEP_1)
	v_bfe_u32 v1, v116, 23, 1
; %bb.1849:                             ;   in Loop: Header=BB6_128 Depth=2
	s_or_b32 exec_lo, exec_lo, s10
	s_delay_alu instid0(VALU_DEP_2) | instskip(NEXT) | instid1(VALU_DEP_2)
	v_lshrrev_b64 v[4:5], 20, v[116:117]
	v_cmp_gt_i32_e32 vcc_lo, 16, v1
	v_min_i32_e32 v6, 15, v1
	v_cmp_eq_u32_e64 s10, 0, v1
	s_delay_alu instid0(VALU_DEP_2) | instskip(SKIP_1) | instid1(VALU_DEP_2)
	v_dual_cndmask_b32 v4, 7, v4, vcc_lo :: v_dual_lshlrev_b32 v6, 3, v6
	v_cndmask_b32_e32 v5, 0, v5, vcc_lo
	v_and_b32_e32 v6, 0xf8, v6
	s_delay_alu instid0(VALU_DEP_2) | instskip(NEXT) | instid1(VALU_DEP_2)
	v_cmp_eq_u64_e32 vcc_lo, 0, v[4:5]
	v_and_or_b32 v1, v4, 7, v6
	s_and_b32 s10, s10, vcc_lo
	s_delay_alu instid0(VALU_DEP_1) | instid1(SALU_CYCLE_1)
	v_cndmask_b32_e64 v1, v1, 0, s10
	s_delay_alu instid0(VALU_DEP_1)
	v_or_b32_e32 v118, v1, v0
.LBB6_1850:                             ;   in Loop: Header=BB6_128 Depth=2
	s_or_b32 exec_lo, exec_lo, s42
                                        ; implicit-def: $vgpr0
.LBB6_1851:                             ;   in Loop: Header=BB6_128 Depth=2
	s_and_not1_saveexec_b32 s10, s41
; %bb.1852:                             ;   in Loop: Header=BB6_128 Depth=2
	v_or_b32_e32 v118, 0x7e, v0
; %bb.1853:                             ;   in Loop: Header=BB6_128 Depth=2
	s_or_b32 exec_lo, exec_lo, s10
                                        ; implicit-def: $vgpr0
.LBB6_1854:                             ;   in Loop: Header=BB6_128 Depth=2
	s_and_not1_saveexec_b32 s10, s40
; %bb.1855:                             ;   in Loop: Header=BB6_128 Depth=2
	v_or_b32_e32 v118, 0x7f, v0
; %bb.1856:                             ;   in Loop: Header=BB6_128 Depth=2
	s_or_b32 exec_lo, exec_lo, s10
	v_dual_mov_b32 v0, 0 :: v_dual_mov_b32 v1, 0
	s_mov_b32 s10, exec_lo
	v_cmpx_lt_u32_e32 0xffffff, v54
	s_cbranch_execz .LBB6_1864
; %bb.1857:                             ;   in Loop: Header=BB6_128 Depth=2
	v_lshrrev_b32_e32 v4, 24, v54
	v_bfrev_b32_e32 v1, 1
	s_mov_b32 s40, exec_lo
	s_delay_alu instid0(VALU_DEP_2)
	v_cmpx_ne_u32_e32 0x80, v4
	s_cbranch_execz .LBB6_1863
; %bb.1858:                             ;   in Loop: Header=BB6_128 Depth=2
	v_bfe_u32 v5, v54, 24, 7
	v_mov_b32_e32 v1, 0x7f800001
	s_mov_b32 s41, exec_lo
	s_delay_alu instid0(VALU_DEP_2)
	v_cmpx_ne_u32_e32 0x7f, v5
	s_cbranch_execz .LBB6_1862
; %bb.1859:                             ;   in Loop: Header=BB6_128 Depth=2
	v_dual_lshrrev_b32 v1, 3, v5 :: v_dual_bitop2_b32 v54, 7, v4 bitop3:0x40
	s_mov_b32 s42, exec_lo
	s_delay_alu instid0(VALU_DEP_1)
	v_mov_b64_e32 v[116:117], v[54:55]
	v_cmpx_gt_u32_e32 8, v5
; %bb.1860:                             ;   in Loop: Header=BB6_128 Depth=2
	v_clz_i32_u32_e32 v1, v54
	s_delay_alu instid0(VALU_DEP_1) | instskip(NEXT) | instid1(VALU_DEP_1)
	v_min_u32_e32 v1, 32, v1
	v_subrev_nc_u32_e32 v5, 28, v1
	s_delay_alu instid0(VALU_DEP_1) | instskip(NEXT) | instid1(VALU_DEP_1)
	v_lshlrev_b64_e32 v[6:7], v5, v[54:55]
	v_dual_sub_nc_u32 v1, 29, v1 :: v_dual_bitop2_b32 v116, 7, v6 bitop3:0x40
; %bb.1861:                             ;   in Loop: Header=BB6_128 Depth=2
	s_or_b32 exec_lo, exec_lo, s42
	v_lshlrev_b32_e32 v4, 24, v4
	s_delay_alu instid0(VALU_DEP_2) | instskip(NEXT) | instid1(VALU_DEP_3)
	v_lshlrev_b32_e32 v5, 20, v116
	v_lshl_add_u32 v1, v1, 23, 0x3c000000
	s_delay_alu instid0(VALU_DEP_3) | instskip(NEXT) | instid1(VALU_DEP_1)
	v_and_b32_e32 v4, 0x80000000, v4
	v_or3_b32 v1, v5, v4, v1
.LBB6_1862:                             ;   in Loop: Header=BB6_128 Depth=2
	s_or_b32 exec_lo, exec_lo, s41
.LBB6_1863:                             ;   in Loop: Header=BB6_128 Depth=2
	s_delay_alu instid0(SALU_CYCLE_1)
	s_or_b32 exec_lo, exec_lo, s40
.LBB6_1864:                             ;   in Loop: Header=BB6_128 Depth=2
	s_delay_alu instid0(SALU_CYCLE_1) | instskip(NEXT) | instid1(SALU_CYCLE_1)
	s_or_b32 exec_lo, exec_lo, s10
	s_mov_b32 s10, exec_lo
	v_cmpx_lt_u64_e64 s[14:15], v[22:23]
	s_cbranch_execz .LBB6_1872
; %bb.1865:                             ;   in Loop: Header=BB6_128 Depth=2
	v_lshrrev_b32_e32 v4, 24, v23
	v_bfrev_b32_e32 v0, 1
	s_mov_b32 s40, exec_lo
	s_delay_alu instid0(VALU_DEP_2)
	v_cmpx_ne_u32_e32 0x80, v4
	s_cbranch_execz .LBB6_1871
; %bb.1866:                             ;   in Loop: Header=BB6_128 Depth=2
	v_bfe_u32 v5, v23, 24, 7
	v_mov_b32_e32 v0, 0x7f800001
	s_mov_b32 s41, exec_lo
	s_delay_alu instid0(VALU_DEP_2)
	v_cmpx_ne_u32_e32 0x7f, v5
	s_cbranch_execz .LBB6_1870
; %bb.1867:                             ;   in Loop: Header=BB6_128 Depth=2
	v_dual_lshrrev_b32 v0, 3, v5 :: v_dual_bitop2_b32 v54, 7, v4 bitop3:0x40
	s_mov_b32 s42, exec_lo
	s_delay_alu instid0(VALU_DEP_1)
	v_mov_b64_e32 v[22:23], v[54:55]
	v_cmpx_gt_u32_e32 8, v5
; %bb.1868:                             ;   in Loop: Header=BB6_128 Depth=2
	v_clz_i32_u32_e32 v0, v54
	s_delay_alu instid0(VALU_DEP_1) | instskip(NEXT) | instid1(VALU_DEP_1)
	v_min_u32_e32 v0, 32, v0
	v_subrev_nc_u32_e32 v5, 28, v0
	s_delay_alu instid0(VALU_DEP_1) | instskip(NEXT) | instid1(VALU_DEP_1)
	v_lshlrev_b64_e32 v[6:7], v5, v[54:55]
	v_dual_sub_nc_u32 v0, 29, v0 :: v_dual_bitop2_b32 v22, 7, v6 bitop3:0x40
; %bb.1869:                             ;   in Loop: Header=BB6_128 Depth=2
	s_or_b32 exec_lo, exec_lo, s42
	s_delay_alu instid0(VALU_DEP_1) | instskip(NEXT) | instid1(VALU_DEP_2)
	v_dual_lshlrev_b32 v4, 24, v4 :: v_dual_lshlrev_b32 v5, 20, v22
	v_lshl_add_u32 v0, v0, 23, 0x3c000000
	s_delay_alu instid0(VALU_DEP_2) | instskip(NEXT) | instid1(VALU_DEP_1)
	v_and_b32_e32 v4, 0x80000000, v4
	v_or3_b32 v0, v5, v4, v0
.LBB6_1870:                             ;   in Loop: Header=BB6_128 Depth=2
	s_or_b32 exec_lo, exec_lo, s41
.LBB6_1871:                             ;   in Loop: Header=BB6_128 Depth=2
	s_delay_alu instid0(SALU_CYCLE_1)
	s_or_b32 exec_lo, exec_lo, s40
.LBB6_1872:                             ;   in Loop: Header=BB6_128 Depth=2
	s_delay_alu instid0(SALU_CYCLE_1) | instskip(NEXT) | instid1(VALU_DEP_1)
	s_or_b32 exec_lo, exec_lo, s10
	v_add_f32_e32 v1, v1, v0
                                        ; implicit-def: $vgpr119
	s_mov_b32 s10, exec_lo
	s_delay_alu instid0(VALU_DEP_1) | instskip(SKIP_1) | instid1(VALU_DEP_2)
	v_and_b32_e32 v54, 0x7f800000, v1
	v_lshrrev_b32_e32 v0, 24, v1
	v_cmpx_ne_u64_e32 0x7f800000, v[54:55]
	s_xor_b32 s40, exec_lo, s10
	s_cbranch_execz .LBB6_1886
; %bb.1873:                             ;   in Loop: Header=BB6_128 Depth=2
	v_and_b32_e32 v54, 0x7fffffff, v1
	v_and_b32_e32 v0, 0x80, v0
                                        ; implicit-def: $vgpr119
	s_mov_b32 s10, exec_lo
	s_delay_alu instid0(VALU_DEP_2)
	v_cmpx_gt_u64_e32 0x43e00001, v[54:55]
	s_xor_b32 s41, exec_lo, s10
	s_cbranch_execz .LBB6_1883
; %bb.1874:                             ;   in Loop: Header=BB6_128 Depth=2
	v_mov_b32_e32 v119, 0
	s_mov_b32 s42, exec_lo
	v_cmpx_ne_u32_e32 0, v1
	s_cbranch_execz .LBB6_1882
; %bb.1875:                             ;   in Loop: Header=BB6_128 Depth=2
	v_and_b32_e32 v5, 0x7fffff, v1
	v_bfe_u32 v1, v1, 23, 8
	s_mov_b32 s43, exec_lo
	s_delay_alu instid0(VALU_DEP_2) | instskip(NEXT) | instid1(VALU_DEP_2)
	v_or_b32_e32 v6, 0x800000, v5
	v_cmp_gt_u32_e64 s10, 0x7a, v1
	v_sub_nc_u32_e32 v4, 0x79, v1
	v_cmp_eq_u32_e32 vcc_lo, 0, v1
	s_delay_alu instid0(VALU_DEP_2) | instskip(NEXT) | instid1(VALU_DEP_1)
	v_dual_cndmask_b32 v4, 0, v4, s10 :: v_dual_cndmask_b32 v54, v6, v5, vcc_lo
	v_cndmask_b32_e64 v4, v4, 0x78, vcc_lo
	s_delay_alu instid0(VALU_DEP_1) | instskip(NEXT) | instid1(VALU_DEP_3)
	v_add_nc_u32_e32 v5, 20, v4
	v_lshrrev_b64 v[22:23], v4, v[54:55]
	s_delay_alu instid0(VALU_DEP_2) | instskip(SKIP_1) | instid1(VALU_DEP_3)
	v_lshlrev_b64_e64 v[6:7], v5, -1
	v_add_nc_u32_e32 v5, 19, v4
	v_mov_b64_e32 v[116:117], v[22:23]
	s_delay_alu instid0(VALU_DEP_2) | instskip(NEXT) | instid1(VALU_DEP_4)
	v_lshlrev_b64_e64 v[8:9], v5, 1
	v_bfi_b32 v7, v7, 0, 0
	v_bfi_b32 v6, v6, 0, v54
	s_delay_alu instid0(VALU_DEP_1)
	v_cmpx_eq_u64_e64 v[6:7], v[8:9]
; %bb.1876:                             ;   in Loop: Header=BB6_128 Depth=2
	v_bfe_u32 v54, v22, 20, 1
	s_delay_alu instid0(VALU_DEP_1) | instskip(NEXT) | instid1(VALU_DEP_1)
	v_add_nc_u64_e32 v[6:7], v[22:23], v[54:55]
	v_add_nc_u64_e32 v[116:117], -1, v[6:7]
; %bb.1877:                             ;   in Loop: Header=BB6_128 Depth=2
	s_or_b32 exec_lo, exec_lo, s43
	v_add_nc_u32_e32 v1, 0xffffff81, v1
	v_lshrrev_b32_e32 v5, 23, v22
	s_mov_b32 s10, exec_lo
	s_delay_alu instid0(VALU_DEP_2) | instskip(NEXT) | instid1(VALU_DEP_1)
	v_cndmask_b32_e64 v1, v1, 0xffffff82, vcc_lo
	v_add3_u32 v5, v4, v1, v5
	v_and_b32_e32 v1, 0xfffff, v116
	s_delay_alu instid0(VALU_DEP_1) | instskip(NEXT) | instid1(VALU_DEP_1)
	v_dual_add_nc_u32 v4, 6, v5 :: v_dual_add_nc_u32 v54, v1, v22
                                        ; implicit-def: $vgpr22_vgpr23
                                        ; implicit-def: $vgpr1
	v_cmpx_ne_u32_e32 0, v4
	s_xor_b32 s10, exec_lo, s10
; %bb.1878:                             ;   in Loop: Header=BB6_128 Depth=2
	s_delay_alu instid0(VALU_DEP_2) | instskip(SKIP_1) | instid1(VALU_DEP_1)
	v_cmp_lt_u64_e32 vcc_lo, 0xffffff, v[54:55]
	v_add_nc_u32_e32 v1, 7, v5
	v_cndmask_b32_e32 v1, v4, v1, vcc_lo
	v_cndmask_b32_e64 v4, 0, 1, vcc_lo
	s_delay_alu instid0(VALU_DEP_1)
	v_lshrrev_b64 v[22:23], v4, v[54:55]
; %bb.1879:                             ;   in Loop: Header=BB6_128 Depth=2
	s_and_not1_saveexec_b32 s10, s10
; %bb.1880:                             ;   in Loop: Header=BB6_128 Depth=2
	v_mov_b64_e32 v[22:23], v[54:55]
	v_bfe_u32 v1, v54, 23, 1
; %bb.1881:                             ;   in Loop: Header=BB6_128 Depth=2
	s_or_b32 exec_lo, exec_lo, s10
	s_delay_alu instid0(VALU_DEP_2) | instskip(NEXT) | instid1(VALU_DEP_2)
	v_lshrrev_b64 v[4:5], 20, v[22:23]
	v_cmp_gt_i32_e32 vcc_lo, 16, v1
	v_min_i32_e32 v6, 15, v1
	v_cmp_eq_u32_e64 s10, 0, v1
	s_delay_alu instid0(VALU_DEP_2) | instskip(SKIP_1) | instid1(VALU_DEP_2)
	v_dual_cndmask_b32 v4, 7, v4, vcc_lo :: v_dual_lshlrev_b32 v6, 3, v6
	v_cndmask_b32_e32 v5, 0, v5, vcc_lo
	v_and_b32_e32 v6, 0xf8, v6
	s_delay_alu instid0(VALU_DEP_2) | instskip(NEXT) | instid1(VALU_DEP_2)
	v_cmp_eq_u64_e32 vcc_lo, 0, v[4:5]
	v_and_or_b32 v1, v4, 7, v6
	s_and_b32 s10, s10, vcc_lo
	s_delay_alu instid0(VALU_DEP_1) | instid1(SALU_CYCLE_1)
	v_cndmask_b32_e64 v1, v1, 0, s10
	s_delay_alu instid0(VALU_DEP_1)
	v_or_b32_e32 v119, v1, v0
.LBB6_1882:                             ;   in Loop: Header=BB6_128 Depth=2
	s_or_b32 exec_lo, exec_lo, s42
                                        ; implicit-def: $vgpr0
.LBB6_1883:                             ;   in Loop: Header=BB6_128 Depth=2
	s_and_not1_saveexec_b32 s10, s41
; %bb.1884:                             ;   in Loop: Header=BB6_128 Depth=2
	v_or_b32_e32 v119, 0x7e, v0
; %bb.1885:                             ;   in Loop: Header=BB6_128 Depth=2
	s_or_b32 exec_lo, exec_lo, s10
                                        ; implicit-def: $vgpr0
.LBB6_1886:                             ;   in Loop: Header=BB6_128 Depth=2
	s_and_not1_saveexec_b32 s10, s40
; %bb.1887:                             ;   in Loop: Header=BB6_128 Depth=2
	v_or_b32_e32 v119, 0x7f, v0
; %bb.1888:                             ;   in Loop: Header=BB6_128 Depth=2
	s_or_b32 exec_lo, exec_lo, s10
	v_lshl_or_b32 v0, v101, 8, v29
	v_dual_lshlrev_b32 v1, 16, v108 :: v_dual_lshlrev_b32 v4, 24, v111
	s_mov_b32 s10, exec_lo
	s_delay_alu instid0(VALU_DEP_1)
	v_or3_b32 v54, v1, v4, v0
	v_dual_mov_b32 v1, 0 :: v_dual_mov_b32 v4, 0
	v_cmpx_ne_u32_e32 0, v29
	s_cbranch_execz .LBB6_1894
; %bb.1889:                             ;   in Loop: Header=BB6_128 Depth=2
	v_bfrev_b32_e32 v4, 1
	s_mov_b32 s40, exec_lo
	v_cmpx_ne_u32_e32 0x80, v29
	s_cbranch_execz .LBB6_1893
; %bb.1890:                             ;   in Loop: Header=BB6_128 Depth=2
	v_and_b32_e32 v5, 0x7f, v29
	v_mov_b32_e32 v4, 0x7f800001
	s_mov_b32 s41, exec_lo
	s_delay_alu instid0(VALU_DEP_2)
	v_cmpx_ne_u32_e32 0x7f, v5
	s_cbranch_execz .LBB6_1892
; %bb.1891:                             ;   in Loop: Header=BB6_128 Depth=2
	v_and_b32_e32 v4, 7, v29
	v_cmp_gt_u32_e32 vcc_lo, 8, v5
	s_delay_alu instid0(VALU_DEP_2) | instskip(NEXT) | instid1(VALU_DEP_1)
	v_clz_i32_u32_e32 v4, v4
	v_min_u32_e32 v4, 32, v4
	v_lshrrev_b32_e32 v6, 3, v5
	s_delay_alu instid0(VALU_DEP_2) | instskip(SKIP_1) | instid1(VALU_DEP_1)
	v_subrev_nc_u32_e32 v5, 28, v4
	v_sub_nc_u32_e32 v4, 29, v4
	v_dual_cndmask_b32 v6, v6, v4, vcc_lo :: v_dual_cndmask_b32 v4, 0, v5, vcc_lo
	s_delay_alu instid0(VALU_DEP_1) | instskip(NEXT) | instid1(VALU_DEP_2)
	v_lshl_add_u32 v6, v6, 23, 0x3c000000
	v_lshlrev_b64_e32 v[4:5], v4, v[54:55]
	v_lshlrev_b32_e32 v5, 24, v54
	s_delay_alu instid0(VALU_DEP_1) | instskip(NEXT) | instid1(VALU_DEP_3)
	v_and_b32_e32 v5, 0x80000000, v5
	v_lshlrev_b32_e32 v4, 20, v4
	s_delay_alu instid0(VALU_DEP_1) | instskip(NEXT) | instid1(VALU_DEP_1)
	v_and_b32_e32 v4, 0x700000, v4
	v_or3_b32 v4, v4, v5, v6
.LBB6_1892:                             ;   in Loop: Header=BB6_128 Depth=2
	s_or_b32 exec_lo, exec_lo, s41
.LBB6_1893:                             ;   in Loop: Header=BB6_128 Depth=2
	s_delay_alu instid0(SALU_CYCLE_1)
	s_or_b32 exec_lo, exec_lo, s40
.LBB6_1894:                             ;   in Loop: Header=BB6_128 Depth=2
	s_delay_alu instid0(SALU_CYCLE_1) | instskip(SKIP_2) | instid1(VALU_DEP_1)
	s_or_b32 exec_lo, exec_lo, s10
	v_and_b32_e32 v5, 0xff, v24
	s_mov_b32 s10, exec_lo
	v_cmpx_ne_u16_e32 0, v5
	s_cbranch_execz .LBB6_1900
; %bb.1895:                             ;   in Loop: Header=BB6_128 Depth=2
	v_bfrev_b32_e32 v1, 1
	s_mov_b32 s40, exec_lo
	v_cmpx_ne_u16_e32 0x80, v5
	s_cbranch_execz .LBB6_1899
; %bb.1896:                             ;   in Loop: Header=BB6_128 Depth=2
	v_and_b32_e32 v5, 0x7f, v24
	v_mov_b32_e32 v1, 0x7f800001
	s_mov_b32 s41, exec_lo
	s_delay_alu instid0(VALU_DEP_2)
	v_cmpx_ne_u32_e32 0x7f, v5
	s_cbranch_execz .LBB6_1898
; %bb.1897:                             ;   in Loop: Header=BB6_128 Depth=2
	v_dual_lshrrev_b32 v6, 3, v5 :: v_dual_bitop2_b32 v1, 7, v24 bitop3:0x40
	v_cmp_gt_u32_e32 vcc_lo, 8, v5
	s_delay_alu instid0(VALU_DEP_2) | instskip(NEXT) | instid1(VALU_DEP_1)
	v_clz_i32_u32_e32 v1, v1
	v_min_u32_e32 v1, 32, v1
	s_delay_alu instid0(VALU_DEP_1) | instskip(SKIP_1) | instid1(VALU_DEP_2)
	v_subrev_nc_u32_e32 v5, 28, v1
	v_sub_nc_u32_e32 v1, 29, v1
	v_cndmask_b32_e32 v5, 0, v5, vcc_lo
	s_delay_alu instid0(VALU_DEP_2) | instskip(NEXT) | instid1(VALU_DEP_2)
	v_cndmask_b32_e32 v1, v6, v1, vcc_lo
	v_lshlrev_b64_e32 v[6:7], v5, v[24:25]
	s_delay_alu instid0(VALU_DEP_1) | instskip(NEXT) | instid1(VALU_DEP_3)
	v_dual_lshlrev_b32 v5, 20, v6 :: v_dual_lshlrev_b32 v6, 24, v24
	v_lshl_add_u32 v1, v1, 23, 0x3c000000
	s_delay_alu instid0(VALU_DEP_2) | instskip(NEXT) | instid1(VALU_DEP_3)
	v_and_b32_e32 v5, 0x700000, v5
	v_and_b32_e32 v6, 0x80000000, v6
	s_delay_alu instid0(VALU_DEP_1)
	v_or3_b32 v1, v5, v6, v1
.LBB6_1898:                             ;   in Loop: Header=BB6_128 Depth=2
	s_or_b32 exec_lo, exec_lo, s41
.LBB6_1899:                             ;   in Loop: Header=BB6_128 Depth=2
	s_delay_alu instid0(SALU_CYCLE_1)
	s_or_b32 exec_lo, exec_lo, s40
.LBB6_1900:                             ;   in Loop: Header=BB6_128 Depth=2
	s_delay_alu instid0(SALU_CYCLE_1) | instskip(NEXT) | instid1(VALU_DEP_1)
	s_or_b32 exec_lo, exec_lo, s10
	v_dual_add_f32 v4, v4, v1 :: v_dual_mov_b32 v7, v55
                                        ; implicit-def: $vgpr29
	s_mov_b32 s10, exec_lo
	s_delay_alu instid0(VALU_DEP_1) | instskip(SKIP_1) | instid1(VALU_DEP_2)
	v_and_b32_e32 v6, 0x7f800000, v4
	v_lshrrev_b32_e32 v1, 24, v4
	v_cmpx_ne_u64_e32 0x7f800000, v[6:7]
	s_xor_b32 s40, exec_lo, s10
	s_cbranch_execz .LBB6_1914
; %bb.1901:                             ;   in Loop: Header=BB6_128 Depth=2
	v_and_b32_e32 v6, 0x7fffffff, v4
	v_mov_b32_e32 v7, v55
	v_and_b32_e32 v1, 0x80, v1
                                        ; implicit-def: $vgpr29
	s_mov_b32 s10, exec_lo
	s_delay_alu instid0(VALU_DEP_2)
	v_cmpx_gt_u64_e32 0x43e00001, v[6:7]
	s_xor_b32 s41, exec_lo, s10
	s_cbranch_execz .LBB6_1911
; %bb.1902:                             ;   in Loop: Header=BB6_128 Depth=2
	v_mov_b32_e32 v29, 0
	s_mov_b32 s42, exec_lo
	v_cmpx_ne_u32_e32 0, v4
	s_cbranch_execz .LBB6_1910
; %bb.1903:                             ;   in Loop: Header=BB6_128 Depth=2
	v_and_b32_e32 v6, 0x7fffff, v4
	v_bfe_u32 v4, v4, 23, 8
	s_delay_alu instid0(VALU_DEP_2) | instskip(NEXT) | instid1(VALU_DEP_2)
	v_or_b32_e32 v7, 0x800000, v6
	v_cmp_eq_u32_e32 vcc_lo, 0, v4
	v_cmp_gt_u32_e64 s10, 0x7a, v4
	s_delay_alu instid0(VALU_DEP_3) | instskip(NEXT) | instid1(VALU_DEP_1)
	v_dual_cndmask_b32 v6, v7, v6 :: v_dual_sub_nc_u32 v5, 0x79, v4
	v_dual_mov_b32 v7, v55 :: v_dual_cndmask_b32 v5, 0, v5, s10
	s_delay_alu instid0(VALU_DEP_1) | instskip(NEXT) | instid1(VALU_DEP_1)
	v_cndmask_b32_e64 v5, v5, 0x78, vcc_lo
	v_dual_add_nc_u32 v8, 20, v5 :: v_dual_add_nc_u32 v22, 19, v5
	s_delay_alu instid0(VALU_DEP_1) | instskip(NEXT) | instid1(VALU_DEP_2)
	v_lshlrev_b64_e64 v[8:9], v8, -1
	v_lshlrev_b64_e64 v[22:23], v22, 1
	s_delay_alu instid0(VALU_DEP_2) | instskip(NEXT) | instid1(VALU_DEP_3)
	v_bfi_b32 v9, v9, 0, 0
	v_bfi_b32 v8, v8, 0, v6
	s_delay_alu instid0(VALU_DEP_1) | instskip(SKIP_1) | instid1(VALU_DEP_1)
	v_cmp_eq_u64_e64 s10, v[8:9], v[22:23]
	v_lshrrev_b64 v[22:23], v5, v[6:7]
	v_mov_b64_e32 v[116:117], v[22:23]
	s_and_saveexec_b32 s43, s10
; %bb.1904:                             ;   in Loop: Header=BB6_128 Depth=2
	v_bfe_u32 v6, v22, 20, 1
	v_mov_b32_e32 v7, v55
	s_delay_alu instid0(VALU_DEP_1) | instskip(NEXT) | instid1(VALU_DEP_1)
	v_add_nc_u64_e32 v[6:7], v[22:23], v[6:7]
	v_add_nc_u64_e32 v[116:117], -1, v[6:7]
; %bb.1905:                             ;   in Loop: Header=BB6_128 Depth=2
	s_or_b32 exec_lo, exec_lo, s43
	v_dual_mov_b32 v23, v55 :: v_dual_add_nc_u32 v4, 0xffffff81, v4
	v_lshrrev_b32_e32 v6, 23, v22
	s_mov_b32 s10, exec_lo
	s_delay_alu instid0(VALU_DEP_2) | instskip(NEXT) | instid1(VALU_DEP_1)
	v_cndmask_b32_e64 v4, v4, 0xffffff82, vcc_lo
	v_add3_u32 v6, v5, v4, v6
	v_and_b32_e32 v4, 0xfffff, v116
	s_delay_alu instid0(VALU_DEP_2) | instskip(NEXT) | instid1(VALU_DEP_2)
	v_add_nc_u32_e32 v5, 6, v6
	v_add_nc_u32_e32 v22, v4, v22
                                        ; implicit-def: $vgpr4
	s_delay_alu instid0(VALU_DEP_2)
	v_cmpx_ne_u32_e32 0, v5
	s_xor_b32 s10, exec_lo, s10
; %bb.1906:                             ;   in Loop: Header=BB6_128 Depth=2
	s_delay_alu instid0(VALU_DEP_2) | instskip(SKIP_1) | instid1(VALU_DEP_1)
	v_cmp_lt_u64_e32 vcc_lo, 0xffffff, v[22:23]
	v_add_nc_u32_e32 v4, 7, v6
	v_cndmask_b32_e32 v4, v5, v4, vcc_lo
	v_cndmask_b32_e64 v5, 0, 1, vcc_lo
	s_delay_alu instid0(VALU_DEP_1)
	v_lshrrev_b64 v[22:23], v5, v[22:23]
; %bb.1907:                             ;   in Loop: Header=BB6_128 Depth=2
	s_and_not1_saveexec_b32 s10, s10
; %bb.1908:                             ;   in Loop: Header=BB6_128 Depth=2
	s_delay_alu instid0(VALU_DEP_1)
	v_bfe_u32 v4, v22, 23, 1
; %bb.1909:                             ;   in Loop: Header=BB6_128 Depth=2
	s_or_b32 exec_lo, exec_lo, s10
	s_delay_alu instid0(VALU_DEP_2) | instskip(NEXT) | instid1(VALU_DEP_2)
	v_lshrrev_b64 v[6:7], 20, v[22:23]
	v_cmp_gt_i32_e32 vcc_lo, 16, v4
	v_min_i32_e32 v5, 15, v4
	v_cmp_eq_u32_e64 s10, 0, v4
	s_delay_alu instid0(VALU_DEP_2) | instskip(SKIP_1) | instid1(VALU_DEP_2)
	v_dual_cndmask_b32 v7, 0, v7, vcc_lo :: v_dual_lshlrev_b32 v5, 3, v5
	v_cndmask_b32_e32 v6, 7, v6, vcc_lo
	v_and_b32_e32 v5, 0xf8, v5
	s_delay_alu instid0(VALU_DEP_2) | instskip(NEXT) | instid1(VALU_DEP_2)
	v_cmp_eq_u64_e32 vcc_lo, 0, v[6:7]
	v_and_or_b32 v4, v6, 7, v5
	s_and_b32 s10, s10, vcc_lo
	s_delay_alu instid0(VALU_DEP_1) | instid1(SALU_CYCLE_1)
	v_cndmask_b32_e64 v4, v4, 0, s10
	s_delay_alu instid0(VALU_DEP_1)
	v_or_b32_e32 v29, v4, v1
.LBB6_1910:                             ;   in Loop: Header=BB6_128 Depth=2
	s_or_b32 exec_lo, exec_lo, s42
                                        ; implicit-def: $vgpr1
.LBB6_1911:                             ;   in Loop: Header=BB6_128 Depth=2
	s_and_not1_saveexec_b32 s10, s41
; %bb.1912:                             ;   in Loop: Header=BB6_128 Depth=2
	v_or_b32_e32 v29, 0x7e, v1
; %bb.1913:                             ;   in Loop: Header=BB6_128 Depth=2
	s_or_b32 exec_lo, exec_lo, s10
                                        ; implicit-def: $vgpr1
.LBB6_1914:                             ;   in Loop: Header=BB6_128 Depth=2
	s_and_not1_saveexec_b32 s10, s40
; %bb.1915:                             ;   in Loop: Header=BB6_128 Depth=2
	v_or_b32_e32 v29, 0x7f, v1
; %bb.1916:                             ;   in Loop: Header=BB6_128 Depth=2
	s_or_b32 exec_lo, exec_lo, s10
	v_lshrrev_b16 v5, 8, v0
	v_dual_mov_b32 v1, 0 :: v_dual_mov_b32 v4, 0
	s_mov_b32 s10, exec_lo
	s_delay_alu instid0(VALU_DEP_2)
	v_cmpx_ne_u16_e32 0, v5
	s_cbranch_execz .LBB6_1924
; %bb.1917:                             ;   in Loop: Header=BB6_128 Depth=2
	v_bfrev_b32_e32 v4, 1
	s_mov_b32 s40, exec_lo
	v_cmpx_ne_u16_e32 0x80, v5
	s_cbranch_execz .LBB6_1923
; %bb.1918:                             ;   in Loop: Header=BB6_128 Depth=2
	v_and_b32_e32 v6, 0xffff, v5
	v_mov_b32_e32 v4, 0x7f800001
	s_mov_b32 s41, exec_lo
	s_delay_alu instid0(VALU_DEP_2) | instskip(NEXT) | instid1(VALU_DEP_1)
	v_and_b32_e32 v5, 0x7f, v6
	v_cmpx_ne_u32_e32 0x7f, v5
	s_cbranch_execz .LBB6_1922
; %bb.1919:                             ;   in Loop: Header=BB6_128 Depth=2
	v_dual_mov_b32 v23, v55 :: v_dual_bitop2_b32 v22, 7, v6 bitop3:0x40
	v_lshrrev_b32_e32 v4, 3, v5
	s_mov_b32 s42, exec_lo
	v_cmpx_gt_u32_e32 8, v5
; %bb.1920:                             ;   in Loop: Header=BB6_128 Depth=2
	s_delay_alu instid0(VALU_DEP_3) | instskip(NEXT) | instid1(VALU_DEP_1)
	v_clz_i32_u32_e32 v4, v22
	v_min_u32_e32 v4, 32, v4
	s_delay_alu instid0(VALU_DEP_1) | instskip(NEXT) | instid1(VALU_DEP_1)
	v_subrev_nc_u32_e32 v5, 28, v4
	v_lshlrev_b64_e32 v[6:7], v5, v[22:23]
	s_delay_alu instid0(VALU_DEP_1)
	v_dual_sub_nc_u32 v4, 29, v4 :: v_dual_bitop2_b32 v22, 7, v6 bitop3:0x40
; %bb.1921:                             ;   in Loop: Header=BB6_128 Depth=2
	s_or_b32 exec_lo, exec_lo, s42
	s_delay_alu instid0(VALU_DEP_1) | instskip(NEXT) | instid1(VALU_DEP_2)
	v_dual_lshlrev_b32 v0, 16, v0 :: v_dual_lshlrev_b32 v5, 20, v22
	v_lshl_add_u32 v4, v4, 23, 0x3c000000
	s_delay_alu instid0(VALU_DEP_2) | instskip(NEXT) | instid1(VALU_DEP_1)
	v_and_b32_e32 v0, 0x80000000, v0
	v_or3_b32 v4, v5, v0, v4
.LBB6_1922:                             ;   in Loop: Header=BB6_128 Depth=2
	s_or_b32 exec_lo, exec_lo, s41
.LBB6_1923:                             ;   in Loop: Header=BB6_128 Depth=2
	s_delay_alu instid0(SALU_CYCLE_1)
	s_or_b32 exec_lo, exec_lo, s40
.LBB6_1924:                             ;   in Loop: Header=BB6_128 Depth=2
	s_delay_alu instid0(SALU_CYCLE_1) | instskip(SKIP_2) | instid1(VALU_DEP_1)
	s_or_b32 exec_lo, exec_lo, s10
	v_lshrrev_b16 v0, 8, v24
	s_mov_b32 s10, exec_lo
	v_cmpx_ne_u16_e32 0, v0
	s_cbranch_execz .LBB6_1932
; %bb.1925:                             ;   in Loop: Header=BB6_128 Depth=2
	v_bfrev_b32_e32 v1, 1
	s_mov_b32 s40, exec_lo
	v_cmpx_ne_u16_e32 0x80, v0
	s_cbranch_execz .LBB6_1931
; %bb.1926:                             ;   in Loop: Header=BB6_128 Depth=2
	v_and_b32_e32 v0, 0xffff, v0
	v_mov_b32_e32 v1, 0x7f800001
	s_mov_b32 s41, exec_lo
	s_delay_alu instid0(VALU_DEP_2) | instskip(NEXT) | instid1(VALU_DEP_1)
	v_and_b32_e32 v5, 0x7f, v0
	v_cmpx_ne_u32_e32 0x7f, v5
	s_cbranch_execz .LBB6_1930
; %bb.1927:                             ;   in Loop: Header=BB6_128 Depth=2
	v_dual_mov_b32 v23, v55 :: v_dual_bitop2_b32 v22, 7, v0 bitop3:0x40
	v_lshrrev_b32_e32 v0, 3, v5
	s_mov_b32 s42, exec_lo
	v_cmpx_gt_u32_e32 8, v5
; %bb.1928:                             ;   in Loop: Header=BB6_128 Depth=2
	s_delay_alu instid0(VALU_DEP_3) | instskip(NEXT) | instid1(VALU_DEP_1)
	v_clz_i32_u32_e32 v0, v22
	v_min_u32_e32 v0, 32, v0
	s_delay_alu instid0(VALU_DEP_1) | instskip(NEXT) | instid1(VALU_DEP_1)
	v_subrev_nc_u32_e32 v1, 28, v0
	v_lshlrev_b64_e32 v[6:7], v1, v[22:23]
	s_delay_alu instid0(VALU_DEP_1)
	v_dual_sub_nc_u32 v0, 29, v0 :: v_dual_bitop2_b32 v22, 7, v6 bitop3:0x40
; %bb.1929:                             ;   in Loop: Header=BB6_128 Depth=2
	s_or_b32 exec_lo, exec_lo, s42
	s_delay_alu instid0(VALU_DEP_1) | instskip(NEXT) | instid1(VALU_DEP_2)
	v_dual_lshlrev_b32 v1, 16, v24 :: v_dual_lshlrev_b32 v5, 20, v22
	v_lshl_add_u32 v0, v0, 23, 0x3c000000
	s_delay_alu instid0(VALU_DEP_2) | instskip(NEXT) | instid1(VALU_DEP_1)
	v_and_b32_e32 v1, 0x80000000, v1
	v_or3_b32 v1, v5, v1, v0
.LBB6_1930:                             ;   in Loop: Header=BB6_128 Depth=2
	s_or_b32 exec_lo, exec_lo, s41
.LBB6_1931:                             ;   in Loop: Header=BB6_128 Depth=2
	s_delay_alu instid0(SALU_CYCLE_1)
	s_or_b32 exec_lo, exec_lo, s40
.LBB6_1932:                             ;   in Loop: Header=BB6_128 Depth=2
	s_delay_alu instid0(SALU_CYCLE_1) | instskip(NEXT) | instid1(VALU_DEP_1)
	s_or_b32 exec_lo, exec_lo, s10
	v_dual_add_f32 v1, v4, v1 :: v_dual_mov_b32 v5, v55
                                        ; implicit-def: $vgpr108
	s_mov_b32 s10, exec_lo
	s_delay_alu instid0(VALU_DEP_1) | instskip(SKIP_1) | instid1(VALU_DEP_2)
	v_and_b32_e32 v4, 0x7f800000, v1
	v_lshrrev_b32_e32 v0, 24, v1
	v_cmpx_ne_u64_e32 0x7f800000, v[4:5]
	s_xor_b32 s40, exec_lo, s10
	s_cbranch_execz .LBB6_1946
; %bb.1933:                             ;   in Loop: Header=BB6_128 Depth=2
	v_and_b32_e32 v4, 0x7fffffff, v1
	v_mov_b32_e32 v5, v55
	v_and_b32_e32 v0, 0x80, v0
                                        ; implicit-def: $vgpr108
	s_mov_b32 s10, exec_lo
	s_delay_alu instid0(VALU_DEP_2)
	v_cmpx_gt_u64_e32 0x43e00001, v[4:5]
	s_xor_b32 s41, exec_lo, s10
	s_cbranch_execz .LBB6_1943
; %bb.1934:                             ;   in Loop: Header=BB6_128 Depth=2
	v_mov_b32_e32 v108, 0
	s_mov_b32 s42, exec_lo
	v_cmpx_ne_u32_e32 0, v1
	s_cbranch_execz .LBB6_1942
; %bb.1935:                             ;   in Loop: Header=BB6_128 Depth=2
	v_and_b32_e32 v5, 0x7fffff, v1
	v_bfe_u32 v1, v1, 23, 8
	v_mov_b32_e32 v7, v55
	s_delay_alu instid0(VALU_DEP_3) | instskip(NEXT) | instid1(VALU_DEP_3)
	v_or_b32_e32 v6, 0x800000, v5
	v_cmp_gt_u32_e64 s10, 0x7a, v1
	v_sub_nc_u32_e32 v4, 0x79, v1
	v_cmp_eq_u32_e32 vcc_lo, 0, v1
	s_delay_alu instid0(VALU_DEP_2) | instskip(NEXT) | instid1(VALU_DEP_1)
	v_dual_cndmask_b32 v4, 0, v4, s10 :: v_dual_cndmask_b32 v6, v6, v5, vcc_lo
	v_cndmask_b32_e64 v4, v4, 0x78, vcc_lo
	s_delay_alu instid0(VALU_DEP_1) | instskip(NEXT) | instid1(VALU_DEP_1)
	v_add_nc_u32_e32 v5, 20, v4
	v_lshlrev_b64_e64 v[8:9], v5, -1
	v_add_nc_u32_e32 v5, 19, v4
	s_delay_alu instid0(VALU_DEP_1) | instskip(NEXT) | instid1(VALU_DEP_3)
	v_lshlrev_b64_e64 v[22:23], v5, 1
	v_bfi_b32 v9, v9, 0, 0
	s_delay_alu instid0(VALU_DEP_4) | instskip(NEXT) | instid1(VALU_DEP_1)
	v_bfi_b32 v8, v8, 0, v6
	v_cmp_eq_u64_e64 s10, v[8:9], v[22:23]
	v_lshrrev_b64 v[22:23], v4, v[6:7]
	s_delay_alu instid0(VALU_DEP_1)
	v_mov_b64_e32 v[116:117], v[22:23]
	s_and_saveexec_b32 s43, s10
; %bb.1936:                             ;   in Loop: Header=BB6_128 Depth=2
	v_bfe_u32 v6, v22, 20, 1
	v_mov_b32_e32 v7, v55
	s_delay_alu instid0(VALU_DEP_1) | instskip(NEXT) | instid1(VALU_DEP_1)
	v_add_nc_u64_e32 v[6:7], v[22:23], v[6:7]
	v_add_nc_u64_e32 v[116:117], -1, v[6:7]
; %bb.1937:                             ;   in Loop: Header=BB6_128 Depth=2
	s_or_b32 exec_lo, exec_lo, s43
	v_add_nc_u32_e32 v1, 0xffffff81, v1
	v_lshrrev_b32_e32 v5, 23, v22
	s_mov_b32 s10, exec_lo
	v_mov_b32_e32 v23, v55
	s_delay_alu instid0(VALU_DEP_3) | instskip(NEXT) | instid1(VALU_DEP_1)
	v_cndmask_b32_e64 v1, v1, 0xffffff82, vcc_lo
	v_add3_u32 v5, v4, v1, v5
	v_and_b32_e32 v1, 0xfffff, v116
	s_delay_alu instid0(VALU_DEP_1) | instskip(NEXT) | instid1(VALU_DEP_1)
	v_dual_add_nc_u32 v4, 6, v5 :: v_dual_add_nc_u32 v22, v1, v22
                                        ; implicit-def: $vgpr1
	v_cmpx_ne_u32_e32 0, v4
	s_xor_b32 s10, exec_lo, s10
; %bb.1938:                             ;   in Loop: Header=BB6_128 Depth=2
	s_delay_alu instid0(VALU_DEP_2) | instskip(SKIP_1) | instid1(VALU_DEP_1)
	v_cmp_lt_u64_e32 vcc_lo, 0xffffff, v[22:23]
	v_add_nc_u32_e32 v1, 7, v5
	v_cndmask_b32_e32 v1, v4, v1, vcc_lo
	v_cndmask_b32_e64 v4, 0, 1, vcc_lo
	s_delay_alu instid0(VALU_DEP_1)
	v_lshrrev_b64 v[22:23], v4, v[22:23]
; %bb.1939:                             ;   in Loop: Header=BB6_128 Depth=2
	s_and_not1_saveexec_b32 s10, s10
; %bb.1940:                             ;   in Loop: Header=BB6_128 Depth=2
	s_delay_alu instid0(VALU_DEP_1)
	v_bfe_u32 v1, v22, 23, 1
; %bb.1941:                             ;   in Loop: Header=BB6_128 Depth=2
	s_or_b32 exec_lo, exec_lo, s10
	s_delay_alu instid0(VALU_DEP_2) | instskip(NEXT) | instid1(VALU_DEP_2)
	v_lshrrev_b64 v[4:5], 20, v[22:23]
	v_cmp_gt_i32_e32 vcc_lo, 16, v1
	v_min_i32_e32 v6, 15, v1
	v_cmp_eq_u32_e64 s10, 0, v1
	s_delay_alu instid0(VALU_DEP_2) | instskip(SKIP_1) | instid1(VALU_DEP_2)
	v_dual_cndmask_b32 v4, 7, v4, vcc_lo :: v_dual_lshlrev_b32 v6, 3, v6
	v_cndmask_b32_e32 v5, 0, v5, vcc_lo
	v_and_b32_e32 v6, 0xf8, v6
	s_delay_alu instid0(VALU_DEP_2) | instskip(NEXT) | instid1(VALU_DEP_2)
	v_cmp_eq_u64_e32 vcc_lo, 0, v[4:5]
	v_and_or_b32 v1, v4, 7, v6
	s_and_b32 s10, s10, vcc_lo
	s_delay_alu instid0(VALU_DEP_1) | instid1(SALU_CYCLE_1)
	v_cndmask_b32_e64 v1, v1, 0, s10
	s_delay_alu instid0(VALU_DEP_1)
	v_or_b32_e32 v108, v1, v0
.LBB6_1942:                             ;   in Loop: Header=BB6_128 Depth=2
	s_or_b32 exec_lo, exec_lo, s42
                                        ; implicit-def: $vgpr0
.LBB6_1943:                             ;   in Loop: Header=BB6_128 Depth=2
	s_and_not1_saveexec_b32 s10, s41
; %bb.1944:                             ;   in Loop: Header=BB6_128 Depth=2
	v_or_b32_e32 v108, 0x7e, v0
; %bb.1945:                             ;   in Loop: Header=BB6_128 Depth=2
	s_or_b32 exec_lo, exec_lo, s10
                                        ; implicit-def: $vgpr0
.LBB6_1946:                             ;   in Loop: Header=BB6_128 Depth=2
	s_and_not1_saveexec_b32 s10, s40
; %bb.1947:                             ;   in Loop: Header=BB6_128 Depth=2
	v_or_b32_e32 v108, 0x7f, v0
; %bb.1948:                             ;   in Loop: Header=BB6_128 Depth=2
	s_or_b32 exec_lo, exec_lo, s10
	v_dual_lshrrev_b32 v4, 16, v54 :: v_dual_mov_b32 v0, 0
	v_mov_b32_e32 v1, 0
	s_mov_b32 s10, exec_lo
	s_delay_alu instid0(VALU_DEP_2) | instskip(NEXT) | instid1(VALU_DEP_1)
	v_and_b32_e32 v5, 0xff, v4
	v_cmpx_ne_u16_e32 0, v5
	s_cbranch_execz .LBB6_1956
; %bb.1949:                             ;   in Loop: Header=BB6_128 Depth=2
	v_bfrev_b32_e32 v1, 1
	s_mov_b32 s40, exec_lo
	v_cmpx_ne_u16_e32 0x80, v5
	s_cbranch_execz .LBB6_1955
; %bb.1950:                             ;   in Loop: Header=BB6_128 Depth=2
	v_bfe_u32 v5, v54, 16, 7
	v_mov_b32_e32 v1, 0x7f800001
	s_mov_b32 s41, exec_lo
	s_delay_alu instid0(VALU_DEP_2)
	v_cmpx_ne_u32_e32 0x7f, v5
	s_cbranch_execz .LBB6_1954
; %bb.1951:                             ;   in Loop: Header=BB6_128 Depth=2
	v_dual_mov_b32 v23, v55 :: v_dual_bitop2_b32 v22, 7, v4 bitop3:0x40
	v_lshrrev_b32_e32 v1, 3, v5
	s_mov_b32 s42, exec_lo
	v_cmpx_gt_u32_e32 8, v5
; %bb.1952:                             ;   in Loop: Header=BB6_128 Depth=2
	s_delay_alu instid0(VALU_DEP_3) | instskip(NEXT) | instid1(VALU_DEP_1)
	v_clz_i32_u32_e32 v1, v22
	v_min_u32_e32 v1, 32, v1
	s_delay_alu instid0(VALU_DEP_1) | instskip(NEXT) | instid1(VALU_DEP_1)
	v_subrev_nc_u32_e32 v5, 28, v1
	v_lshlrev_b64_e32 v[6:7], v5, v[22:23]
	s_delay_alu instid0(VALU_DEP_1)
	v_dual_sub_nc_u32 v1, 29, v1 :: v_dual_bitop2_b32 v22, 7, v6 bitop3:0x40
; %bb.1953:                             ;   in Loop: Header=BB6_128 Depth=2
	s_or_b32 exec_lo, exec_lo, s42
	s_delay_alu instid0(VALU_DEP_1) | instskip(NEXT) | instid1(VALU_DEP_2)
	v_dual_lshlrev_b32 v4, 24, v4 :: v_dual_lshlrev_b32 v5, 20, v22
	v_lshl_add_u32 v1, v1, 23, 0x3c000000
	s_delay_alu instid0(VALU_DEP_2) | instskip(NEXT) | instid1(VALU_DEP_1)
	v_and_b32_e32 v4, 0x80000000, v4
	v_or3_b32 v1, v5, v4, v1
.LBB6_1954:                             ;   in Loop: Header=BB6_128 Depth=2
	s_or_b32 exec_lo, exec_lo, s41
.LBB6_1955:                             ;   in Loop: Header=BB6_128 Depth=2
	s_delay_alu instid0(SALU_CYCLE_1)
	s_or_b32 exec_lo, exec_lo, s40
.LBB6_1956:                             ;   in Loop: Header=BB6_128 Depth=2
	s_delay_alu instid0(SALU_CYCLE_1) | instskip(SKIP_2) | instid1(VALU_DEP_1)
	s_or_b32 exec_lo, exec_lo, s10
	v_lshrrev_b32_e32 v4, 16, v24
	s_mov_b32 s10, exec_lo
	v_and_b32_e32 v5, 0xff, v4
	s_delay_alu instid0(VALU_DEP_1)
	v_cmpx_ne_u16_e32 0, v5
	s_cbranch_execz .LBB6_1964
; %bb.1957:                             ;   in Loop: Header=BB6_128 Depth=2
	v_bfrev_b32_e32 v0, 1
	s_mov_b32 s40, exec_lo
	v_cmpx_ne_u16_e32 0x80, v5
	s_cbranch_execz .LBB6_1963
; %bb.1958:                             ;   in Loop: Header=BB6_128 Depth=2
	v_bfe_u32 v5, v24, 16, 7
	v_mov_b32_e32 v0, 0x7f800001
	s_mov_b32 s41, exec_lo
	s_delay_alu instid0(VALU_DEP_2)
	v_cmpx_ne_u32_e32 0x7f, v5
	s_cbranch_execz .LBB6_1962
; %bb.1959:                             ;   in Loop: Header=BB6_128 Depth=2
	v_dual_mov_b32 v23, v55 :: v_dual_bitop2_b32 v22, 7, v4 bitop3:0x40
	v_lshrrev_b32_e32 v0, 3, v5
	s_mov_b32 s42, exec_lo
	v_cmpx_gt_u32_e32 8, v5
; %bb.1960:                             ;   in Loop: Header=BB6_128 Depth=2
	s_delay_alu instid0(VALU_DEP_3) | instskip(NEXT) | instid1(VALU_DEP_1)
	v_clz_i32_u32_e32 v0, v22
	v_min_u32_e32 v0, 32, v0
	s_delay_alu instid0(VALU_DEP_1) | instskip(SKIP_1) | instid1(VALU_DEP_2)
	v_subrev_nc_u32_e32 v4, 28, v0
	v_sub_nc_u32_e32 v0, 29, v0
	v_lshlrev_b64_e32 v[4:5], v4, v[22:23]
	s_delay_alu instid0(VALU_DEP_1)
	v_and_b32_e32 v22, 7, v4
; %bb.1961:                             ;   in Loop: Header=BB6_128 Depth=2
	s_or_b32 exec_lo, exec_lo, s42
	s_delay_alu instid0(VALU_DEP_1) | instskip(SKIP_1) | instid1(VALU_DEP_2)
	v_dual_lshlrev_b32 v4, 8, v24 :: v_dual_lshlrev_b32 v5, 20, v22
	v_lshl_add_u32 v0, v0, 23, 0x3c000000
	v_and_b32_e32 v4, 0x80000000, v4
	s_delay_alu instid0(VALU_DEP_1)
	v_or3_b32 v0, v5, v4, v0
.LBB6_1962:                             ;   in Loop: Header=BB6_128 Depth=2
	s_or_b32 exec_lo, exec_lo, s41
.LBB6_1963:                             ;   in Loop: Header=BB6_128 Depth=2
	s_delay_alu instid0(SALU_CYCLE_1)
	s_or_b32 exec_lo, exec_lo, s40
.LBB6_1964:                             ;   in Loop: Header=BB6_128 Depth=2
	s_delay_alu instid0(SALU_CYCLE_1) | instskip(NEXT) | instid1(VALU_DEP_1)
	s_or_b32 exec_lo, exec_lo, s10
	v_dual_add_f32 v1, v1, v0 :: v_dual_mov_b32 v5, v55
                                        ; implicit-def: $vgpr111
	s_mov_b32 s10, exec_lo
	s_delay_alu instid0(VALU_DEP_1) | instskip(SKIP_1) | instid1(VALU_DEP_2)
	v_and_b32_e32 v4, 0x7f800000, v1
	v_lshrrev_b32_e32 v0, 24, v1
	v_cmpx_ne_u64_e32 0x7f800000, v[4:5]
	s_xor_b32 s40, exec_lo, s10
	s_cbranch_execz .LBB6_1978
; %bb.1965:                             ;   in Loop: Header=BB6_128 Depth=2
	v_and_b32_e32 v4, 0x7fffffff, v1
	v_mov_b32_e32 v5, v55
	v_and_b32_e32 v0, 0x80, v0
                                        ; implicit-def: $vgpr111
	s_mov_b32 s10, exec_lo
	s_delay_alu instid0(VALU_DEP_2)
	v_cmpx_gt_u64_e32 0x43e00001, v[4:5]
	s_xor_b32 s41, exec_lo, s10
	s_cbranch_execz .LBB6_1975
; %bb.1966:                             ;   in Loop: Header=BB6_128 Depth=2
	v_mov_b32_e32 v111, 0
	s_mov_b32 s42, exec_lo
	v_cmpx_ne_u32_e32 0, v1
	s_cbranch_execz .LBB6_1974
; %bb.1967:                             ;   in Loop: Header=BB6_128 Depth=2
	v_and_b32_e32 v5, 0x7fffff, v1
	v_bfe_u32 v1, v1, 23, 8
	v_mov_b32_e32 v7, v55
	s_delay_alu instid0(VALU_DEP_3) | instskip(NEXT) | instid1(VALU_DEP_3)
	v_or_b32_e32 v6, 0x800000, v5
	v_cmp_gt_u32_e64 s10, 0x7a, v1
	v_sub_nc_u32_e32 v4, 0x79, v1
	v_cmp_eq_u32_e32 vcc_lo, 0, v1
	s_delay_alu instid0(VALU_DEP_2) | instskip(NEXT) | instid1(VALU_DEP_1)
	v_dual_cndmask_b32 v4, 0, v4, s10 :: v_dual_cndmask_b32 v6, v6, v5, vcc_lo
	v_cndmask_b32_e64 v4, v4, 0x78, vcc_lo
	s_delay_alu instid0(VALU_DEP_1) | instskip(NEXT) | instid1(VALU_DEP_1)
	v_add_nc_u32_e32 v5, 20, v4
	v_lshlrev_b64_e64 v[8:9], v5, -1
	v_add_nc_u32_e32 v5, 19, v4
	s_delay_alu instid0(VALU_DEP_1) | instskip(NEXT) | instid1(VALU_DEP_3)
	v_lshlrev_b64_e64 v[22:23], v5, 1
	v_bfi_b32 v9, v9, 0, 0
	s_delay_alu instid0(VALU_DEP_4) | instskip(NEXT) | instid1(VALU_DEP_1)
	v_bfi_b32 v8, v8, 0, v6
	v_cmp_eq_u64_e64 s10, v[8:9], v[22:23]
	v_lshrrev_b64 v[22:23], v4, v[6:7]
	s_delay_alu instid0(VALU_DEP_1)
	v_mov_b64_e32 v[116:117], v[22:23]
	s_and_saveexec_b32 s43, s10
; %bb.1968:                             ;   in Loop: Header=BB6_128 Depth=2
	v_bfe_u32 v6, v22, 20, 1
	v_mov_b32_e32 v7, v55
	s_delay_alu instid0(VALU_DEP_1) | instskip(NEXT) | instid1(VALU_DEP_1)
	v_add_nc_u64_e32 v[6:7], v[22:23], v[6:7]
	v_add_nc_u64_e32 v[116:117], -1, v[6:7]
; %bb.1969:                             ;   in Loop: Header=BB6_128 Depth=2
	s_or_b32 exec_lo, exec_lo, s43
	v_add_nc_u32_e32 v1, 0xffffff81, v1
	v_lshrrev_b32_e32 v5, 23, v22
	s_mov_b32 s10, exec_lo
	v_mov_b32_e32 v23, v55
	s_delay_alu instid0(VALU_DEP_3) | instskip(NEXT) | instid1(VALU_DEP_1)
	v_cndmask_b32_e64 v1, v1, 0xffffff82, vcc_lo
	v_add3_u32 v5, v4, v1, v5
	v_and_b32_e32 v1, 0xfffff, v116
	s_delay_alu instid0(VALU_DEP_1) | instskip(NEXT) | instid1(VALU_DEP_1)
	v_dual_add_nc_u32 v4, 6, v5 :: v_dual_add_nc_u32 v22, v1, v22
                                        ; implicit-def: $vgpr1
	v_cmpx_ne_u32_e32 0, v4
	s_xor_b32 s10, exec_lo, s10
; %bb.1970:                             ;   in Loop: Header=BB6_128 Depth=2
	s_delay_alu instid0(VALU_DEP_2) | instskip(SKIP_1) | instid1(VALU_DEP_1)
	v_cmp_lt_u64_e32 vcc_lo, 0xffffff, v[22:23]
	v_add_nc_u32_e32 v1, 7, v5
	v_cndmask_b32_e32 v1, v4, v1, vcc_lo
	v_cndmask_b32_e64 v4, 0, 1, vcc_lo
	s_delay_alu instid0(VALU_DEP_1)
	v_lshrrev_b64 v[22:23], v4, v[22:23]
; %bb.1971:                             ;   in Loop: Header=BB6_128 Depth=2
	s_and_not1_saveexec_b32 s10, s10
; %bb.1972:                             ;   in Loop: Header=BB6_128 Depth=2
	s_delay_alu instid0(VALU_DEP_1)
	v_bfe_u32 v1, v22, 23, 1
; %bb.1973:                             ;   in Loop: Header=BB6_128 Depth=2
	s_or_b32 exec_lo, exec_lo, s10
	s_delay_alu instid0(VALU_DEP_2) | instskip(NEXT) | instid1(VALU_DEP_2)
	v_lshrrev_b64 v[4:5], 20, v[22:23]
	v_cmp_gt_i32_e32 vcc_lo, 16, v1
	v_min_i32_e32 v6, 15, v1
	v_cmp_eq_u32_e64 s10, 0, v1
	s_delay_alu instid0(VALU_DEP_2) | instskip(SKIP_1) | instid1(VALU_DEP_2)
	v_dual_cndmask_b32 v4, 7, v4, vcc_lo :: v_dual_lshlrev_b32 v6, 3, v6
	v_cndmask_b32_e32 v5, 0, v5, vcc_lo
	v_and_b32_e32 v6, 0xf8, v6
	s_delay_alu instid0(VALU_DEP_2) | instskip(NEXT) | instid1(VALU_DEP_2)
	v_cmp_eq_u64_e32 vcc_lo, 0, v[4:5]
	v_and_or_b32 v1, v4, 7, v6
	s_and_b32 s10, s10, vcc_lo
	s_delay_alu instid0(VALU_DEP_1) | instid1(SALU_CYCLE_1)
	v_cndmask_b32_e64 v1, v1, 0, s10
	s_delay_alu instid0(VALU_DEP_1)
	v_or_b32_e32 v111, v1, v0
.LBB6_1974:                             ;   in Loop: Header=BB6_128 Depth=2
	s_or_b32 exec_lo, exec_lo, s42
                                        ; implicit-def: $vgpr0
.LBB6_1975:                             ;   in Loop: Header=BB6_128 Depth=2
	s_and_not1_saveexec_b32 s10, s41
; %bb.1976:                             ;   in Loop: Header=BB6_128 Depth=2
	v_or_b32_e32 v111, 0x7e, v0
; %bb.1977:                             ;   in Loop: Header=BB6_128 Depth=2
	s_or_b32 exec_lo, exec_lo, s10
                                        ; implicit-def: $vgpr0
.LBB6_1978:                             ;   in Loop: Header=BB6_128 Depth=2
	s_and_not1_saveexec_b32 s10, s40
; %bb.1979:                             ;   in Loop: Header=BB6_128 Depth=2
	v_or_b32_e32 v111, 0x7f, v0
; %bb.1980:                             ;   in Loop: Header=BB6_128 Depth=2
	s_or_b32 exec_lo, exec_lo, s10
	v_dual_mov_b32 v0, 0 :: v_dual_mov_b32 v1, 0
	s_mov_b32 s10, exec_lo
	v_cmpx_lt_u32_e32 0xffffff, v54
	s_cbranch_execz .LBB6_1988
; %bb.1981:                             ;   in Loop: Header=BB6_128 Depth=2
	v_lshrrev_b32_e32 v4, 24, v54
	v_bfrev_b32_e32 v1, 1
	s_mov_b32 s40, exec_lo
	s_delay_alu instid0(VALU_DEP_2)
	v_cmpx_ne_u32_e32 0x80, v4
	s_cbranch_execz .LBB6_1987
; %bb.1982:                             ;   in Loop: Header=BB6_128 Depth=2
	v_bfe_u32 v5, v54, 24, 7
	v_mov_b32_e32 v1, 0x7f800001
	s_mov_b32 s41, exec_lo
	s_delay_alu instid0(VALU_DEP_2)
	v_cmpx_ne_u32_e32 0x7f, v5
	s_cbranch_execz .LBB6_1986
; %bb.1983:                             ;   in Loop: Header=BB6_128 Depth=2
	v_dual_lshrrev_b32 v1, 3, v5 :: v_dual_bitop2_b32 v54, 7, v4 bitop3:0x40
	s_mov_b32 s42, exec_lo
	s_delay_alu instid0(VALU_DEP_1)
	v_mov_b64_e32 v[22:23], v[54:55]
	v_cmpx_gt_u32_e32 8, v5
; %bb.1984:                             ;   in Loop: Header=BB6_128 Depth=2
	v_clz_i32_u32_e32 v1, v54
	s_delay_alu instid0(VALU_DEP_1) | instskip(NEXT) | instid1(VALU_DEP_1)
	v_min_u32_e32 v1, 32, v1
	v_subrev_nc_u32_e32 v5, 28, v1
	s_delay_alu instid0(VALU_DEP_1) | instskip(NEXT) | instid1(VALU_DEP_1)
	v_lshlrev_b64_e32 v[6:7], v5, v[54:55]
	v_dual_sub_nc_u32 v1, 29, v1 :: v_dual_bitop2_b32 v22, 7, v6 bitop3:0x40
; %bb.1985:                             ;   in Loop: Header=BB6_128 Depth=2
	s_or_b32 exec_lo, exec_lo, s42
	s_delay_alu instid0(VALU_DEP_1) | instskip(NEXT) | instid1(VALU_DEP_2)
	v_dual_lshlrev_b32 v4, 24, v4 :: v_dual_lshlrev_b32 v5, 20, v22
	v_lshl_add_u32 v1, v1, 23, 0x3c000000
	s_delay_alu instid0(VALU_DEP_2) | instskip(NEXT) | instid1(VALU_DEP_1)
	v_and_b32_e32 v4, 0x80000000, v4
	v_or3_b32 v1, v5, v4, v1
.LBB6_1986:                             ;   in Loop: Header=BB6_128 Depth=2
	s_or_b32 exec_lo, exec_lo, s41
.LBB6_1987:                             ;   in Loop: Header=BB6_128 Depth=2
	s_delay_alu instid0(SALU_CYCLE_1)
	s_or_b32 exec_lo, exec_lo, s40
.LBB6_1988:                             ;   in Loop: Header=BB6_128 Depth=2
	s_delay_alu instid0(SALU_CYCLE_1) | instskip(NEXT) | instid1(SALU_CYCLE_1)
	s_or_b32 exec_lo, exec_lo, s10
	s_mov_b32 s10, exec_lo
	v_cmpx_lt_u32_e32 0xffffff, v24
	s_cbranch_execz .LBB6_1996
; %bb.1989:                             ;   in Loop: Header=BB6_128 Depth=2
	v_lshrrev_b32_e32 v4, 24, v24
	v_bfrev_b32_e32 v0, 1
	s_mov_b32 s40, exec_lo
	s_delay_alu instid0(VALU_DEP_2)
	v_cmpx_ne_u32_e32 0x80, v4
	s_cbranch_execz .LBB6_1995
; %bb.1990:                             ;   in Loop: Header=BB6_128 Depth=2
	v_bfe_u32 v5, v24, 24, 7
	v_mov_b32_e32 v0, 0x7f800001
	s_mov_b32 s41, exec_lo
	s_delay_alu instid0(VALU_DEP_2)
	v_cmpx_ne_u32_e32 0x7f, v5
	s_cbranch_execz .LBB6_1994
; %bb.1991:                             ;   in Loop: Header=BB6_128 Depth=2
	v_dual_lshrrev_b32 v0, 3, v5 :: v_dual_bitop2_b32 v54, 7, v4 bitop3:0x40
	s_mov_b32 s42, exec_lo
	s_delay_alu instid0(VALU_DEP_1)
	v_mov_b64_e32 v[22:23], v[54:55]
	v_cmpx_gt_u32_e32 8, v5
; %bb.1992:                             ;   in Loop: Header=BB6_128 Depth=2
	v_clz_i32_u32_e32 v0, v54
	s_delay_alu instid0(VALU_DEP_1) | instskip(NEXT) | instid1(VALU_DEP_1)
	v_min_u32_e32 v0, 32, v0
	v_subrev_nc_u32_e32 v5, 28, v0
	s_delay_alu instid0(VALU_DEP_1) | instskip(NEXT) | instid1(VALU_DEP_1)
	v_lshlrev_b64_e32 v[6:7], v5, v[54:55]
	v_dual_sub_nc_u32 v0, 29, v0 :: v_dual_bitop2_b32 v22, 7, v6 bitop3:0x40
; %bb.1993:                             ;   in Loop: Header=BB6_128 Depth=2
	s_or_b32 exec_lo, exec_lo, s42
	s_delay_alu instid0(VALU_DEP_1) | instskip(NEXT) | instid1(VALU_DEP_2)
	v_dual_lshlrev_b32 v4, 24, v4 :: v_dual_lshlrev_b32 v5, 20, v22
	v_lshl_add_u32 v0, v0, 23, 0x3c000000
	s_delay_alu instid0(VALU_DEP_2) | instskip(NEXT) | instid1(VALU_DEP_1)
	v_and_b32_e32 v4, 0x80000000, v4
	v_or3_b32 v0, v5, v4, v0
.LBB6_1994:                             ;   in Loop: Header=BB6_128 Depth=2
	s_or_b32 exec_lo, exec_lo, s41
.LBB6_1995:                             ;   in Loop: Header=BB6_128 Depth=2
	s_delay_alu instid0(SALU_CYCLE_1)
	s_or_b32 exec_lo, exec_lo, s40
.LBB6_1996:                             ;   in Loop: Header=BB6_128 Depth=2
	s_delay_alu instid0(SALU_CYCLE_1) | instskip(NEXT) | instid1(VALU_DEP_1)
	s_or_b32 exec_lo, exec_lo, s10
	v_add_f32_e32 v1, v1, v0
                                        ; implicit-def: $vgpr123
	s_mov_b32 s10, exec_lo
	s_delay_alu instid0(VALU_DEP_1) | instskip(SKIP_1) | instid1(VALU_DEP_2)
	v_and_b32_e32 v54, 0x7f800000, v1
	v_lshrrev_b32_e32 v0, 24, v1
	v_cmpx_ne_u64_e32 0x7f800000, v[54:55]
	s_xor_b32 s40, exec_lo, s10
	s_cbranch_execz .LBB6_2010
; %bb.1997:                             ;   in Loop: Header=BB6_128 Depth=2
	v_and_b32_e32 v54, 0x7fffffff, v1
	v_and_b32_e32 v0, 0x80, v0
                                        ; implicit-def: $vgpr123
	s_mov_b32 s10, exec_lo
	s_delay_alu instid0(VALU_DEP_2)
	v_cmpx_gt_u64_e32 0x43e00001, v[54:55]
	s_xor_b32 s41, exec_lo, s10
	s_cbranch_execz .LBB6_2007
; %bb.1998:                             ;   in Loop: Header=BB6_128 Depth=2
	v_mov_b32_e32 v123, 0
	s_mov_b32 s42, exec_lo
	v_cmpx_ne_u32_e32 0, v1
	s_cbranch_execz .LBB6_2006
; %bb.1999:                             ;   in Loop: Header=BB6_128 Depth=2
	v_and_b32_e32 v5, 0x7fffff, v1
	v_bfe_u32 v1, v1, 23, 8
	s_mov_b32 s43, exec_lo
	s_delay_alu instid0(VALU_DEP_2) | instskip(NEXT) | instid1(VALU_DEP_2)
	v_or_b32_e32 v6, 0x800000, v5
	v_cmp_gt_u32_e64 s10, 0x7a, v1
	v_sub_nc_u32_e32 v4, 0x79, v1
	v_cmp_eq_u32_e32 vcc_lo, 0, v1
	s_delay_alu instid0(VALU_DEP_2) | instskip(NEXT) | instid1(VALU_DEP_1)
	v_dual_cndmask_b32 v4, 0, v4, s10 :: v_dual_cndmask_b32 v54, v6, v5, vcc_lo
	v_cndmask_b32_e64 v4, v4, 0x78, vcc_lo
	s_delay_alu instid0(VALU_DEP_1) | instskip(NEXT) | instid1(VALU_DEP_3)
	v_add_nc_u32_e32 v5, 20, v4
	v_lshrrev_b64 v[22:23], v4, v[54:55]
	s_delay_alu instid0(VALU_DEP_2) | instskip(SKIP_1) | instid1(VALU_DEP_3)
	v_lshlrev_b64_e64 v[6:7], v5, -1
	v_add_nc_u32_e32 v5, 19, v4
	v_mov_b64_e32 v[116:117], v[22:23]
	s_delay_alu instid0(VALU_DEP_2) | instskip(NEXT) | instid1(VALU_DEP_4)
	v_lshlrev_b64_e64 v[8:9], v5, 1
	v_bfi_b32 v7, v7, 0, 0
	v_bfi_b32 v6, v6, 0, v54
	s_delay_alu instid0(VALU_DEP_1)
	v_cmpx_eq_u64_e64 v[6:7], v[8:9]
; %bb.2000:                             ;   in Loop: Header=BB6_128 Depth=2
	v_bfe_u32 v54, v22, 20, 1
	s_delay_alu instid0(VALU_DEP_1) | instskip(NEXT) | instid1(VALU_DEP_1)
	v_add_nc_u64_e32 v[6:7], v[22:23], v[54:55]
	v_add_nc_u64_e32 v[116:117], -1, v[6:7]
; %bb.2001:                             ;   in Loop: Header=BB6_128 Depth=2
	s_or_b32 exec_lo, exec_lo, s43
	v_add_nc_u32_e32 v1, 0xffffff81, v1
	v_lshrrev_b32_e32 v5, 23, v22
	s_mov_b32 s10, exec_lo
	s_delay_alu instid0(VALU_DEP_2) | instskip(NEXT) | instid1(VALU_DEP_1)
	v_cndmask_b32_e64 v1, v1, 0xffffff82, vcc_lo
	v_add3_u32 v5, v4, v1, v5
	v_and_b32_e32 v1, 0xfffff, v116
	s_delay_alu instid0(VALU_DEP_1) | instskip(NEXT) | instid1(VALU_DEP_1)
	v_dual_add_nc_u32 v4, 6, v5 :: v_dual_add_nc_u32 v54, v1, v22
                                        ; implicit-def: $vgpr22_vgpr23
                                        ; implicit-def: $vgpr1
	v_cmpx_ne_u32_e32 0, v4
	s_xor_b32 s10, exec_lo, s10
; %bb.2002:                             ;   in Loop: Header=BB6_128 Depth=2
	s_delay_alu instid0(VALU_DEP_2) | instskip(SKIP_1) | instid1(VALU_DEP_1)
	v_cmp_lt_u64_e32 vcc_lo, 0xffffff, v[54:55]
	v_add_nc_u32_e32 v1, 7, v5
	v_cndmask_b32_e32 v1, v4, v1, vcc_lo
	v_cndmask_b32_e64 v4, 0, 1, vcc_lo
	s_delay_alu instid0(VALU_DEP_1)
	v_lshrrev_b64 v[22:23], v4, v[54:55]
; %bb.2003:                             ;   in Loop: Header=BB6_128 Depth=2
	s_and_not1_saveexec_b32 s10, s10
; %bb.2004:                             ;   in Loop: Header=BB6_128 Depth=2
	v_mov_b64_e32 v[22:23], v[54:55]
	v_bfe_u32 v1, v54, 23, 1
; %bb.2005:                             ;   in Loop: Header=BB6_128 Depth=2
	s_or_b32 exec_lo, exec_lo, s10
	s_delay_alu instid0(VALU_DEP_2) | instskip(NEXT) | instid1(VALU_DEP_2)
	v_lshrrev_b64 v[4:5], 20, v[22:23]
	v_cmp_gt_i32_e32 vcc_lo, 16, v1
	v_min_i32_e32 v6, 15, v1
	v_cmp_eq_u32_e64 s10, 0, v1
	s_delay_alu instid0(VALU_DEP_2) | instskip(SKIP_1) | instid1(VALU_DEP_2)
	v_dual_cndmask_b32 v4, 7, v4, vcc_lo :: v_dual_lshlrev_b32 v6, 3, v6
	v_cndmask_b32_e32 v5, 0, v5, vcc_lo
	v_and_b32_e32 v6, 0xf8, v6
	s_delay_alu instid0(VALU_DEP_2) | instskip(NEXT) | instid1(VALU_DEP_2)
	v_cmp_eq_u64_e32 vcc_lo, 0, v[4:5]
	v_and_or_b32 v1, v4, 7, v6
	s_and_b32 s10, s10, vcc_lo
	s_delay_alu instid0(VALU_DEP_1) | instid1(SALU_CYCLE_1)
	v_cndmask_b32_e64 v1, v1, 0, s10
	s_delay_alu instid0(VALU_DEP_1)
	v_or_b32_e32 v123, v1, v0
.LBB6_2006:                             ;   in Loop: Header=BB6_128 Depth=2
	s_or_b32 exec_lo, exec_lo, s42
                                        ; implicit-def: $vgpr0
.LBB6_2007:                             ;   in Loop: Header=BB6_128 Depth=2
	s_and_not1_saveexec_b32 s10, s41
; %bb.2008:                             ;   in Loop: Header=BB6_128 Depth=2
	v_or_b32_e32 v123, 0x7e, v0
; %bb.2009:                             ;   in Loop: Header=BB6_128 Depth=2
	s_or_b32 exec_lo, exec_lo, s10
                                        ; implicit-def: $vgpr0
.LBB6_2010:                             ;   in Loop: Header=BB6_128 Depth=2
	s_and_not1_saveexec_b32 s10, s40
; %bb.2011:                             ;   in Loop: Header=BB6_128 Depth=2
	v_or_b32_e32 v123, 0x7f, v0
; %bb.2012:                             ;   in Loop: Header=BB6_128 Depth=2
	s_or_b32 exec_lo, exec_lo, s10
	v_lshlrev_b32_e32 v1, 24, v100
	v_lshlrev_b32_e32 v4, 16, v124
	v_lshl_or_b32 v0, v27, 8, v66
	s_mov_b32 s10, exec_lo
	s_delay_alu instid0(VALU_DEP_1)
	v_or3_b32 v54, v4, v1, v0
	v_dual_mov_b32 v1, 0 :: v_dual_mov_b32 v4, 0
	v_cmpx_ne_u32_e32 0, v66
	s_cbranch_execz .LBB6_2018
; %bb.2013:                             ;   in Loop: Header=BB6_128 Depth=2
	v_bfrev_b32_e32 v4, 1
	s_mov_b32 s40, exec_lo
	v_cmpx_ne_u32_e32 0x80, v66
	s_cbranch_execz .LBB6_2017
; %bb.2014:                             ;   in Loop: Header=BB6_128 Depth=2
	v_and_b32_e32 v5, 0x7f, v66
	v_mov_b32_e32 v4, 0x7f800001
	s_mov_b32 s41, exec_lo
	s_delay_alu instid0(VALU_DEP_2)
	v_cmpx_ne_u32_e32 0x7f, v5
	s_cbranch_execz .LBB6_2016
; %bb.2015:                             ;   in Loop: Header=BB6_128 Depth=2
	v_dual_lshrrev_b32 v6, 3, v5 :: v_dual_bitop2_b32 v4, 7, v66 bitop3:0x40
	v_cmp_gt_u32_e32 vcc_lo, 8, v5
	s_delay_alu instid0(VALU_DEP_2) | instskip(NEXT) | instid1(VALU_DEP_1)
	v_clz_i32_u32_e32 v4, v4
	v_min_u32_e32 v4, 32, v4
	s_delay_alu instid0(VALU_DEP_1) | instskip(SKIP_1) | instid1(VALU_DEP_1)
	v_subrev_nc_u32_e32 v5, 28, v4
	v_sub_nc_u32_e32 v4, 29, v4
	v_dual_cndmask_b32 v6, v6, v4, vcc_lo :: v_dual_cndmask_b32 v4, 0, v5, vcc_lo
	s_delay_alu instid0(VALU_DEP_1) | instskip(NEXT) | instid1(VALU_DEP_2)
	v_lshl_add_u32 v6, v6, 23, 0x3c000000
	v_lshlrev_b64_e32 v[4:5], v4, v[54:55]
	v_lshlrev_b32_e32 v5, 24, v54
	s_delay_alu instid0(VALU_DEP_1) | instskip(NEXT) | instid1(VALU_DEP_3)
	v_and_b32_e32 v5, 0x80000000, v5
	v_lshlrev_b32_e32 v4, 20, v4
	s_delay_alu instid0(VALU_DEP_1) | instskip(NEXT) | instid1(VALU_DEP_1)
	v_and_b32_e32 v4, 0x700000, v4
	v_or3_b32 v4, v4, v5, v6
.LBB6_2016:                             ;   in Loop: Header=BB6_128 Depth=2
	s_or_b32 exec_lo, exec_lo, s41
.LBB6_2017:                             ;   in Loop: Header=BB6_128 Depth=2
	s_delay_alu instid0(SALU_CYCLE_1)
	s_or_b32 exec_lo, exec_lo, s40
.LBB6_2018:                             ;   in Loop: Header=BB6_128 Depth=2
	s_delay_alu instid0(SALU_CYCLE_1) | instskip(SKIP_2) | instid1(VALU_DEP_1)
	s_or_b32 exec_lo, exec_lo, s10
	v_and_b32_e32 v5, 0xff, v25
	s_mov_b32 s10, exec_lo
	v_cmpx_ne_u16_e32 0, v5
	s_cbranch_execz .LBB6_2024
; %bb.2019:                             ;   in Loop: Header=BB6_128 Depth=2
	v_bfrev_b32_e32 v1, 1
	s_mov_b32 s40, exec_lo
	v_cmpx_ne_u16_e32 0x80, v5
	s_cbranch_execz .LBB6_2023
; %bb.2020:                             ;   in Loop: Header=BB6_128 Depth=2
	v_and_b32_e32 v5, 0x7f, v25
	v_mov_b32_e32 v1, 0x7f800001
	s_mov_b32 s41, exec_lo
	s_delay_alu instid0(VALU_DEP_2)
	v_cmpx_ne_u32_e32 0x7f, v5
	s_cbranch_execz .LBB6_2022
; %bb.2021:                             ;   in Loop: Header=BB6_128 Depth=2
	v_dual_mov_b32 v6, v25 :: v_dual_bitop2_b32 v1, 7, v25 bitop3:0x40
	v_cmp_gt_u32_e32 vcc_lo, 8, v5
	v_dual_mov_b32 v7, v55 :: v_dual_lshrrev_b32 v8, 3, v5
	s_delay_alu instid0(VALU_DEP_3) | instskip(NEXT) | instid1(VALU_DEP_1)
	v_clz_i32_u32_e32 v1, v1
	v_min_u32_e32 v1, 32, v1
	s_delay_alu instid0(VALU_DEP_1) | instskip(SKIP_1) | instid1(VALU_DEP_1)
	v_sub_nc_u32_e32 v9, 29, v1
	v_subrev_nc_u32_e32 v1, 28, v1
	v_cndmask_b32_e32 v1, 0, v1, vcc_lo
	s_delay_alu instid0(VALU_DEP_3) | instskip(NEXT) | instid1(VALU_DEP_2)
	v_cndmask_b32_e32 v5, v8, v9, vcc_lo
	v_lshlrev_b64_e32 v[8:9], v1, v[6:7]
	v_lshlrev_b32_e32 v1, 24, v6
	s_delay_alu instid0(VALU_DEP_3) | instskip(NEXT) | instid1(VALU_DEP_2)
	v_lshl_add_u32 v5, v5, 23, 0x3c000000
	v_and_b32_e32 v1, 0x80000000, v1
	s_delay_alu instid0(VALU_DEP_4) | instskip(NEXT) | instid1(VALU_DEP_1)
	v_lshlrev_b32_e32 v6, 20, v8
	v_and_b32_e32 v6, 0x700000, v6
	s_delay_alu instid0(VALU_DEP_1)
	v_or3_b32 v1, v6, v1, v5
.LBB6_2022:                             ;   in Loop: Header=BB6_128 Depth=2
	s_or_b32 exec_lo, exec_lo, s41
.LBB6_2023:                             ;   in Loop: Header=BB6_128 Depth=2
	s_delay_alu instid0(SALU_CYCLE_1)
	s_or_b32 exec_lo, exec_lo, s40
.LBB6_2024:                             ;   in Loop: Header=BB6_128 Depth=2
	s_delay_alu instid0(SALU_CYCLE_1) | instskip(NEXT) | instid1(VALU_DEP_1)
	s_or_b32 exec_lo, exec_lo, s10
	v_dual_add_f32 v4, v4, v1 :: v_dual_mov_b32 v7, v55
                                        ; implicit-def: $vgpr124
	s_mov_b32 s10, exec_lo
	s_delay_alu instid0(VALU_DEP_1) | instskip(SKIP_1) | instid1(VALU_DEP_2)
	v_and_b32_e32 v6, 0x7f800000, v4
	v_lshrrev_b32_e32 v1, 24, v4
	v_cmpx_ne_u64_e32 0x7f800000, v[6:7]
	s_xor_b32 s40, exec_lo, s10
	s_cbranch_execz .LBB6_2038
; %bb.2025:                             ;   in Loop: Header=BB6_128 Depth=2
	v_and_b32_e32 v6, 0x7fffffff, v4
	v_mov_b32_e32 v7, v55
	v_and_b32_e32 v1, 0x80, v1
                                        ; implicit-def: $vgpr124
	s_mov_b32 s10, exec_lo
	s_delay_alu instid0(VALU_DEP_2)
	v_cmpx_gt_u64_e32 0x43e00001, v[6:7]
	s_xor_b32 s41, exec_lo, s10
	s_cbranch_execz .LBB6_2035
; %bb.2026:                             ;   in Loop: Header=BB6_128 Depth=2
	v_mov_b32_e32 v124, 0
	s_mov_b32 s42, exec_lo
	v_cmpx_ne_u32_e32 0, v4
	s_cbranch_execz .LBB6_2034
; %bb.2027:                             ;   in Loop: Header=BB6_128 Depth=2
	v_and_b32_e32 v6, 0x7fffff, v4
	v_bfe_u32 v4, v4, 23, 8
	s_delay_alu instid0(VALU_DEP_2) | instskip(NEXT) | instid1(VALU_DEP_2)
	v_or_b32_e32 v7, 0x800000, v6
	v_cmp_eq_u32_e32 vcc_lo, 0, v4
	v_cmp_gt_u32_e64 s10, 0x7a, v4
	s_delay_alu instid0(VALU_DEP_3) | instskip(NEXT) | instid1(VALU_DEP_1)
	v_dual_cndmask_b32 v6, v7, v6 :: v_dual_sub_nc_u32 v5, 0x79, v4
	v_dual_mov_b32 v7, v55 :: v_dual_cndmask_b32 v5, 0, v5, s10
	s_delay_alu instid0(VALU_DEP_1) | instskip(NEXT) | instid1(VALU_DEP_1)
	v_cndmask_b32_e64 v5, v5, 0x78, vcc_lo
	v_dual_add_nc_u32 v8, 20, v5 :: v_dual_add_nc_u32 v22, 19, v5
	s_delay_alu instid0(VALU_DEP_1) | instskip(NEXT) | instid1(VALU_DEP_2)
	v_lshlrev_b64_e64 v[8:9], v8, -1
	v_lshlrev_b64_e64 v[22:23], v22, 1
	s_delay_alu instid0(VALU_DEP_2) | instskip(NEXT) | instid1(VALU_DEP_3)
	v_bfi_b32 v9, v9, 0, 0
	v_bfi_b32 v8, v8, 0, v6
	s_delay_alu instid0(VALU_DEP_1) | instskip(SKIP_1) | instid1(VALU_DEP_1)
	v_cmp_eq_u64_e64 s10, v[8:9], v[22:23]
	v_lshrrev_b64 v[22:23], v5, v[6:7]
	v_mov_b64_e32 v[116:117], v[22:23]
	s_and_saveexec_b32 s43, s10
; %bb.2028:                             ;   in Loop: Header=BB6_128 Depth=2
	v_bfe_u32 v6, v22, 20, 1
	v_mov_b32_e32 v7, v55
	s_delay_alu instid0(VALU_DEP_1) | instskip(NEXT) | instid1(VALU_DEP_1)
	v_add_nc_u64_e32 v[6:7], v[22:23], v[6:7]
	v_add_nc_u64_e32 v[116:117], -1, v[6:7]
; %bb.2029:                             ;   in Loop: Header=BB6_128 Depth=2
	s_or_b32 exec_lo, exec_lo, s43
	v_dual_mov_b32 v23, v55 :: v_dual_add_nc_u32 v4, 0xffffff81, v4
	v_lshrrev_b32_e32 v6, 23, v22
	s_mov_b32 s10, exec_lo
	s_delay_alu instid0(VALU_DEP_2) | instskip(NEXT) | instid1(VALU_DEP_1)
	v_cndmask_b32_e64 v4, v4, 0xffffff82, vcc_lo
	v_add3_u32 v6, v5, v4, v6
	v_and_b32_e32 v4, 0xfffff, v116
	s_delay_alu instid0(VALU_DEP_2) | instskip(NEXT) | instid1(VALU_DEP_2)
	v_add_nc_u32_e32 v5, 6, v6
	v_add_nc_u32_e32 v22, v4, v22
                                        ; implicit-def: $vgpr4
	s_delay_alu instid0(VALU_DEP_2)
	v_cmpx_ne_u32_e32 0, v5
	s_xor_b32 s10, exec_lo, s10
; %bb.2030:                             ;   in Loop: Header=BB6_128 Depth=2
	s_delay_alu instid0(VALU_DEP_2) | instskip(SKIP_1) | instid1(VALU_DEP_1)
	v_cmp_lt_u64_e32 vcc_lo, 0xffffff, v[22:23]
	v_add_nc_u32_e32 v4, 7, v6
	v_cndmask_b32_e32 v4, v5, v4, vcc_lo
	v_cndmask_b32_e64 v5, 0, 1, vcc_lo
	s_delay_alu instid0(VALU_DEP_1)
	v_lshrrev_b64 v[22:23], v5, v[22:23]
; %bb.2031:                             ;   in Loop: Header=BB6_128 Depth=2
	s_and_not1_saveexec_b32 s10, s10
; %bb.2032:                             ;   in Loop: Header=BB6_128 Depth=2
	s_delay_alu instid0(VALU_DEP_1)
	v_bfe_u32 v4, v22, 23, 1
; %bb.2033:                             ;   in Loop: Header=BB6_128 Depth=2
	s_or_b32 exec_lo, exec_lo, s10
	s_delay_alu instid0(VALU_DEP_2) | instskip(NEXT) | instid1(VALU_DEP_2)
	v_lshrrev_b64 v[6:7], 20, v[22:23]
	v_cmp_gt_i32_e32 vcc_lo, 16, v4
	v_min_i32_e32 v5, 15, v4
	v_cmp_eq_u32_e64 s10, 0, v4
	s_delay_alu instid0(VALU_DEP_2) | instskip(SKIP_1) | instid1(VALU_DEP_2)
	v_dual_cndmask_b32 v7, 0, v7, vcc_lo :: v_dual_lshlrev_b32 v5, 3, v5
	v_cndmask_b32_e32 v6, 7, v6, vcc_lo
	v_and_b32_e32 v5, 0xf8, v5
	s_delay_alu instid0(VALU_DEP_2) | instskip(NEXT) | instid1(VALU_DEP_2)
	v_cmp_eq_u64_e32 vcc_lo, 0, v[6:7]
	v_and_or_b32 v4, v6, 7, v5
	s_and_b32 s10, s10, vcc_lo
	s_delay_alu instid0(VALU_DEP_1) | instid1(SALU_CYCLE_1)
	v_cndmask_b32_e64 v4, v4, 0, s10
	s_delay_alu instid0(VALU_DEP_1)
	v_or_b32_e32 v124, v4, v1
.LBB6_2034:                             ;   in Loop: Header=BB6_128 Depth=2
	s_or_b32 exec_lo, exec_lo, s42
                                        ; implicit-def: $vgpr1
.LBB6_2035:                             ;   in Loop: Header=BB6_128 Depth=2
	s_and_not1_saveexec_b32 s10, s41
; %bb.2036:                             ;   in Loop: Header=BB6_128 Depth=2
	v_or_b32_e32 v124, 0x7e, v1
; %bb.2037:                             ;   in Loop: Header=BB6_128 Depth=2
	s_or_b32 exec_lo, exec_lo, s10
                                        ; implicit-def: $vgpr1
.LBB6_2038:                             ;   in Loop: Header=BB6_128 Depth=2
	s_and_not1_saveexec_b32 s10, s40
; %bb.2039:                             ;   in Loop: Header=BB6_128 Depth=2
	v_or_b32_e32 v124, 0x7f, v1
; %bb.2040:                             ;   in Loop: Header=BB6_128 Depth=2
	s_or_b32 exec_lo, exec_lo, s10
	v_lshrrev_b16 v5, 8, v0
	v_dual_mov_b32 v1, 0 :: v_dual_mov_b32 v4, 0
	s_mov_b32 s10, exec_lo
	s_delay_alu instid0(VALU_DEP_2)
	v_cmpx_ne_u16_e32 0, v5
	s_cbranch_execz .LBB6_2048
; %bb.2041:                             ;   in Loop: Header=BB6_128 Depth=2
	v_bfrev_b32_e32 v4, 1
	s_mov_b32 s40, exec_lo
	v_cmpx_ne_u16_e32 0x80, v5
	s_cbranch_execz .LBB6_2047
; %bb.2042:                             ;   in Loop: Header=BB6_128 Depth=2
	v_and_b32_e32 v6, 0xffff, v5
	v_mov_b32_e32 v4, 0x7f800001
	s_mov_b32 s41, exec_lo
	s_delay_alu instid0(VALU_DEP_2) | instskip(NEXT) | instid1(VALU_DEP_1)
	v_and_b32_e32 v5, 0x7f, v6
	v_cmpx_ne_u32_e32 0x7f, v5
	s_cbranch_execz .LBB6_2046
; %bb.2043:                             ;   in Loop: Header=BB6_128 Depth=2
	v_dual_mov_b32 v23, v55 :: v_dual_bitop2_b32 v22, 7, v6 bitop3:0x40
	v_lshrrev_b32_e32 v4, 3, v5
	s_mov_b32 s42, exec_lo
	v_cmpx_gt_u32_e32 8, v5
; %bb.2044:                             ;   in Loop: Header=BB6_128 Depth=2
	s_delay_alu instid0(VALU_DEP_3) | instskip(NEXT) | instid1(VALU_DEP_1)
	v_clz_i32_u32_e32 v4, v22
	v_min_u32_e32 v4, 32, v4
	s_delay_alu instid0(VALU_DEP_1) | instskip(NEXT) | instid1(VALU_DEP_1)
	v_subrev_nc_u32_e32 v5, 28, v4
	v_lshlrev_b64_e32 v[6:7], v5, v[22:23]
	s_delay_alu instid0(VALU_DEP_1)
	v_dual_sub_nc_u32 v4, 29, v4 :: v_dual_bitop2_b32 v22, 7, v6 bitop3:0x40
; %bb.2045:                             ;   in Loop: Header=BB6_128 Depth=2
	s_or_b32 exec_lo, exec_lo, s42
	s_delay_alu instid0(VALU_DEP_1) | instskip(NEXT) | instid1(VALU_DEP_2)
	v_dual_lshlrev_b32 v0, 16, v0 :: v_dual_lshlrev_b32 v5, 20, v22
	v_lshl_add_u32 v4, v4, 23, 0x3c000000
	s_delay_alu instid0(VALU_DEP_2) | instskip(NEXT) | instid1(VALU_DEP_1)
	v_and_b32_e32 v0, 0x80000000, v0
	v_or3_b32 v4, v5, v0, v4
.LBB6_2046:                             ;   in Loop: Header=BB6_128 Depth=2
	s_or_b32 exec_lo, exec_lo, s41
.LBB6_2047:                             ;   in Loop: Header=BB6_128 Depth=2
	s_delay_alu instid0(SALU_CYCLE_1)
	s_or_b32 exec_lo, exec_lo, s40
.LBB6_2048:                             ;   in Loop: Header=BB6_128 Depth=2
	s_delay_alu instid0(SALU_CYCLE_1) | instskip(SKIP_2) | instid1(VALU_DEP_1)
	s_or_b32 exec_lo, exec_lo, s10
	v_lshrrev_b16 v0, 8, v25
	s_mov_b32 s10, exec_lo
	v_cmpx_ne_u16_e32 0, v0
	s_cbranch_execz .LBB6_2056
; %bb.2049:                             ;   in Loop: Header=BB6_128 Depth=2
	v_bfrev_b32_e32 v1, 1
	s_mov_b32 s40, exec_lo
	v_cmpx_ne_u16_e32 0x80, v0
	s_cbranch_execz .LBB6_2055
; %bb.2050:                             ;   in Loop: Header=BB6_128 Depth=2
	v_and_b32_e32 v0, 0xffff, v0
	v_mov_b32_e32 v1, 0x7f800001
	s_mov_b32 s41, exec_lo
	s_delay_alu instid0(VALU_DEP_2) | instskip(NEXT) | instid1(VALU_DEP_1)
	v_and_b32_e32 v5, 0x7f, v0
	v_cmpx_ne_u32_e32 0x7f, v5
	s_cbranch_execz .LBB6_2054
; %bb.2051:                             ;   in Loop: Header=BB6_128 Depth=2
	v_dual_mov_b32 v23, v55 :: v_dual_bitop2_b32 v22, 7, v0 bitop3:0x40
	v_lshrrev_b32_e32 v0, 3, v5
	s_mov_b32 s42, exec_lo
	v_cmpx_gt_u32_e32 8, v5
; %bb.2052:                             ;   in Loop: Header=BB6_128 Depth=2
	s_delay_alu instid0(VALU_DEP_3) | instskip(NEXT) | instid1(VALU_DEP_1)
	v_clz_i32_u32_e32 v0, v22
	v_min_u32_e32 v0, 32, v0
	s_delay_alu instid0(VALU_DEP_1) | instskip(NEXT) | instid1(VALU_DEP_1)
	v_subrev_nc_u32_e32 v1, 28, v0
	v_lshlrev_b64_e32 v[6:7], v1, v[22:23]
	s_delay_alu instid0(VALU_DEP_1)
	v_dual_sub_nc_u32 v0, 29, v0 :: v_dual_bitop2_b32 v22, 7, v6 bitop3:0x40
; %bb.2053:                             ;   in Loop: Header=BB6_128 Depth=2
	s_or_b32 exec_lo, exec_lo, s42
	s_delay_alu instid0(VALU_DEP_1) | instskip(NEXT) | instid1(VALU_DEP_2)
	v_dual_lshlrev_b32 v1, 16, v25 :: v_dual_lshlrev_b32 v5, 20, v22
	v_lshl_add_u32 v0, v0, 23, 0x3c000000
	s_delay_alu instid0(VALU_DEP_2) | instskip(NEXT) | instid1(VALU_DEP_1)
	v_and_b32_e32 v1, 0x80000000, v1
	v_or3_b32 v1, v5, v1, v0
.LBB6_2054:                             ;   in Loop: Header=BB6_128 Depth=2
	s_or_b32 exec_lo, exec_lo, s41
.LBB6_2055:                             ;   in Loop: Header=BB6_128 Depth=2
	s_delay_alu instid0(SALU_CYCLE_1)
	s_or_b32 exec_lo, exec_lo, s40
.LBB6_2056:                             ;   in Loop: Header=BB6_128 Depth=2
	s_delay_alu instid0(SALU_CYCLE_1) | instskip(NEXT) | instid1(VALU_DEP_1)
	s_or_b32 exec_lo, exec_lo, s10
	v_dual_add_f32 v1, v4, v1 :: v_dual_mov_b32 v5, v55
                                        ; implicit-def: $vgpr66
	s_mov_b32 s10, exec_lo
	s_delay_alu instid0(VALU_DEP_1) | instskip(SKIP_1) | instid1(VALU_DEP_2)
	v_and_b32_e32 v4, 0x7f800000, v1
	v_lshrrev_b32_e32 v0, 24, v1
	v_cmpx_ne_u64_e32 0x7f800000, v[4:5]
	s_xor_b32 s40, exec_lo, s10
	s_cbranch_execz .LBB6_2070
; %bb.2057:                             ;   in Loop: Header=BB6_128 Depth=2
	v_and_b32_e32 v4, 0x7fffffff, v1
	v_mov_b32_e32 v5, v55
	v_and_b32_e32 v0, 0x80, v0
                                        ; implicit-def: $vgpr66
	s_mov_b32 s10, exec_lo
	s_delay_alu instid0(VALU_DEP_2)
	v_cmpx_gt_u64_e32 0x43e00001, v[4:5]
	s_xor_b32 s41, exec_lo, s10
	s_cbranch_execz .LBB6_2067
; %bb.2058:                             ;   in Loop: Header=BB6_128 Depth=2
	v_mov_b32_e32 v66, 0
	s_mov_b32 s42, exec_lo
	v_cmpx_ne_u32_e32 0, v1
	s_cbranch_execz .LBB6_2066
; %bb.2059:                             ;   in Loop: Header=BB6_128 Depth=2
	v_and_b32_e32 v5, 0x7fffff, v1
	v_bfe_u32 v1, v1, 23, 8
	v_mov_b32_e32 v7, v55
	s_delay_alu instid0(VALU_DEP_3) | instskip(NEXT) | instid1(VALU_DEP_3)
	v_or_b32_e32 v6, 0x800000, v5
	v_cmp_gt_u32_e64 s10, 0x7a, v1
	v_sub_nc_u32_e32 v4, 0x79, v1
	v_cmp_eq_u32_e32 vcc_lo, 0, v1
	s_delay_alu instid0(VALU_DEP_2) | instskip(NEXT) | instid1(VALU_DEP_1)
	v_dual_cndmask_b32 v4, 0, v4, s10 :: v_dual_cndmask_b32 v6, v6, v5, vcc_lo
	v_cndmask_b32_e64 v4, v4, 0x78, vcc_lo
	s_delay_alu instid0(VALU_DEP_1) | instskip(NEXT) | instid1(VALU_DEP_1)
	v_add_nc_u32_e32 v5, 20, v4
	v_lshlrev_b64_e64 v[8:9], v5, -1
	v_add_nc_u32_e32 v5, 19, v4
	s_delay_alu instid0(VALU_DEP_1) | instskip(NEXT) | instid1(VALU_DEP_3)
	v_lshlrev_b64_e64 v[22:23], v5, 1
	v_bfi_b32 v9, v9, 0, 0
	s_delay_alu instid0(VALU_DEP_4) | instskip(NEXT) | instid1(VALU_DEP_1)
	v_bfi_b32 v8, v8, 0, v6
	v_cmp_eq_u64_e64 s10, v[8:9], v[22:23]
	v_lshrrev_b64 v[22:23], v4, v[6:7]
	s_delay_alu instid0(VALU_DEP_1)
	v_mov_b64_e32 v[116:117], v[22:23]
	s_and_saveexec_b32 s43, s10
; %bb.2060:                             ;   in Loop: Header=BB6_128 Depth=2
	v_bfe_u32 v6, v22, 20, 1
	v_mov_b32_e32 v7, v55
	s_delay_alu instid0(VALU_DEP_1) | instskip(NEXT) | instid1(VALU_DEP_1)
	v_add_nc_u64_e32 v[6:7], v[22:23], v[6:7]
	v_add_nc_u64_e32 v[116:117], -1, v[6:7]
; %bb.2061:                             ;   in Loop: Header=BB6_128 Depth=2
	s_or_b32 exec_lo, exec_lo, s43
	v_add_nc_u32_e32 v1, 0xffffff81, v1
	v_lshrrev_b32_e32 v5, 23, v22
	s_mov_b32 s10, exec_lo
	v_mov_b32_e32 v23, v55
	s_delay_alu instid0(VALU_DEP_3) | instskip(NEXT) | instid1(VALU_DEP_1)
	v_cndmask_b32_e64 v1, v1, 0xffffff82, vcc_lo
	v_add3_u32 v5, v4, v1, v5
	v_and_b32_e32 v1, 0xfffff, v116
	s_delay_alu instid0(VALU_DEP_1) | instskip(NEXT) | instid1(VALU_DEP_1)
	v_dual_add_nc_u32 v4, 6, v5 :: v_dual_add_nc_u32 v22, v1, v22
                                        ; implicit-def: $vgpr1
	v_cmpx_ne_u32_e32 0, v4
	s_xor_b32 s10, exec_lo, s10
; %bb.2062:                             ;   in Loop: Header=BB6_128 Depth=2
	s_delay_alu instid0(VALU_DEP_2) | instskip(SKIP_1) | instid1(VALU_DEP_1)
	v_cmp_lt_u64_e32 vcc_lo, 0xffffff, v[22:23]
	v_add_nc_u32_e32 v1, 7, v5
	v_cndmask_b32_e32 v1, v4, v1, vcc_lo
	v_cndmask_b32_e64 v4, 0, 1, vcc_lo
	s_delay_alu instid0(VALU_DEP_1)
	v_lshrrev_b64 v[22:23], v4, v[22:23]
; %bb.2063:                             ;   in Loop: Header=BB6_128 Depth=2
	s_and_not1_saveexec_b32 s10, s10
; %bb.2064:                             ;   in Loop: Header=BB6_128 Depth=2
	s_delay_alu instid0(VALU_DEP_1)
	v_bfe_u32 v1, v22, 23, 1
; %bb.2065:                             ;   in Loop: Header=BB6_128 Depth=2
	s_or_b32 exec_lo, exec_lo, s10
	s_delay_alu instid0(VALU_DEP_2) | instskip(NEXT) | instid1(VALU_DEP_2)
	v_lshrrev_b64 v[4:5], 20, v[22:23]
	v_cmp_gt_i32_e32 vcc_lo, 16, v1
	v_min_i32_e32 v6, 15, v1
	v_cmp_eq_u32_e64 s10, 0, v1
	s_delay_alu instid0(VALU_DEP_2) | instskip(SKIP_1) | instid1(VALU_DEP_2)
	v_dual_cndmask_b32 v4, 7, v4, vcc_lo :: v_dual_lshlrev_b32 v6, 3, v6
	v_cndmask_b32_e32 v5, 0, v5, vcc_lo
	v_and_b32_e32 v6, 0xf8, v6
	s_delay_alu instid0(VALU_DEP_2) | instskip(NEXT) | instid1(VALU_DEP_2)
	v_cmp_eq_u64_e32 vcc_lo, 0, v[4:5]
	v_and_or_b32 v1, v4, 7, v6
	s_and_b32 s10, s10, vcc_lo
	s_delay_alu instid0(VALU_DEP_1) | instid1(SALU_CYCLE_1)
	v_cndmask_b32_e64 v1, v1, 0, s10
	s_delay_alu instid0(VALU_DEP_1)
	v_or_b32_e32 v66, v1, v0
.LBB6_2066:                             ;   in Loop: Header=BB6_128 Depth=2
	s_or_b32 exec_lo, exec_lo, s42
                                        ; implicit-def: $vgpr0
.LBB6_2067:                             ;   in Loop: Header=BB6_128 Depth=2
	s_and_not1_saveexec_b32 s10, s41
; %bb.2068:                             ;   in Loop: Header=BB6_128 Depth=2
	v_or_b32_e32 v66, 0x7e, v0
; %bb.2069:                             ;   in Loop: Header=BB6_128 Depth=2
	s_or_b32 exec_lo, exec_lo, s10
                                        ; implicit-def: $vgpr0
.LBB6_2070:                             ;   in Loop: Header=BB6_128 Depth=2
	s_and_not1_saveexec_b32 s10, s40
; %bb.2071:                             ;   in Loop: Header=BB6_128 Depth=2
	v_or_b32_e32 v66, 0x7f, v0
; %bb.2072:                             ;   in Loop: Header=BB6_128 Depth=2
	s_or_b32 exec_lo, exec_lo, s10
	v_dual_lshrrev_b32 v4, 16, v54 :: v_dual_mov_b32 v0, 0
	v_mov_b32_e32 v1, 0
	s_mov_b32 s10, exec_lo
	s_delay_alu instid0(VALU_DEP_2) | instskip(NEXT) | instid1(VALU_DEP_1)
	v_and_b32_e32 v5, 0xff, v4
	v_cmpx_ne_u16_e32 0, v5
	s_cbranch_execz .LBB6_2080
; %bb.2073:                             ;   in Loop: Header=BB6_128 Depth=2
	v_bfrev_b32_e32 v1, 1
	s_mov_b32 s40, exec_lo
	v_cmpx_ne_u16_e32 0x80, v5
	s_cbranch_execz .LBB6_2079
; %bb.2074:                             ;   in Loop: Header=BB6_128 Depth=2
	v_bfe_u32 v5, v54, 16, 7
	v_mov_b32_e32 v1, 0x7f800001
	s_mov_b32 s41, exec_lo
	s_delay_alu instid0(VALU_DEP_2)
	v_cmpx_ne_u32_e32 0x7f, v5
	s_cbranch_execz .LBB6_2078
; %bb.2075:                             ;   in Loop: Header=BB6_128 Depth=2
	v_dual_mov_b32 v23, v55 :: v_dual_bitop2_b32 v22, 7, v4 bitop3:0x40
	v_lshrrev_b32_e32 v1, 3, v5
	s_mov_b32 s42, exec_lo
	v_cmpx_gt_u32_e32 8, v5
; %bb.2076:                             ;   in Loop: Header=BB6_128 Depth=2
	s_delay_alu instid0(VALU_DEP_3) | instskip(NEXT) | instid1(VALU_DEP_1)
	v_clz_i32_u32_e32 v1, v22
	v_min_u32_e32 v1, 32, v1
	s_delay_alu instid0(VALU_DEP_1) | instskip(NEXT) | instid1(VALU_DEP_1)
	v_subrev_nc_u32_e32 v5, 28, v1
	v_lshlrev_b64_e32 v[6:7], v5, v[22:23]
	s_delay_alu instid0(VALU_DEP_1)
	v_dual_sub_nc_u32 v1, 29, v1 :: v_dual_bitop2_b32 v22, 7, v6 bitop3:0x40
; %bb.2077:                             ;   in Loop: Header=BB6_128 Depth=2
	s_or_b32 exec_lo, exec_lo, s42
	s_delay_alu instid0(VALU_DEP_1) | instskip(NEXT) | instid1(VALU_DEP_2)
	v_dual_lshlrev_b32 v4, 24, v4 :: v_dual_lshlrev_b32 v5, 20, v22
	v_lshl_add_u32 v1, v1, 23, 0x3c000000
	s_delay_alu instid0(VALU_DEP_2) | instskip(NEXT) | instid1(VALU_DEP_1)
	v_and_b32_e32 v4, 0x80000000, v4
	v_or3_b32 v1, v5, v4, v1
.LBB6_2078:                             ;   in Loop: Header=BB6_128 Depth=2
	s_or_b32 exec_lo, exec_lo, s41
.LBB6_2079:                             ;   in Loop: Header=BB6_128 Depth=2
	s_delay_alu instid0(SALU_CYCLE_1)
	s_or_b32 exec_lo, exec_lo, s40
.LBB6_2080:                             ;   in Loop: Header=BB6_128 Depth=2
	s_delay_alu instid0(SALU_CYCLE_1) | instskip(SKIP_2) | instid1(VALU_DEP_1)
	s_or_b32 exec_lo, exec_lo, s10
	v_lshrrev_b32_e32 v4, 16, v25
	s_mov_b32 s10, exec_lo
	v_and_b32_e32 v5, 0xff, v4
	s_delay_alu instid0(VALU_DEP_1)
	v_cmpx_ne_u16_e32 0, v5
	s_cbranch_execz .LBB6_2088
; %bb.2081:                             ;   in Loop: Header=BB6_128 Depth=2
	v_bfrev_b32_e32 v0, 1
	s_mov_b32 s40, exec_lo
	v_cmpx_ne_u16_e32 0x80, v5
	s_cbranch_execz .LBB6_2087
; %bb.2082:                             ;   in Loop: Header=BB6_128 Depth=2
	v_bfe_u32 v5, v25, 16, 7
	v_mov_b32_e32 v0, 0x7f800001
	s_mov_b32 s41, exec_lo
	s_delay_alu instid0(VALU_DEP_2)
	v_cmpx_ne_u32_e32 0x7f, v5
	s_cbranch_execz .LBB6_2086
; %bb.2083:                             ;   in Loop: Header=BB6_128 Depth=2
	v_dual_mov_b32 v23, v55 :: v_dual_bitop2_b32 v22, 7, v4 bitop3:0x40
	v_lshrrev_b32_e32 v0, 3, v5
	s_mov_b32 s42, exec_lo
	v_cmpx_gt_u32_e32 8, v5
; %bb.2084:                             ;   in Loop: Header=BB6_128 Depth=2
	s_delay_alu instid0(VALU_DEP_3) | instskip(NEXT) | instid1(VALU_DEP_1)
	v_clz_i32_u32_e32 v0, v22
	v_min_u32_e32 v0, 32, v0
	s_delay_alu instid0(VALU_DEP_1) | instskip(SKIP_1) | instid1(VALU_DEP_2)
	v_subrev_nc_u32_e32 v4, 28, v0
	v_sub_nc_u32_e32 v0, 29, v0
	v_lshlrev_b64_e32 v[4:5], v4, v[22:23]
	s_delay_alu instid0(VALU_DEP_1)
	v_and_b32_e32 v22, 7, v4
; %bb.2085:                             ;   in Loop: Header=BB6_128 Depth=2
	s_or_b32 exec_lo, exec_lo, s42
	s_delay_alu instid0(VALU_DEP_1) | instskip(SKIP_1) | instid1(VALU_DEP_2)
	v_dual_lshlrev_b32 v4, 8, v25 :: v_dual_lshlrev_b32 v5, 20, v22
	v_lshl_add_u32 v0, v0, 23, 0x3c000000
	v_and_b32_e32 v4, 0x80000000, v4
	s_delay_alu instid0(VALU_DEP_1)
	v_or3_b32 v0, v5, v4, v0
.LBB6_2086:                             ;   in Loop: Header=BB6_128 Depth=2
	s_or_b32 exec_lo, exec_lo, s41
.LBB6_2087:                             ;   in Loop: Header=BB6_128 Depth=2
	s_delay_alu instid0(SALU_CYCLE_1)
	s_or_b32 exec_lo, exec_lo, s40
.LBB6_2088:                             ;   in Loop: Header=BB6_128 Depth=2
	s_delay_alu instid0(SALU_CYCLE_1) | instskip(NEXT) | instid1(VALU_DEP_1)
	s_or_b32 exec_lo, exec_lo, s10
	v_dual_add_f32 v1, v1, v0 :: v_dual_mov_b32 v5, v55
                                        ; implicit-def: $vgpr116
	s_mov_b32 s10, exec_lo
	s_delay_alu instid0(VALU_DEP_1) | instskip(SKIP_1) | instid1(VALU_DEP_2)
	v_and_b32_e32 v4, 0x7f800000, v1
	v_lshrrev_b32_e32 v0, 24, v1
	v_cmpx_ne_u64_e32 0x7f800000, v[4:5]
	s_xor_b32 s40, exec_lo, s10
	s_cbranch_execz .LBB6_2102
; %bb.2089:                             ;   in Loop: Header=BB6_128 Depth=2
	v_and_b32_e32 v4, 0x7fffffff, v1
	v_mov_b32_e32 v5, v55
	v_and_b32_e32 v0, 0x80, v0
                                        ; implicit-def: $vgpr116
	s_mov_b32 s10, exec_lo
	s_delay_alu instid0(VALU_DEP_2)
	v_cmpx_gt_u64_e32 0x43e00001, v[4:5]
	s_xor_b32 s41, exec_lo, s10
	s_cbranch_execz .LBB6_2099
; %bb.2090:                             ;   in Loop: Header=BB6_128 Depth=2
	v_mov_b32_e32 v116, 0
	s_mov_b32 s42, exec_lo
	v_cmpx_ne_u32_e32 0, v1
	s_cbranch_execz .LBB6_2098
; %bb.2091:                             ;   in Loop: Header=BB6_128 Depth=2
	v_and_b32_e32 v5, 0x7fffff, v1
	v_bfe_u32 v1, v1, 23, 8
	v_mov_b32_e32 v7, v55
	s_delay_alu instid0(VALU_DEP_3) | instskip(NEXT) | instid1(VALU_DEP_3)
	v_or_b32_e32 v6, 0x800000, v5
	v_cmp_gt_u32_e64 s10, 0x7a, v1
	v_sub_nc_u32_e32 v4, 0x79, v1
	v_cmp_eq_u32_e32 vcc_lo, 0, v1
	s_delay_alu instid0(VALU_DEP_2) | instskip(NEXT) | instid1(VALU_DEP_1)
	v_dual_cndmask_b32 v4, 0, v4, s10 :: v_dual_cndmask_b32 v6, v6, v5, vcc_lo
	v_cndmask_b32_e64 v4, v4, 0x78, vcc_lo
	s_delay_alu instid0(VALU_DEP_1) | instskip(NEXT) | instid1(VALU_DEP_1)
	v_add_nc_u32_e32 v5, 20, v4
	v_lshlrev_b64_e64 v[8:9], v5, -1
	v_add_nc_u32_e32 v5, 19, v4
	s_delay_alu instid0(VALU_DEP_1) | instskip(NEXT) | instid1(VALU_DEP_3)
	v_lshlrev_b64_e64 v[22:23], v5, 1
	v_bfi_b32 v9, v9, 0, 0
	s_delay_alu instid0(VALU_DEP_4) | instskip(NEXT) | instid1(VALU_DEP_1)
	v_bfi_b32 v8, v8, 0, v6
	v_cmp_eq_u64_e64 s10, v[8:9], v[22:23]
	v_lshrrev_b64 v[22:23], v4, v[6:7]
	s_delay_alu instid0(VALU_DEP_1)
	v_mov_b64_e32 v[116:117], v[22:23]
	s_and_saveexec_b32 s43, s10
; %bb.2092:                             ;   in Loop: Header=BB6_128 Depth=2
	v_bfe_u32 v6, v22, 20, 1
	v_mov_b32_e32 v7, v55
	s_delay_alu instid0(VALU_DEP_1) | instskip(NEXT) | instid1(VALU_DEP_1)
	v_add_nc_u64_e32 v[6:7], v[22:23], v[6:7]
	v_add_nc_u64_e32 v[116:117], -1, v[6:7]
; %bb.2093:                             ;   in Loop: Header=BB6_128 Depth=2
	s_or_b32 exec_lo, exec_lo, s43
	v_add_nc_u32_e32 v1, 0xffffff81, v1
	v_lshrrev_b32_e32 v5, 23, v22
	s_mov_b32 s10, exec_lo
	v_mov_b32_e32 v23, v55
	s_delay_alu instid0(VALU_DEP_3) | instskip(NEXT) | instid1(VALU_DEP_1)
	v_cndmask_b32_e64 v1, v1, 0xffffff82, vcc_lo
	v_add3_u32 v5, v4, v1, v5
	v_and_b32_e32 v1, 0xfffff, v116
	s_delay_alu instid0(VALU_DEP_1) | instskip(NEXT) | instid1(VALU_DEP_1)
	v_dual_add_nc_u32 v4, 6, v5 :: v_dual_add_nc_u32 v22, v1, v22
                                        ; implicit-def: $vgpr1
	v_cmpx_ne_u32_e32 0, v4
	s_xor_b32 s10, exec_lo, s10
; %bb.2094:                             ;   in Loop: Header=BB6_128 Depth=2
	s_delay_alu instid0(VALU_DEP_2) | instskip(SKIP_1) | instid1(VALU_DEP_1)
	v_cmp_lt_u64_e32 vcc_lo, 0xffffff, v[22:23]
	v_add_nc_u32_e32 v1, 7, v5
	v_cndmask_b32_e32 v1, v4, v1, vcc_lo
	v_cndmask_b32_e64 v4, 0, 1, vcc_lo
	s_delay_alu instid0(VALU_DEP_1)
	v_lshrrev_b64 v[22:23], v4, v[22:23]
; %bb.2095:                             ;   in Loop: Header=BB6_128 Depth=2
	s_and_not1_saveexec_b32 s10, s10
; %bb.2096:                             ;   in Loop: Header=BB6_128 Depth=2
	s_delay_alu instid0(VALU_DEP_1)
	v_bfe_u32 v1, v22, 23, 1
; %bb.2097:                             ;   in Loop: Header=BB6_128 Depth=2
	s_or_b32 exec_lo, exec_lo, s10
	s_delay_alu instid0(VALU_DEP_2) | instskip(NEXT) | instid1(VALU_DEP_2)
	v_lshrrev_b64 v[4:5], 20, v[22:23]
	v_cmp_gt_i32_e32 vcc_lo, 16, v1
	v_min_i32_e32 v6, 15, v1
	v_cmp_eq_u32_e64 s10, 0, v1
	s_delay_alu instid0(VALU_DEP_2) | instskip(SKIP_1) | instid1(VALU_DEP_2)
	v_dual_cndmask_b32 v4, 7, v4, vcc_lo :: v_dual_lshlrev_b32 v6, 3, v6
	v_cndmask_b32_e32 v5, 0, v5, vcc_lo
	v_and_b32_e32 v6, 0xf8, v6
	s_delay_alu instid0(VALU_DEP_2) | instskip(NEXT) | instid1(VALU_DEP_2)
	v_cmp_eq_u64_e32 vcc_lo, 0, v[4:5]
	v_and_or_b32 v1, v4, 7, v6
	s_and_b32 s10, s10, vcc_lo
	s_delay_alu instid0(VALU_DEP_1) | instid1(SALU_CYCLE_1)
	v_cndmask_b32_e64 v1, v1, 0, s10
	s_delay_alu instid0(VALU_DEP_1)
	v_or_b32_e32 v116, v1, v0
.LBB6_2098:                             ;   in Loop: Header=BB6_128 Depth=2
	s_or_b32 exec_lo, exec_lo, s42
                                        ; implicit-def: $vgpr0
.LBB6_2099:                             ;   in Loop: Header=BB6_128 Depth=2
	s_and_not1_saveexec_b32 s10, s41
; %bb.2100:                             ;   in Loop: Header=BB6_128 Depth=2
	v_or_b32_e32 v116, 0x7e, v0
; %bb.2101:                             ;   in Loop: Header=BB6_128 Depth=2
	s_or_b32 exec_lo, exec_lo, s10
                                        ; implicit-def: $vgpr0
.LBB6_2102:                             ;   in Loop: Header=BB6_128 Depth=2
	s_and_not1_saveexec_b32 s10, s40
; %bb.2103:                             ;   in Loop: Header=BB6_128 Depth=2
	v_or_b32_e32 v116, 0x7f, v0
; %bb.2104:                             ;   in Loop: Header=BB6_128 Depth=2
	s_or_b32 exec_lo, exec_lo, s10
	v_dual_mov_b32 v0, 0 :: v_dual_mov_b32 v1, 0
	s_mov_b32 s10, exec_lo
	v_cmpx_lt_u32_e32 0xffffff, v54
	s_cbranch_execz .LBB6_2112
; %bb.2105:                             ;   in Loop: Header=BB6_128 Depth=2
	v_lshrrev_b32_e32 v4, 24, v54
	v_bfrev_b32_e32 v1, 1
	s_mov_b32 s40, exec_lo
	s_delay_alu instid0(VALU_DEP_2)
	v_cmpx_ne_u32_e32 0x80, v4
	s_cbranch_execz .LBB6_2111
; %bb.2106:                             ;   in Loop: Header=BB6_128 Depth=2
	v_bfe_u32 v5, v54, 24, 7
	v_mov_b32_e32 v1, 0x7f800001
	s_mov_b32 s41, exec_lo
	s_delay_alu instid0(VALU_DEP_2)
	v_cmpx_ne_u32_e32 0x7f, v5
	s_cbranch_execz .LBB6_2110
; %bb.2107:                             ;   in Loop: Header=BB6_128 Depth=2
	v_dual_lshrrev_b32 v1, 3, v5 :: v_dual_bitop2_b32 v54, 7, v4 bitop3:0x40
	s_mov_b32 s42, exec_lo
	s_delay_alu instid0(VALU_DEP_1)
	v_mov_b64_e32 v[22:23], v[54:55]
	v_cmpx_gt_u32_e32 8, v5
; %bb.2108:                             ;   in Loop: Header=BB6_128 Depth=2
	v_clz_i32_u32_e32 v1, v54
	s_delay_alu instid0(VALU_DEP_1) | instskip(NEXT) | instid1(VALU_DEP_1)
	v_min_u32_e32 v1, 32, v1
	v_subrev_nc_u32_e32 v5, 28, v1
	s_delay_alu instid0(VALU_DEP_1) | instskip(NEXT) | instid1(VALU_DEP_1)
	v_lshlrev_b64_e32 v[6:7], v5, v[54:55]
	v_dual_sub_nc_u32 v1, 29, v1 :: v_dual_bitop2_b32 v22, 7, v6 bitop3:0x40
; %bb.2109:                             ;   in Loop: Header=BB6_128 Depth=2
	s_or_b32 exec_lo, exec_lo, s42
	s_delay_alu instid0(VALU_DEP_1) | instskip(NEXT) | instid1(VALU_DEP_2)
	v_dual_lshlrev_b32 v4, 24, v4 :: v_dual_lshlrev_b32 v5, 20, v22
	v_lshl_add_u32 v1, v1, 23, 0x3c000000
	s_delay_alu instid0(VALU_DEP_2) | instskip(NEXT) | instid1(VALU_DEP_1)
	v_and_b32_e32 v4, 0x80000000, v4
	v_or3_b32 v1, v5, v4, v1
.LBB6_2110:                             ;   in Loop: Header=BB6_128 Depth=2
	s_or_b32 exec_lo, exec_lo, s41
.LBB6_2111:                             ;   in Loop: Header=BB6_128 Depth=2
	s_delay_alu instid0(SALU_CYCLE_1)
	s_or_b32 exec_lo, exec_lo, s40
.LBB6_2112:                             ;   in Loop: Header=BB6_128 Depth=2
	s_delay_alu instid0(SALU_CYCLE_1) | instskip(NEXT) | instid1(SALU_CYCLE_1)
	s_or_b32 exec_lo, exec_lo, s10
	s_mov_b32 s10, exec_lo
	v_cmpx_lt_u64_e64 s[14:15], v[24:25]
	s_cbranch_execz .LBB6_2120
; %bb.2113:                             ;   in Loop: Header=BB6_128 Depth=2
	v_lshrrev_b32_e32 v4, 24, v25
	v_bfrev_b32_e32 v0, 1
	s_mov_b32 s40, exec_lo
	s_delay_alu instid0(VALU_DEP_2)
	v_cmpx_ne_u32_e32 0x80, v4
	s_cbranch_execz .LBB6_2119
; %bb.2114:                             ;   in Loop: Header=BB6_128 Depth=2
	v_bfe_u32 v5, v25, 24, 7
	v_mov_b32_e32 v0, 0x7f800001
	s_mov_b32 s41, exec_lo
	s_delay_alu instid0(VALU_DEP_2)
	v_cmpx_ne_u32_e32 0x7f, v5
	s_cbranch_execz .LBB6_2118
; %bb.2115:                             ;   in Loop: Header=BB6_128 Depth=2
	v_dual_lshrrev_b32 v0, 3, v5 :: v_dual_bitop2_b32 v54, 7, v4 bitop3:0x40
	s_mov_b32 s42, exec_lo
	s_delay_alu instid0(VALU_DEP_1)
	v_mov_b64_e32 v[22:23], v[54:55]
	v_cmpx_gt_u32_e32 8, v5
; %bb.2116:                             ;   in Loop: Header=BB6_128 Depth=2
	v_clz_i32_u32_e32 v0, v54
	s_delay_alu instid0(VALU_DEP_1) | instskip(NEXT) | instid1(VALU_DEP_1)
	v_min_u32_e32 v0, 32, v0
	v_subrev_nc_u32_e32 v5, 28, v0
	s_delay_alu instid0(VALU_DEP_1) | instskip(NEXT) | instid1(VALU_DEP_1)
	v_lshlrev_b64_e32 v[6:7], v5, v[54:55]
	v_dual_sub_nc_u32 v0, 29, v0 :: v_dual_bitop2_b32 v22, 7, v6 bitop3:0x40
; %bb.2117:                             ;   in Loop: Header=BB6_128 Depth=2
	s_or_b32 exec_lo, exec_lo, s42
	s_delay_alu instid0(VALU_DEP_1) | instskip(NEXT) | instid1(VALU_DEP_2)
	v_dual_lshlrev_b32 v4, 24, v4 :: v_dual_lshlrev_b32 v5, 20, v22
	v_lshl_add_u32 v0, v0, 23, 0x3c000000
	s_delay_alu instid0(VALU_DEP_2) | instskip(NEXT) | instid1(VALU_DEP_1)
	v_and_b32_e32 v4, 0x80000000, v4
	v_or3_b32 v0, v5, v4, v0
.LBB6_2118:                             ;   in Loop: Header=BB6_128 Depth=2
	s_or_b32 exec_lo, exec_lo, s41
.LBB6_2119:                             ;   in Loop: Header=BB6_128 Depth=2
	s_delay_alu instid0(SALU_CYCLE_1)
	s_or_b32 exec_lo, exec_lo, s40
.LBB6_2120:                             ;   in Loop: Header=BB6_128 Depth=2
	s_delay_alu instid0(SALU_CYCLE_1) | instskip(NEXT) | instid1(VALU_DEP_1)
	s_or_b32 exec_lo, exec_lo, s10
	v_add_f32_e32 v1, v1, v0
                                        ; implicit-def: $vgpr117
	s_mov_b32 s10, exec_lo
	s_delay_alu instid0(VALU_DEP_1) | instskip(SKIP_1) | instid1(VALU_DEP_2)
	v_and_b32_e32 v54, 0x7f800000, v1
	v_lshrrev_b32_e32 v0, 24, v1
	v_cmpx_ne_u64_e32 0x7f800000, v[54:55]
	s_xor_b32 s40, exec_lo, s10
	s_cbranch_execz .LBB6_2134
; %bb.2121:                             ;   in Loop: Header=BB6_128 Depth=2
	v_and_b32_e32 v54, 0x7fffffff, v1
	v_and_b32_e32 v0, 0x80, v0
                                        ; implicit-def: $vgpr117
	s_mov_b32 s10, exec_lo
	s_delay_alu instid0(VALU_DEP_2)
	v_cmpx_gt_u64_e32 0x43e00001, v[54:55]
	s_xor_b32 s41, exec_lo, s10
	s_cbranch_execz .LBB6_2131
; %bb.2122:                             ;   in Loop: Header=BB6_128 Depth=2
	v_mov_b32_e32 v117, 0
	s_mov_b32 s42, exec_lo
	v_cmpx_ne_u32_e32 0, v1
	s_cbranch_execz .LBB6_2130
; %bb.2123:                             ;   in Loop: Header=BB6_128 Depth=2
	v_and_b32_e32 v5, 0x7fffff, v1
	v_bfe_u32 v1, v1, 23, 8
	s_mov_b32 s43, exec_lo
	s_delay_alu instid0(VALU_DEP_2) | instskip(NEXT) | instid1(VALU_DEP_2)
	v_or_b32_e32 v6, 0x800000, v5
	v_cmp_gt_u32_e64 s10, 0x7a, v1
	v_sub_nc_u32_e32 v4, 0x79, v1
	v_cmp_eq_u32_e32 vcc_lo, 0, v1
	s_delay_alu instid0(VALU_DEP_2) | instskip(NEXT) | instid1(VALU_DEP_1)
	v_dual_cndmask_b32 v4, 0, v4, s10 :: v_dual_cndmask_b32 v54, v6, v5, vcc_lo
	v_cndmask_b32_e64 v4, v4, 0x78, vcc_lo
	s_delay_alu instid0(VALU_DEP_1) | instskip(NEXT) | instid1(VALU_DEP_3)
	v_add_nc_u32_e32 v5, 20, v4
	v_lshrrev_b64 v[22:23], v4, v[54:55]
	s_delay_alu instid0(VALU_DEP_2) | instskip(SKIP_1) | instid1(VALU_DEP_3)
	v_lshlrev_b64_e64 v[6:7], v5, -1
	v_add_nc_u32_e32 v5, 19, v4
	v_mov_b64_e32 v[24:25], v[22:23]
	s_delay_alu instid0(VALU_DEP_2) | instskip(NEXT) | instid1(VALU_DEP_4)
	v_lshlrev_b64_e64 v[8:9], v5, 1
	v_bfi_b32 v7, v7, 0, 0
	v_bfi_b32 v6, v6, 0, v54
	s_delay_alu instid0(VALU_DEP_1)
	v_cmpx_eq_u64_e64 v[6:7], v[8:9]
; %bb.2124:                             ;   in Loop: Header=BB6_128 Depth=2
	v_bfe_u32 v54, v22, 20, 1
	s_delay_alu instid0(VALU_DEP_1) | instskip(NEXT) | instid1(VALU_DEP_1)
	v_add_nc_u64_e32 v[6:7], v[22:23], v[54:55]
	v_add_nc_u64_e32 v[24:25], -1, v[6:7]
; %bb.2125:                             ;   in Loop: Header=BB6_128 Depth=2
	s_or_b32 exec_lo, exec_lo, s43
	v_add_nc_u32_e32 v1, 0xffffff81, v1
	v_lshrrev_b32_e32 v5, 23, v22
	s_mov_b32 s10, exec_lo
	s_delay_alu instid0(VALU_DEP_2) | instskip(NEXT) | instid1(VALU_DEP_1)
	v_cndmask_b32_e64 v1, v1, 0xffffff82, vcc_lo
	v_add3_u32 v5, v4, v1, v5
	v_and_b32_e32 v1, 0xfffff, v24
	s_delay_alu instid0(VALU_DEP_1) | instskip(NEXT) | instid1(VALU_DEP_1)
	v_dual_add_nc_u32 v4, 6, v5 :: v_dual_add_nc_u32 v54, v1, v22
                                        ; implicit-def: $vgpr22_vgpr23
                                        ; implicit-def: $vgpr1
	v_cmpx_ne_u32_e32 0, v4
	s_xor_b32 s10, exec_lo, s10
; %bb.2126:                             ;   in Loop: Header=BB6_128 Depth=2
	s_delay_alu instid0(VALU_DEP_2) | instskip(SKIP_1) | instid1(VALU_DEP_1)
	v_cmp_lt_u64_e32 vcc_lo, 0xffffff, v[54:55]
	v_add_nc_u32_e32 v1, 7, v5
	v_cndmask_b32_e32 v1, v4, v1, vcc_lo
	v_cndmask_b32_e64 v4, 0, 1, vcc_lo
	s_delay_alu instid0(VALU_DEP_1)
	v_lshrrev_b64 v[22:23], v4, v[54:55]
; %bb.2127:                             ;   in Loop: Header=BB6_128 Depth=2
	s_and_not1_saveexec_b32 s10, s10
; %bb.2128:                             ;   in Loop: Header=BB6_128 Depth=2
	v_mov_b64_e32 v[22:23], v[54:55]
	v_bfe_u32 v1, v54, 23, 1
; %bb.2129:                             ;   in Loop: Header=BB6_128 Depth=2
	s_or_b32 exec_lo, exec_lo, s10
	s_delay_alu instid0(VALU_DEP_2) | instskip(NEXT) | instid1(VALU_DEP_2)
	v_lshrrev_b64 v[4:5], 20, v[22:23]
	v_cmp_gt_i32_e32 vcc_lo, 16, v1
	v_min_i32_e32 v6, 15, v1
	v_cmp_eq_u32_e64 s10, 0, v1
	s_delay_alu instid0(VALU_DEP_2) | instskip(SKIP_1) | instid1(VALU_DEP_2)
	v_dual_cndmask_b32 v4, 7, v4, vcc_lo :: v_dual_lshlrev_b32 v6, 3, v6
	v_cndmask_b32_e32 v5, 0, v5, vcc_lo
	v_and_b32_e32 v6, 0xf8, v6
	s_delay_alu instid0(VALU_DEP_2) | instskip(NEXT) | instid1(VALU_DEP_2)
	v_cmp_eq_u64_e32 vcc_lo, 0, v[4:5]
	v_and_or_b32 v1, v4, 7, v6
	s_and_b32 s10, s10, vcc_lo
	s_delay_alu instid0(VALU_DEP_1) | instid1(SALU_CYCLE_1)
	v_cndmask_b32_e64 v1, v1, 0, s10
	s_delay_alu instid0(VALU_DEP_1)
	v_or_b32_e32 v117, v1, v0
.LBB6_2130:                             ;   in Loop: Header=BB6_128 Depth=2
	s_or_b32 exec_lo, exec_lo, s42
                                        ; implicit-def: $vgpr0
.LBB6_2131:                             ;   in Loop: Header=BB6_128 Depth=2
	s_and_not1_saveexec_b32 s10, s41
; %bb.2132:                             ;   in Loop: Header=BB6_128 Depth=2
	v_or_b32_e32 v117, 0x7e, v0
; %bb.2133:                             ;   in Loop: Header=BB6_128 Depth=2
	s_or_b32 exec_lo, exec_lo, s10
                                        ; implicit-def: $vgpr0
.LBB6_2134:                             ;   in Loop: Header=BB6_128 Depth=2
	s_and_not1_saveexec_b32 s10, s40
; %bb.2135:                             ;   in Loop: Header=BB6_128 Depth=2
	v_or_b32_e32 v117, 0x7f, v0
; %bb.2136:                             ;   in Loop: Header=BB6_128 Depth=2
	s_or_b32 exec_lo, exec_lo, s10
	v_lshl_or_b32 v0, v36, 8, v52
	v_dual_lshlrev_b32 v1, 16, v37 :: v_dual_lshlrev_b32 v4, 24, v26
	s_mov_b32 s10, exec_lo
	s_delay_alu instid0(VALU_DEP_1)
	v_or3_b32 v54, v1, v4, v0
	v_dual_mov_b32 v1, 0 :: v_dual_mov_b32 v4, 0
	v_cmpx_ne_u32_e32 0, v52
	s_cbranch_execz .LBB6_2142
; %bb.2137:                             ;   in Loop: Header=BB6_128 Depth=2
	v_bfrev_b32_e32 v4, 1
	s_mov_b32 s40, exec_lo
	v_cmpx_ne_u32_e32 0x80, v52
	s_cbranch_execz .LBB6_2141
; %bb.2138:                             ;   in Loop: Header=BB6_128 Depth=2
	v_and_b32_e32 v5, 0x7f, v52
	v_mov_b32_e32 v4, 0x7f800001
	s_mov_b32 s41, exec_lo
	s_delay_alu instid0(VALU_DEP_2)
	v_cmpx_ne_u32_e32 0x7f, v5
	s_cbranch_execz .LBB6_2140
; %bb.2139:                             ;   in Loop: Header=BB6_128 Depth=2
	v_dual_lshrrev_b32 v6, 3, v5 :: v_dual_bitop2_b32 v4, 7, v52 bitop3:0x40
	v_cmp_gt_u32_e32 vcc_lo, 8, v5
	s_delay_alu instid0(VALU_DEP_2) | instskip(NEXT) | instid1(VALU_DEP_1)
	v_clz_i32_u32_e32 v4, v4
	v_min_u32_e32 v4, 32, v4
	s_delay_alu instid0(VALU_DEP_1) | instskip(SKIP_1) | instid1(VALU_DEP_1)
	v_subrev_nc_u32_e32 v5, 28, v4
	v_sub_nc_u32_e32 v4, 29, v4
	v_dual_cndmask_b32 v6, v6, v4, vcc_lo :: v_dual_cndmask_b32 v4, 0, v5, vcc_lo
	s_delay_alu instid0(VALU_DEP_1) | instskip(NEXT) | instid1(VALU_DEP_2)
	v_lshl_add_u32 v6, v6, 23, 0x3c000000
	v_lshlrev_b64_e32 v[4:5], v4, v[54:55]
	v_lshlrev_b32_e32 v5, 24, v54
	s_delay_alu instid0(VALU_DEP_1) | instskip(NEXT) | instid1(VALU_DEP_3)
	v_and_b32_e32 v5, 0x80000000, v5
	v_lshlrev_b32_e32 v4, 20, v4
	s_delay_alu instid0(VALU_DEP_1) | instskip(NEXT) | instid1(VALU_DEP_1)
	v_and_b32_e32 v4, 0x700000, v4
	v_or3_b32 v4, v4, v5, v6
.LBB6_2140:                             ;   in Loop: Header=BB6_128 Depth=2
	s_or_b32 exec_lo, exec_lo, s41
.LBB6_2141:                             ;   in Loop: Header=BB6_128 Depth=2
	s_delay_alu instid0(SALU_CYCLE_1)
	s_or_b32 exec_lo, exec_lo, s40
.LBB6_2142:                             ;   in Loop: Header=BB6_128 Depth=2
	s_delay_alu instid0(SALU_CYCLE_1) | instskip(SKIP_3) | instid1(VALU_DEP_1)
	s_or_b32 exec_lo, exec_lo, s10
	s_wait_loadcnt 0x2
	v_and_b32_e32 v5, 0xff, v18
	s_mov_b32 s10, exec_lo
	v_cmpx_ne_u16_e32 0, v5
	s_cbranch_execz .LBB6_2148
; %bb.2143:                             ;   in Loop: Header=BB6_128 Depth=2
	v_bfrev_b32_e32 v1, 1
	s_mov_b32 s40, exec_lo
	v_cmpx_ne_u16_e32 0x80, v5
	s_cbranch_execz .LBB6_2147
; %bb.2144:                             ;   in Loop: Header=BB6_128 Depth=2
	v_and_b32_e32 v5, 0x7f, v18
	v_mov_b32_e32 v1, 0x7f800001
	s_mov_b32 s41, exec_lo
	s_delay_alu instid0(VALU_DEP_2)
	v_cmpx_ne_u32_e32 0x7f, v5
	s_cbranch_execz .LBB6_2146
; %bb.2145:                             ;   in Loop: Header=BB6_128 Depth=2
	v_dual_lshrrev_b32 v6, 3, v5 :: v_dual_bitop2_b32 v1, 7, v18 bitop3:0x40
	v_cmp_gt_u32_e32 vcc_lo, 8, v5
	s_delay_alu instid0(VALU_DEP_2) | instskip(NEXT) | instid1(VALU_DEP_1)
	v_clz_i32_u32_e32 v1, v1
	v_min_u32_e32 v1, 32, v1
	s_delay_alu instid0(VALU_DEP_1) | instskip(SKIP_1) | instid1(VALU_DEP_2)
	v_subrev_nc_u32_e32 v5, 28, v1
	v_sub_nc_u32_e32 v1, 29, v1
	v_cndmask_b32_e32 v5, 0, v5, vcc_lo
	s_delay_alu instid0(VALU_DEP_2) | instskip(NEXT) | instid1(VALU_DEP_2)
	v_cndmask_b32_e32 v1, v6, v1, vcc_lo
	v_lshlrev_b64_e32 v[6:7], v5, v[18:19]
	s_delay_alu instid0(VALU_DEP_1) | instskip(SKIP_1) | instid1(VALU_DEP_4)
	v_lshlrev_b32_e32 v5, 20, v6
	v_lshlrev_b32_e32 v6, 24, v18
	v_lshl_add_u32 v1, v1, 23, 0x3c000000
	s_delay_alu instid0(VALU_DEP_3) | instskip(NEXT) | instid1(VALU_DEP_3)
	v_and_b32_e32 v5, 0x700000, v5
	v_and_b32_e32 v6, 0x80000000, v6
	s_delay_alu instid0(VALU_DEP_1)
	v_or3_b32 v1, v5, v6, v1
.LBB6_2146:                             ;   in Loop: Header=BB6_128 Depth=2
	s_or_b32 exec_lo, exec_lo, s41
.LBB6_2147:                             ;   in Loop: Header=BB6_128 Depth=2
	s_delay_alu instid0(SALU_CYCLE_1)
	s_or_b32 exec_lo, exec_lo, s40
.LBB6_2148:                             ;   in Loop: Header=BB6_128 Depth=2
	s_delay_alu instid0(SALU_CYCLE_1) | instskip(NEXT) | instid1(VALU_DEP_1)
	s_or_b32 exec_lo, exec_lo, s10
	v_dual_add_f32 v4, v4, v1 :: v_dual_mov_b32 v7, v55
                                        ; implicit-def: $vgpr36
	s_mov_b32 s10, exec_lo
	s_delay_alu instid0(VALU_DEP_1) | instskip(SKIP_1) | instid1(VALU_DEP_2)
	v_and_b32_e32 v6, 0x7f800000, v4
	v_lshrrev_b32_e32 v1, 24, v4
	v_cmpx_ne_u64_e32 0x7f800000, v[6:7]
	s_xor_b32 s40, exec_lo, s10
	s_cbranch_execz .LBB6_2162
; %bb.2149:                             ;   in Loop: Header=BB6_128 Depth=2
	v_and_b32_e32 v6, 0x7fffffff, v4
	v_mov_b32_e32 v7, v55
	v_and_b32_e32 v1, 0x80, v1
                                        ; implicit-def: $vgpr36
	s_mov_b32 s10, exec_lo
	s_delay_alu instid0(VALU_DEP_2)
	v_cmpx_gt_u64_e32 0x43e00001, v[6:7]
	s_xor_b32 s41, exec_lo, s10
	s_cbranch_execz .LBB6_2159
; %bb.2150:                             ;   in Loop: Header=BB6_128 Depth=2
	v_mov_b32_e32 v36, 0
	s_mov_b32 s42, exec_lo
	v_cmpx_ne_u32_e32 0, v4
	s_cbranch_execz .LBB6_2158
; %bb.2151:                             ;   in Loop: Header=BB6_128 Depth=2
	v_and_b32_e32 v6, 0x7fffff, v4
	v_bfe_u32 v4, v4, 23, 8
	s_delay_alu instid0(VALU_DEP_2) | instskip(NEXT) | instid1(VALU_DEP_2)
	v_or_b32_e32 v7, 0x800000, v6
	v_cmp_eq_u32_e32 vcc_lo, 0, v4
	v_cmp_gt_u32_e64 s10, 0x7a, v4
	s_delay_alu instid0(VALU_DEP_3) | instskip(NEXT) | instid1(VALU_DEP_1)
	v_dual_cndmask_b32 v6, v7, v6 :: v_dual_sub_nc_u32 v5, 0x79, v4
	v_dual_mov_b32 v7, v55 :: v_dual_cndmask_b32 v5, 0, v5, s10
	s_delay_alu instid0(VALU_DEP_1) | instskip(NEXT) | instid1(VALU_DEP_1)
	v_cndmask_b32_e64 v5, v5, 0x78, vcc_lo
	v_dual_add_nc_u32 v8, 20, v5 :: v_dual_add_nc_u32 v22, 19, v5
	s_delay_alu instid0(VALU_DEP_1) | instskip(NEXT) | instid1(VALU_DEP_2)
	v_lshlrev_b64_e64 v[8:9], v8, -1
	v_lshlrev_b64_e64 v[22:23], v22, 1
	s_delay_alu instid0(VALU_DEP_2) | instskip(NEXT) | instid1(VALU_DEP_3)
	v_bfi_b32 v9, v9, 0, 0
	v_bfi_b32 v8, v8, 0, v6
	s_delay_alu instid0(VALU_DEP_1) | instskip(SKIP_1) | instid1(VALU_DEP_1)
	v_cmp_eq_u64_e64 s10, v[8:9], v[22:23]
	v_lshrrev_b64 v[22:23], v5, v[6:7]
	v_mov_b64_e32 v[24:25], v[22:23]
	s_and_saveexec_b32 s43, s10
; %bb.2152:                             ;   in Loop: Header=BB6_128 Depth=2
	v_bfe_u32 v6, v22, 20, 1
	v_mov_b32_e32 v7, v55
	s_delay_alu instid0(VALU_DEP_1) | instskip(NEXT) | instid1(VALU_DEP_1)
	v_add_nc_u64_e32 v[6:7], v[22:23], v[6:7]
	v_add_nc_u64_e32 v[24:25], -1, v[6:7]
; %bb.2153:                             ;   in Loop: Header=BB6_128 Depth=2
	s_or_b32 exec_lo, exec_lo, s43
	v_dual_mov_b32 v23, v55 :: v_dual_add_nc_u32 v4, 0xffffff81, v4
	v_lshrrev_b32_e32 v6, 23, v22
	s_mov_b32 s10, exec_lo
	s_delay_alu instid0(VALU_DEP_2) | instskip(NEXT) | instid1(VALU_DEP_1)
	v_cndmask_b32_e64 v4, v4, 0xffffff82, vcc_lo
	v_add3_u32 v6, v5, v4, v6
	v_and_b32_e32 v4, 0xfffff, v24
	s_delay_alu instid0(VALU_DEP_2) | instskip(NEXT) | instid1(VALU_DEP_2)
	v_add_nc_u32_e32 v5, 6, v6
	v_add_nc_u32_e32 v22, v4, v22
                                        ; implicit-def: $vgpr4
	s_delay_alu instid0(VALU_DEP_2)
	v_cmpx_ne_u32_e32 0, v5
	s_xor_b32 s10, exec_lo, s10
; %bb.2154:                             ;   in Loop: Header=BB6_128 Depth=2
	s_delay_alu instid0(VALU_DEP_2) | instskip(SKIP_1) | instid1(VALU_DEP_1)
	v_cmp_lt_u64_e32 vcc_lo, 0xffffff, v[22:23]
	v_add_nc_u32_e32 v4, 7, v6
	v_cndmask_b32_e32 v4, v5, v4, vcc_lo
	v_cndmask_b32_e64 v5, 0, 1, vcc_lo
	s_delay_alu instid0(VALU_DEP_1)
	v_lshrrev_b64 v[22:23], v5, v[22:23]
; %bb.2155:                             ;   in Loop: Header=BB6_128 Depth=2
	s_and_not1_saveexec_b32 s10, s10
; %bb.2156:                             ;   in Loop: Header=BB6_128 Depth=2
	s_delay_alu instid0(VALU_DEP_1)
	v_bfe_u32 v4, v22, 23, 1
; %bb.2157:                             ;   in Loop: Header=BB6_128 Depth=2
	s_or_b32 exec_lo, exec_lo, s10
	s_delay_alu instid0(VALU_DEP_2) | instskip(NEXT) | instid1(VALU_DEP_2)
	v_lshrrev_b64 v[6:7], 20, v[22:23]
	v_cmp_gt_i32_e32 vcc_lo, 16, v4
	v_min_i32_e32 v5, 15, v4
	v_cmp_eq_u32_e64 s10, 0, v4
	s_delay_alu instid0(VALU_DEP_2) | instskip(SKIP_1) | instid1(VALU_DEP_2)
	v_dual_cndmask_b32 v7, 0, v7, vcc_lo :: v_dual_lshlrev_b32 v5, 3, v5
	v_cndmask_b32_e32 v6, 7, v6, vcc_lo
	v_and_b32_e32 v5, 0xf8, v5
	s_delay_alu instid0(VALU_DEP_2) | instskip(NEXT) | instid1(VALU_DEP_2)
	v_cmp_eq_u64_e32 vcc_lo, 0, v[6:7]
	v_and_or_b32 v4, v6, 7, v5
	s_and_b32 s10, s10, vcc_lo
	s_delay_alu instid0(VALU_DEP_1) | instid1(SALU_CYCLE_1)
	v_cndmask_b32_e64 v4, v4, 0, s10
	s_delay_alu instid0(VALU_DEP_1)
	v_or_b32_e32 v36, v4, v1
.LBB6_2158:                             ;   in Loop: Header=BB6_128 Depth=2
	s_or_b32 exec_lo, exec_lo, s42
                                        ; implicit-def: $vgpr1
.LBB6_2159:                             ;   in Loop: Header=BB6_128 Depth=2
	s_and_not1_saveexec_b32 s10, s41
; %bb.2160:                             ;   in Loop: Header=BB6_128 Depth=2
	v_or_b32_e32 v36, 0x7e, v1
; %bb.2161:                             ;   in Loop: Header=BB6_128 Depth=2
	s_or_b32 exec_lo, exec_lo, s10
                                        ; implicit-def: $vgpr1
.LBB6_2162:                             ;   in Loop: Header=BB6_128 Depth=2
	s_and_not1_saveexec_b32 s10, s40
; %bb.2163:                             ;   in Loop: Header=BB6_128 Depth=2
	v_or_b32_e32 v36, 0x7f, v1
; %bb.2164:                             ;   in Loop: Header=BB6_128 Depth=2
	s_or_b32 exec_lo, exec_lo, s10
	v_lshrrev_b16 v5, 8, v0
	v_dual_mov_b32 v1, 0 :: v_dual_mov_b32 v4, 0
	s_mov_b32 s10, exec_lo
	s_delay_alu instid0(VALU_DEP_2)
	v_cmpx_ne_u16_e32 0, v5
	s_cbranch_execz .LBB6_2172
; %bb.2165:                             ;   in Loop: Header=BB6_128 Depth=2
	v_bfrev_b32_e32 v4, 1
	s_mov_b32 s40, exec_lo
	v_cmpx_ne_u16_e32 0x80, v5
	s_cbranch_execz .LBB6_2171
; %bb.2166:                             ;   in Loop: Header=BB6_128 Depth=2
	v_and_b32_e32 v6, 0xffff, v5
	v_mov_b32_e32 v4, 0x7f800001
	s_mov_b32 s41, exec_lo
	s_delay_alu instid0(VALU_DEP_2) | instskip(NEXT) | instid1(VALU_DEP_1)
	v_and_b32_e32 v5, 0x7f, v6
	v_cmpx_ne_u32_e32 0x7f, v5
	s_cbranch_execz .LBB6_2170
; %bb.2167:                             ;   in Loop: Header=BB6_128 Depth=2
	v_dual_mov_b32 v23, v55 :: v_dual_bitop2_b32 v22, 7, v6 bitop3:0x40
	v_lshrrev_b32_e32 v4, 3, v5
	s_mov_b32 s42, exec_lo
	v_cmpx_gt_u32_e32 8, v5
; %bb.2168:                             ;   in Loop: Header=BB6_128 Depth=2
	s_delay_alu instid0(VALU_DEP_3) | instskip(NEXT) | instid1(VALU_DEP_1)
	v_clz_i32_u32_e32 v4, v22
	v_min_u32_e32 v4, 32, v4
	s_delay_alu instid0(VALU_DEP_1) | instskip(NEXT) | instid1(VALU_DEP_1)
	v_subrev_nc_u32_e32 v5, 28, v4
	v_lshlrev_b64_e32 v[6:7], v5, v[22:23]
	s_delay_alu instid0(VALU_DEP_1)
	v_dual_sub_nc_u32 v4, 29, v4 :: v_dual_bitop2_b32 v22, 7, v6 bitop3:0x40
; %bb.2169:                             ;   in Loop: Header=BB6_128 Depth=2
	s_or_b32 exec_lo, exec_lo, s42
	s_delay_alu instid0(VALU_DEP_1) | instskip(NEXT) | instid1(VALU_DEP_2)
	v_dual_lshlrev_b32 v0, 16, v0 :: v_dual_lshlrev_b32 v5, 20, v22
	v_lshl_add_u32 v4, v4, 23, 0x3c000000
	s_delay_alu instid0(VALU_DEP_2) | instskip(NEXT) | instid1(VALU_DEP_1)
	v_and_b32_e32 v0, 0x80000000, v0
	v_or3_b32 v4, v5, v0, v4
.LBB6_2170:                             ;   in Loop: Header=BB6_128 Depth=2
	s_or_b32 exec_lo, exec_lo, s41
.LBB6_2171:                             ;   in Loop: Header=BB6_128 Depth=2
	s_delay_alu instid0(SALU_CYCLE_1)
	s_or_b32 exec_lo, exec_lo, s40
.LBB6_2172:                             ;   in Loop: Header=BB6_128 Depth=2
	s_delay_alu instid0(SALU_CYCLE_1) | instskip(SKIP_2) | instid1(VALU_DEP_1)
	s_or_b32 exec_lo, exec_lo, s10
	v_lshrrev_b16 v0, 8, v18
	s_mov_b32 s10, exec_lo
	v_cmpx_ne_u16_e32 0, v0
	s_cbranch_execz .LBB6_2180
; %bb.2173:                             ;   in Loop: Header=BB6_128 Depth=2
	v_bfrev_b32_e32 v1, 1
	s_mov_b32 s40, exec_lo
	v_cmpx_ne_u16_e32 0x80, v0
	s_cbranch_execz .LBB6_2179
; %bb.2174:                             ;   in Loop: Header=BB6_128 Depth=2
	v_and_b32_e32 v0, 0xffff, v0
	v_mov_b32_e32 v1, 0x7f800001
	s_mov_b32 s41, exec_lo
	s_delay_alu instid0(VALU_DEP_2) | instskip(NEXT) | instid1(VALU_DEP_1)
	v_and_b32_e32 v5, 0x7f, v0
	v_cmpx_ne_u32_e32 0x7f, v5
	s_cbranch_execz .LBB6_2178
; %bb.2175:                             ;   in Loop: Header=BB6_128 Depth=2
	v_dual_mov_b32 v23, v55 :: v_dual_bitop2_b32 v22, 7, v0 bitop3:0x40
	v_lshrrev_b32_e32 v0, 3, v5
	s_mov_b32 s42, exec_lo
	v_cmpx_gt_u32_e32 8, v5
; %bb.2176:                             ;   in Loop: Header=BB6_128 Depth=2
	s_delay_alu instid0(VALU_DEP_3) | instskip(NEXT) | instid1(VALU_DEP_1)
	v_clz_i32_u32_e32 v0, v22
	v_min_u32_e32 v0, 32, v0
	s_delay_alu instid0(VALU_DEP_1) | instskip(NEXT) | instid1(VALU_DEP_1)
	v_subrev_nc_u32_e32 v1, 28, v0
	v_lshlrev_b64_e32 v[6:7], v1, v[22:23]
	s_delay_alu instid0(VALU_DEP_1)
	v_dual_sub_nc_u32 v0, 29, v0 :: v_dual_bitop2_b32 v22, 7, v6 bitop3:0x40
; %bb.2177:                             ;   in Loop: Header=BB6_128 Depth=2
	s_or_b32 exec_lo, exec_lo, s42
	v_lshlrev_b32_e32 v1, 16, v18
	s_delay_alu instid0(VALU_DEP_2) | instskip(NEXT) | instid1(VALU_DEP_3)
	v_lshlrev_b32_e32 v5, 20, v22
	v_lshl_add_u32 v0, v0, 23, 0x3c000000
	s_delay_alu instid0(VALU_DEP_3) | instskip(NEXT) | instid1(VALU_DEP_1)
	v_and_b32_e32 v1, 0x80000000, v1
	v_or3_b32 v1, v5, v1, v0
.LBB6_2178:                             ;   in Loop: Header=BB6_128 Depth=2
	s_or_b32 exec_lo, exec_lo, s41
.LBB6_2179:                             ;   in Loop: Header=BB6_128 Depth=2
	s_delay_alu instid0(SALU_CYCLE_1)
	s_or_b32 exec_lo, exec_lo, s40
.LBB6_2180:                             ;   in Loop: Header=BB6_128 Depth=2
	s_delay_alu instid0(SALU_CYCLE_1) | instskip(NEXT) | instid1(VALU_DEP_1)
	s_or_b32 exec_lo, exec_lo, s10
	v_dual_add_f32 v1, v4, v1 :: v_dual_mov_b32 v5, v55
                                        ; implicit-def: $vgpr26
	s_mov_b32 s10, exec_lo
	s_delay_alu instid0(VALU_DEP_1) | instskip(SKIP_1) | instid1(VALU_DEP_2)
	v_and_b32_e32 v4, 0x7f800000, v1
	v_lshrrev_b32_e32 v0, 24, v1
	v_cmpx_ne_u64_e32 0x7f800000, v[4:5]
	s_xor_b32 s40, exec_lo, s10
	s_cbranch_execz .LBB6_2194
; %bb.2181:                             ;   in Loop: Header=BB6_128 Depth=2
	v_and_b32_e32 v4, 0x7fffffff, v1
	v_mov_b32_e32 v5, v55
	v_and_b32_e32 v0, 0x80, v0
                                        ; implicit-def: $vgpr26
	s_mov_b32 s10, exec_lo
	s_delay_alu instid0(VALU_DEP_2)
	v_cmpx_gt_u64_e32 0x43e00001, v[4:5]
	s_xor_b32 s41, exec_lo, s10
	s_cbranch_execz .LBB6_2191
; %bb.2182:                             ;   in Loop: Header=BB6_128 Depth=2
	v_mov_b32_e32 v26, 0
	s_mov_b32 s42, exec_lo
	v_cmpx_ne_u32_e32 0, v1
	s_cbranch_execz .LBB6_2190
; %bb.2183:                             ;   in Loop: Header=BB6_128 Depth=2
	v_and_b32_e32 v5, 0x7fffff, v1
	v_bfe_u32 v1, v1, 23, 8
	v_mov_b32_e32 v7, v55
	s_delay_alu instid0(VALU_DEP_3) | instskip(NEXT) | instid1(VALU_DEP_3)
	v_or_b32_e32 v6, 0x800000, v5
	v_cmp_gt_u32_e64 s10, 0x7a, v1
	v_sub_nc_u32_e32 v4, 0x79, v1
	v_cmp_eq_u32_e32 vcc_lo, 0, v1
	s_delay_alu instid0(VALU_DEP_2) | instskip(NEXT) | instid1(VALU_DEP_1)
	v_dual_cndmask_b32 v4, 0, v4, s10 :: v_dual_cndmask_b32 v6, v6, v5, vcc_lo
	v_cndmask_b32_e64 v4, v4, 0x78, vcc_lo
	s_delay_alu instid0(VALU_DEP_1) | instskip(NEXT) | instid1(VALU_DEP_1)
	v_add_nc_u32_e32 v5, 20, v4
	v_lshlrev_b64_e64 v[8:9], v5, -1
	v_add_nc_u32_e32 v5, 19, v4
	s_delay_alu instid0(VALU_DEP_1) | instskip(NEXT) | instid1(VALU_DEP_3)
	v_lshlrev_b64_e64 v[22:23], v5, 1
	v_bfi_b32 v9, v9, 0, 0
	s_delay_alu instid0(VALU_DEP_4) | instskip(NEXT) | instid1(VALU_DEP_1)
	v_bfi_b32 v8, v8, 0, v6
	v_cmp_eq_u64_e64 s10, v[8:9], v[22:23]
	v_lshrrev_b64 v[22:23], v4, v[6:7]
	s_delay_alu instid0(VALU_DEP_1)
	v_mov_b64_e32 v[24:25], v[22:23]
	s_and_saveexec_b32 s43, s10
; %bb.2184:                             ;   in Loop: Header=BB6_128 Depth=2
	v_bfe_u32 v6, v22, 20, 1
	v_mov_b32_e32 v7, v55
	s_delay_alu instid0(VALU_DEP_1) | instskip(NEXT) | instid1(VALU_DEP_1)
	v_add_nc_u64_e32 v[6:7], v[22:23], v[6:7]
	v_add_nc_u64_e32 v[24:25], -1, v[6:7]
; %bb.2185:                             ;   in Loop: Header=BB6_128 Depth=2
	s_or_b32 exec_lo, exec_lo, s43
	v_add_nc_u32_e32 v1, 0xffffff81, v1
	v_lshrrev_b32_e32 v5, 23, v22
	s_mov_b32 s10, exec_lo
	v_mov_b32_e32 v23, v55
	s_delay_alu instid0(VALU_DEP_3) | instskip(NEXT) | instid1(VALU_DEP_1)
	v_cndmask_b32_e64 v1, v1, 0xffffff82, vcc_lo
	v_add3_u32 v5, v4, v1, v5
	v_and_b32_e32 v1, 0xfffff, v24
	s_delay_alu instid0(VALU_DEP_1) | instskip(NEXT) | instid1(VALU_DEP_1)
	v_dual_add_nc_u32 v4, 6, v5 :: v_dual_add_nc_u32 v22, v1, v22
                                        ; implicit-def: $vgpr1
	v_cmpx_ne_u32_e32 0, v4
	s_xor_b32 s10, exec_lo, s10
; %bb.2186:                             ;   in Loop: Header=BB6_128 Depth=2
	s_delay_alu instid0(VALU_DEP_2) | instskip(SKIP_1) | instid1(VALU_DEP_1)
	v_cmp_lt_u64_e32 vcc_lo, 0xffffff, v[22:23]
	v_add_nc_u32_e32 v1, 7, v5
	v_cndmask_b32_e32 v1, v4, v1, vcc_lo
	v_cndmask_b32_e64 v4, 0, 1, vcc_lo
	s_delay_alu instid0(VALU_DEP_1)
	v_lshrrev_b64 v[22:23], v4, v[22:23]
; %bb.2187:                             ;   in Loop: Header=BB6_128 Depth=2
	s_and_not1_saveexec_b32 s10, s10
; %bb.2188:                             ;   in Loop: Header=BB6_128 Depth=2
	s_delay_alu instid0(VALU_DEP_1)
	v_bfe_u32 v1, v22, 23, 1
; %bb.2189:                             ;   in Loop: Header=BB6_128 Depth=2
	s_or_b32 exec_lo, exec_lo, s10
	s_delay_alu instid0(VALU_DEP_2) | instskip(NEXT) | instid1(VALU_DEP_2)
	v_lshrrev_b64 v[4:5], 20, v[22:23]
	v_cmp_gt_i32_e32 vcc_lo, 16, v1
	v_min_i32_e32 v6, 15, v1
	v_cmp_eq_u32_e64 s10, 0, v1
	s_delay_alu instid0(VALU_DEP_2) | instskip(SKIP_1) | instid1(VALU_DEP_2)
	v_dual_cndmask_b32 v4, 7, v4, vcc_lo :: v_dual_lshlrev_b32 v6, 3, v6
	v_cndmask_b32_e32 v5, 0, v5, vcc_lo
	v_and_b32_e32 v6, 0xf8, v6
	s_delay_alu instid0(VALU_DEP_2) | instskip(NEXT) | instid1(VALU_DEP_2)
	v_cmp_eq_u64_e32 vcc_lo, 0, v[4:5]
	v_and_or_b32 v1, v4, 7, v6
	s_and_b32 s10, s10, vcc_lo
	s_delay_alu instid0(VALU_DEP_1) | instid1(SALU_CYCLE_1)
	v_cndmask_b32_e64 v1, v1, 0, s10
	s_delay_alu instid0(VALU_DEP_1)
	v_or_b32_e32 v26, v1, v0
.LBB6_2190:                             ;   in Loop: Header=BB6_128 Depth=2
	s_or_b32 exec_lo, exec_lo, s42
                                        ; implicit-def: $vgpr0
.LBB6_2191:                             ;   in Loop: Header=BB6_128 Depth=2
	s_and_not1_saveexec_b32 s10, s41
; %bb.2192:                             ;   in Loop: Header=BB6_128 Depth=2
	v_or_b32_e32 v26, 0x7e, v0
; %bb.2193:                             ;   in Loop: Header=BB6_128 Depth=2
	s_or_b32 exec_lo, exec_lo, s10
                                        ; implicit-def: $vgpr0
.LBB6_2194:                             ;   in Loop: Header=BB6_128 Depth=2
	s_and_not1_saveexec_b32 s10, s40
; %bb.2195:                             ;   in Loop: Header=BB6_128 Depth=2
	v_or_b32_e32 v26, 0x7f, v0
; %bb.2196:                             ;   in Loop: Header=BB6_128 Depth=2
	s_or_b32 exec_lo, exec_lo, s10
	v_dual_lshrrev_b32 v4, 16, v54 :: v_dual_mov_b32 v0, 0
	v_mov_b32_e32 v1, 0
	s_mov_b32 s10, exec_lo
	s_delay_alu instid0(VALU_DEP_2) | instskip(NEXT) | instid1(VALU_DEP_1)
	v_and_b32_e32 v5, 0xff, v4
	v_cmpx_ne_u16_e32 0, v5
	s_cbranch_execz .LBB6_2204
; %bb.2197:                             ;   in Loop: Header=BB6_128 Depth=2
	v_bfrev_b32_e32 v1, 1
	s_mov_b32 s40, exec_lo
	v_cmpx_ne_u16_e32 0x80, v5
	s_cbranch_execz .LBB6_2203
; %bb.2198:                             ;   in Loop: Header=BB6_128 Depth=2
	v_bfe_u32 v5, v54, 16, 7
	v_mov_b32_e32 v1, 0x7f800001
	s_mov_b32 s41, exec_lo
	s_delay_alu instid0(VALU_DEP_2)
	v_cmpx_ne_u32_e32 0x7f, v5
	s_cbranch_execz .LBB6_2202
; %bb.2199:                             ;   in Loop: Header=BB6_128 Depth=2
	v_dual_mov_b32 v23, v55 :: v_dual_bitop2_b32 v22, 7, v4 bitop3:0x40
	v_lshrrev_b32_e32 v1, 3, v5
	s_mov_b32 s42, exec_lo
	v_cmpx_gt_u32_e32 8, v5
; %bb.2200:                             ;   in Loop: Header=BB6_128 Depth=2
	s_delay_alu instid0(VALU_DEP_3) | instskip(NEXT) | instid1(VALU_DEP_1)
	v_clz_i32_u32_e32 v1, v22
	v_min_u32_e32 v1, 32, v1
	s_delay_alu instid0(VALU_DEP_1) | instskip(NEXT) | instid1(VALU_DEP_1)
	v_subrev_nc_u32_e32 v5, 28, v1
	v_lshlrev_b64_e32 v[6:7], v5, v[22:23]
	s_delay_alu instid0(VALU_DEP_1)
	v_dual_sub_nc_u32 v1, 29, v1 :: v_dual_bitop2_b32 v22, 7, v6 bitop3:0x40
; %bb.2201:                             ;   in Loop: Header=BB6_128 Depth=2
	s_or_b32 exec_lo, exec_lo, s42
	s_delay_alu instid0(VALU_DEP_1) | instskip(NEXT) | instid1(VALU_DEP_2)
	v_dual_lshlrev_b32 v4, 24, v4 :: v_dual_lshlrev_b32 v5, 20, v22
	v_lshl_add_u32 v1, v1, 23, 0x3c000000
	s_delay_alu instid0(VALU_DEP_2) | instskip(NEXT) | instid1(VALU_DEP_1)
	v_and_b32_e32 v4, 0x80000000, v4
	v_or3_b32 v1, v5, v4, v1
.LBB6_2202:                             ;   in Loop: Header=BB6_128 Depth=2
	s_or_b32 exec_lo, exec_lo, s41
.LBB6_2203:                             ;   in Loop: Header=BB6_128 Depth=2
	s_delay_alu instid0(SALU_CYCLE_1)
	s_or_b32 exec_lo, exec_lo, s40
.LBB6_2204:                             ;   in Loop: Header=BB6_128 Depth=2
	s_delay_alu instid0(SALU_CYCLE_1) | instskip(SKIP_2) | instid1(VALU_DEP_1)
	s_or_b32 exec_lo, exec_lo, s10
	v_lshrrev_b32_e32 v4, 16, v18
	s_mov_b32 s10, exec_lo
	v_and_b32_e32 v5, 0xff, v4
	s_delay_alu instid0(VALU_DEP_1)
	v_cmpx_ne_u16_e32 0, v5
	s_cbranch_execz .LBB6_2212
; %bb.2205:                             ;   in Loop: Header=BB6_128 Depth=2
	v_bfrev_b32_e32 v0, 1
	s_mov_b32 s40, exec_lo
	v_cmpx_ne_u16_e32 0x80, v5
	s_cbranch_execz .LBB6_2211
; %bb.2206:                             ;   in Loop: Header=BB6_128 Depth=2
	v_bfe_u32 v5, v18, 16, 7
	v_mov_b32_e32 v0, 0x7f800001
	s_mov_b32 s41, exec_lo
	s_delay_alu instid0(VALU_DEP_2)
	v_cmpx_ne_u32_e32 0x7f, v5
	s_cbranch_execz .LBB6_2210
; %bb.2207:                             ;   in Loop: Header=BB6_128 Depth=2
	v_dual_mov_b32 v23, v55 :: v_dual_bitop2_b32 v22, 7, v4 bitop3:0x40
	v_lshrrev_b32_e32 v0, 3, v5
	s_mov_b32 s42, exec_lo
	v_cmpx_gt_u32_e32 8, v5
; %bb.2208:                             ;   in Loop: Header=BB6_128 Depth=2
	s_delay_alu instid0(VALU_DEP_3) | instskip(NEXT) | instid1(VALU_DEP_1)
	v_clz_i32_u32_e32 v0, v22
	v_min_u32_e32 v0, 32, v0
	s_delay_alu instid0(VALU_DEP_1) | instskip(SKIP_1) | instid1(VALU_DEP_2)
	v_subrev_nc_u32_e32 v4, 28, v0
	v_sub_nc_u32_e32 v0, 29, v0
	v_lshlrev_b64_e32 v[4:5], v4, v[22:23]
	s_delay_alu instid0(VALU_DEP_1)
	v_and_b32_e32 v22, 7, v4
; %bb.2209:                             ;   in Loop: Header=BB6_128 Depth=2
	s_or_b32 exec_lo, exec_lo, s42
	v_lshlrev_b32_e32 v4, 8, v18
	s_delay_alu instid0(VALU_DEP_2) | instskip(SKIP_1) | instid1(VALU_DEP_3)
	v_lshlrev_b32_e32 v5, 20, v22
	v_lshl_add_u32 v0, v0, 23, 0x3c000000
	v_and_b32_e32 v4, 0x80000000, v4
	s_delay_alu instid0(VALU_DEP_1)
	v_or3_b32 v0, v5, v4, v0
.LBB6_2210:                             ;   in Loop: Header=BB6_128 Depth=2
	s_or_b32 exec_lo, exec_lo, s41
.LBB6_2211:                             ;   in Loop: Header=BB6_128 Depth=2
	s_delay_alu instid0(SALU_CYCLE_1)
	s_or_b32 exec_lo, exec_lo, s40
.LBB6_2212:                             ;   in Loop: Header=BB6_128 Depth=2
	s_delay_alu instid0(SALU_CYCLE_1) | instskip(NEXT) | instid1(VALU_DEP_1)
	s_or_b32 exec_lo, exec_lo, s10
	v_dual_add_f32 v1, v1, v0 :: v_dual_mov_b32 v5, v55
                                        ; implicit-def: $vgpr27
	s_mov_b32 s10, exec_lo
	s_delay_alu instid0(VALU_DEP_1) | instskip(SKIP_1) | instid1(VALU_DEP_2)
	v_and_b32_e32 v4, 0x7f800000, v1
	v_lshrrev_b32_e32 v0, 24, v1
	v_cmpx_ne_u64_e32 0x7f800000, v[4:5]
	s_xor_b32 s40, exec_lo, s10
	s_cbranch_execz .LBB6_2226
; %bb.2213:                             ;   in Loop: Header=BB6_128 Depth=2
	v_and_b32_e32 v4, 0x7fffffff, v1
	v_mov_b32_e32 v5, v55
	v_and_b32_e32 v0, 0x80, v0
                                        ; implicit-def: $vgpr27
	s_mov_b32 s10, exec_lo
	s_delay_alu instid0(VALU_DEP_2)
	v_cmpx_gt_u64_e32 0x43e00001, v[4:5]
	s_xor_b32 s41, exec_lo, s10
	s_cbranch_execz .LBB6_2223
; %bb.2214:                             ;   in Loop: Header=BB6_128 Depth=2
	v_mov_b32_e32 v27, 0
	s_mov_b32 s42, exec_lo
	v_cmpx_ne_u32_e32 0, v1
	s_cbranch_execz .LBB6_2222
; %bb.2215:                             ;   in Loop: Header=BB6_128 Depth=2
	v_and_b32_e32 v5, 0x7fffff, v1
	v_bfe_u32 v1, v1, 23, 8
	v_mov_b32_e32 v7, v55
	s_delay_alu instid0(VALU_DEP_3) | instskip(NEXT) | instid1(VALU_DEP_3)
	v_or_b32_e32 v6, 0x800000, v5
	v_cmp_gt_u32_e64 s10, 0x7a, v1
	v_sub_nc_u32_e32 v4, 0x79, v1
	v_cmp_eq_u32_e32 vcc_lo, 0, v1
	s_delay_alu instid0(VALU_DEP_2) | instskip(NEXT) | instid1(VALU_DEP_1)
	v_dual_cndmask_b32 v4, 0, v4, s10 :: v_dual_cndmask_b32 v6, v6, v5, vcc_lo
	v_cndmask_b32_e64 v4, v4, 0x78, vcc_lo
	s_delay_alu instid0(VALU_DEP_1) | instskip(NEXT) | instid1(VALU_DEP_1)
	v_add_nc_u32_e32 v5, 20, v4
	v_lshlrev_b64_e64 v[8:9], v5, -1
	v_add_nc_u32_e32 v5, 19, v4
	s_delay_alu instid0(VALU_DEP_1) | instskip(NEXT) | instid1(VALU_DEP_3)
	v_lshlrev_b64_e64 v[22:23], v5, 1
	v_bfi_b32 v9, v9, 0, 0
	s_delay_alu instid0(VALU_DEP_4) | instskip(NEXT) | instid1(VALU_DEP_1)
	v_bfi_b32 v8, v8, 0, v6
	v_cmp_eq_u64_e64 s10, v[8:9], v[22:23]
	v_lshrrev_b64 v[22:23], v4, v[6:7]
	s_delay_alu instid0(VALU_DEP_1)
	v_mov_b64_e32 v[24:25], v[22:23]
	s_and_saveexec_b32 s43, s10
; %bb.2216:                             ;   in Loop: Header=BB6_128 Depth=2
	v_bfe_u32 v6, v22, 20, 1
	v_mov_b32_e32 v7, v55
	s_delay_alu instid0(VALU_DEP_1) | instskip(NEXT) | instid1(VALU_DEP_1)
	v_add_nc_u64_e32 v[6:7], v[22:23], v[6:7]
	v_add_nc_u64_e32 v[24:25], -1, v[6:7]
; %bb.2217:                             ;   in Loop: Header=BB6_128 Depth=2
	s_or_b32 exec_lo, exec_lo, s43
	v_add_nc_u32_e32 v1, 0xffffff81, v1
	v_lshrrev_b32_e32 v5, 23, v22
	s_mov_b32 s10, exec_lo
	v_mov_b32_e32 v23, v55
	s_delay_alu instid0(VALU_DEP_3) | instskip(NEXT) | instid1(VALU_DEP_1)
	v_cndmask_b32_e64 v1, v1, 0xffffff82, vcc_lo
	v_add3_u32 v5, v4, v1, v5
	v_and_b32_e32 v1, 0xfffff, v24
	s_delay_alu instid0(VALU_DEP_1) | instskip(NEXT) | instid1(VALU_DEP_1)
	v_dual_add_nc_u32 v4, 6, v5 :: v_dual_add_nc_u32 v22, v1, v22
                                        ; implicit-def: $vgpr1
	v_cmpx_ne_u32_e32 0, v4
	s_xor_b32 s10, exec_lo, s10
; %bb.2218:                             ;   in Loop: Header=BB6_128 Depth=2
	s_delay_alu instid0(VALU_DEP_2) | instskip(SKIP_1) | instid1(VALU_DEP_1)
	v_cmp_lt_u64_e32 vcc_lo, 0xffffff, v[22:23]
	v_add_nc_u32_e32 v1, 7, v5
	v_cndmask_b32_e32 v1, v4, v1, vcc_lo
	v_cndmask_b32_e64 v4, 0, 1, vcc_lo
	s_delay_alu instid0(VALU_DEP_1)
	v_lshrrev_b64 v[22:23], v4, v[22:23]
; %bb.2219:                             ;   in Loop: Header=BB6_128 Depth=2
	s_and_not1_saveexec_b32 s10, s10
; %bb.2220:                             ;   in Loop: Header=BB6_128 Depth=2
	s_delay_alu instid0(VALU_DEP_1)
	v_bfe_u32 v1, v22, 23, 1
; %bb.2221:                             ;   in Loop: Header=BB6_128 Depth=2
	s_or_b32 exec_lo, exec_lo, s10
	s_delay_alu instid0(VALU_DEP_2) | instskip(NEXT) | instid1(VALU_DEP_2)
	v_lshrrev_b64 v[4:5], 20, v[22:23]
	v_cmp_gt_i32_e32 vcc_lo, 16, v1
	v_min_i32_e32 v6, 15, v1
	v_cmp_eq_u32_e64 s10, 0, v1
	s_delay_alu instid0(VALU_DEP_2) | instskip(SKIP_1) | instid1(VALU_DEP_2)
	v_dual_cndmask_b32 v4, 7, v4, vcc_lo :: v_dual_lshlrev_b32 v6, 3, v6
	v_cndmask_b32_e32 v5, 0, v5, vcc_lo
	v_and_b32_e32 v6, 0xf8, v6
	s_delay_alu instid0(VALU_DEP_2) | instskip(NEXT) | instid1(VALU_DEP_2)
	v_cmp_eq_u64_e32 vcc_lo, 0, v[4:5]
	v_and_or_b32 v1, v4, 7, v6
	s_and_b32 s10, s10, vcc_lo
	s_delay_alu instid0(VALU_DEP_1) | instid1(SALU_CYCLE_1)
	v_cndmask_b32_e64 v1, v1, 0, s10
	s_delay_alu instid0(VALU_DEP_1)
	v_or_b32_e32 v27, v1, v0
.LBB6_2222:                             ;   in Loop: Header=BB6_128 Depth=2
	s_or_b32 exec_lo, exec_lo, s42
                                        ; implicit-def: $vgpr0
.LBB6_2223:                             ;   in Loop: Header=BB6_128 Depth=2
	s_and_not1_saveexec_b32 s10, s41
; %bb.2224:                             ;   in Loop: Header=BB6_128 Depth=2
	v_or_b32_e32 v27, 0x7e, v0
; %bb.2225:                             ;   in Loop: Header=BB6_128 Depth=2
	s_or_b32 exec_lo, exec_lo, s10
                                        ; implicit-def: $vgpr0
.LBB6_2226:                             ;   in Loop: Header=BB6_128 Depth=2
	s_and_not1_saveexec_b32 s10, s40
; %bb.2227:                             ;   in Loop: Header=BB6_128 Depth=2
	v_or_b32_e32 v27, 0x7f, v0
; %bb.2228:                             ;   in Loop: Header=BB6_128 Depth=2
	s_or_b32 exec_lo, exec_lo, s10
	v_dual_mov_b32 v0, 0 :: v_dual_mov_b32 v1, 0
	s_mov_b32 s10, exec_lo
	v_cmpx_lt_u32_e32 0xffffff, v54
	s_cbranch_execz .LBB6_2236
; %bb.2229:                             ;   in Loop: Header=BB6_128 Depth=2
	v_lshrrev_b32_e32 v4, 24, v54
	v_bfrev_b32_e32 v1, 1
	s_mov_b32 s40, exec_lo
	s_delay_alu instid0(VALU_DEP_2)
	v_cmpx_ne_u32_e32 0x80, v4
	s_cbranch_execz .LBB6_2235
; %bb.2230:                             ;   in Loop: Header=BB6_128 Depth=2
	v_bfe_u32 v5, v54, 24, 7
	v_mov_b32_e32 v1, 0x7f800001
	s_mov_b32 s41, exec_lo
	s_delay_alu instid0(VALU_DEP_2)
	v_cmpx_ne_u32_e32 0x7f, v5
	s_cbranch_execz .LBB6_2234
; %bb.2231:                             ;   in Loop: Header=BB6_128 Depth=2
	v_dual_lshrrev_b32 v1, 3, v5 :: v_dual_bitop2_b32 v54, 7, v4 bitop3:0x40
	s_mov_b32 s42, exec_lo
	s_delay_alu instid0(VALU_DEP_1)
	v_mov_b64_e32 v[22:23], v[54:55]
	v_cmpx_gt_u32_e32 8, v5
; %bb.2232:                             ;   in Loop: Header=BB6_128 Depth=2
	v_clz_i32_u32_e32 v1, v54
	s_delay_alu instid0(VALU_DEP_1) | instskip(NEXT) | instid1(VALU_DEP_1)
	v_min_u32_e32 v1, 32, v1
	v_subrev_nc_u32_e32 v5, 28, v1
	s_delay_alu instid0(VALU_DEP_1) | instskip(NEXT) | instid1(VALU_DEP_1)
	v_lshlrev_b64_e32 v[6:7], v5, v[54:55]
	v_dual_sub_nc_u32 v1, 29, v1 :: v_dual_bitop2_b32 v22, 7, v6 bitop3:0x40
; %bb.2233:                             ;   in Loop: Header=BB6_128 Depth=2
	s_or_b32 exec_lo, exec_lo, s42
	s_delay_alu instid0(VALU_DEP_1) | instskip(NEXT) | instid1(VALU_DEP_2)
	v_dual_lshlrev_b32 v4, 24, v4 :: v_dual_lshlrev_b32 v5, 20, v22
	v_lshl_add_u32 v1, v1, 23, 0x3c000000
	s_delay_alu instid0(VALU_DEP_2) | instskip(NEXT) | instid1(VALU_DEP_1)
	v_and_b32_e32 v4, 0x80000000, v4
	v_or3_b32 v1, v5, v4, v1
.LBB6_2234:                             ;   in Loop: Header=BB6_128 Depth=2
	s_or_b32 exec_lo, exec_lo, s41
.LBB6_2235:                             ;   in Loop: Header=BB6_128 Depth=2
	s_delay_alu instid0(SALU_CYCLE_1)
	s_or_b32 exec_lo, exec_lo, s40
.LBB6_2236:                             ;   in Loop: Header=BB6_128 Depth=2
	s_delay_alu instid0(SALU_CYCLE_1) | instskip(NEXT) | instid1(SALU_CYCLE_1)
	s_or_b32 exec_lo, exec_lo, s10
	s_mov_b32 s10, exec_lo
	v_cmpx_lt_u32_e32 0xffffff, v18
	s_cbranch_execz .LBB6_2244
; %bb.2237:                             ;   in Loop: Header=BB6_128 Depth=2
	v_lshrrev_b32_e32 v4, 24, v18
	v_bfrev_b32_e32 v0, 1
	s_mov_b32 s40, exec_lo
	s_delay_alu instid0(VALU_DEP_2)
	v_cmpx_ne_u32_e32 0x80, v4
	s_cbranch_execz .LBB6_2243
; %bb.2238:                             ;   in Loop: Header=BB6_128 Depth=2
	v_bfe_u32 v5, v18, 24, 7
	v_mov_b32_e32 v0, 0x7f800001
	s_mov_b32 s41, exec_lo
	s_delay_alu instid0(VALU_DEP_2)
	v_cmpx_ne_u32_e32 0x7f, v5
	s_cbranch_execz .LBB6_2242
; %bb.2239:                             ;   in Loop: Header=BB6_128 Depth=2
	v_dual_lshrrev_b32 v0, 3, v5 :: v_dual_bitop2_b32 v54, 7, v4 bitop3:0x40
	s_mov_b32 s42, exec_lo
	s_delay_alu instid0(VALU_DEP_1)
	v_mov_b64_e32 v[22:23], v[54:55]
	v_cmpx_gt_u32_e32 8, v5
; %bb.2240:                             ;   in Loop: Header=BB6_128 Depth=2
	v_clz_i32_u32_e32 v0, v54
	s_delay_alu instid0(VALU_DEP_1) | instskip(NEXT) | instid1(VALU_DEP_1)
	v_min_u32_e32 v0, 32, v0
	v_subrev_nc_u32_e32 v5, 28, v0
	s_delay_alu instid0(VALU_DEP_1) | instskip(NEXT) | instid1(VALU_DEP_1)
	v_lshlrev_b64_e32 v[6:7], v5, v[54:55]
	v_dual_sub_nc_u32 v0, 29, v0 :: v_dual_bitop2_b32 v22, 7, v6 bitop3:0x40
; %bb.2241:                             ;   in Loop: Header=BB6_128 Depth=2
	s_or_b32 exec_lo, exec_lo, s42
	s_delay_alu instid0(VALU_DEP_1) | instskip(NEXT) | instid1(VALU_DEP_2)
	v_dual_lshlrev_b32 v4, 24, v4 :: v_dual_lshlrev_b32 v5, 20, v22
	v_lshl_add_u32 v0, v0, 23, 0x3c000000
	s_delay_alu instid0(VALU_DEP_2) | instskip(NEXT) | instid1(VALU_DEP_1)
	v_and_b32_e32 v4, 0x80000000, v4
	v_or3_b32 v0, v5, v4, v0
.LBB6_2242:                             ;   in Loop: Header=BB6_128 Depth=2
	s_or_b32 exec_lo, exec_lo, s41
.LBB6_2243:                             ;   in Loop: Header=BB6_128 Depth=2
	s_delay_alu instid0(SALU_CYCLE_1)
	s_or_b32 exec_lo, exec_lo, s40
.LBB6_2244:                             ;   in Loop: Header=BB6_128 Depth=2
	s_delay_alu instid0(SALU_CYCLE_1) | instskip(NEXT) | instid1(VALU_DEP_1)
	s_or_b32 exec_lo, exec_lo, s10
	v_add_f32_e32 v1, v1, v0
                                        ; implicit-def: $vgpr37
	s_mov_b32 s10, exec_lo
	s_delay_alu instid0(VALU_DEP_1) | instskip(SKIP_1) | instid1(VALU_DEP_2)
	v_and_b32_e32 v54, 0x7f800000, v1
	v_lshrrev_b32_e32 v0, 24, v1
	v_cmpx_ne_u64_e32 0x7f800000, v[54:55]
	s_xor_b32 s40, exec_lo, s10
	s_cbranch_execz .LBB6_2258
; %bb.2245:                             ;   in Loop: Header=BB6_128 Depth=2
	v_and_b32_e32 v54, 0x7fffffff, v1
	v_and_b32_e32 v0, 0x80, v0
                                        ; implicit-def: $vgpr37
	s_mov_b32 s10, exec_lo
	s_delay_alu instid0(VALU_DEP_2)
	v_cmpx_gt_u64_e32 0x43e00001, v[54:55]
	s_xor_b32 s41, exec_lo, s10
	s_cbranch_execz .LBB6_2255
; %bb.2246:                             ;   in Loop: Header=BB6_128 Depth=2
	v_mov_b32_e32 v37, 0
	s_mov_b32 s42, exec_lo
	v_cmpx_ne_u32_e32 0, v1
	s_cbranch_execz .LBB6_2254
; %bb.2247:                             ;   in Loop: Header=BB6_128 Depth=2
	v_and_b32_e32 v5, 0x7fffff, v1
	v_bfe_u32 v1, v1, 23, 8
	s_mov_b32 s43, exec_lo
	s_delay_alu instid0(VALU_DEP_2) | instskip(NEXT) | instid1(VALU_DEP_2)
	v_or_b32_e32 v6, 0x800000, v5
	v_cmp_gt_u32_e64 s10, 0x7a, v1
	v_sub_nc_u32_e32 v4, 0x79, v1
	v_cmp_eq_u32_e32 vcc_lo, 0, v1
	s_delay_alu instid0(VALU_DEP_2) | instskip(NEXT) | instid1(VALU_DEP_1)
	v_dual_cndmask_b32 v4, 0, v4, s10 :: v_dual_cndmask_b32 v54, v6, v5, vcc_lo
	v_cndmask_b32_e64 v4, v4, 0x78, vcc_lo
	s_delay_alu instid0(VALU_DEP_1) | instskip(NEXT) | instid1(VALU_DEP_3)
	v_add_nc_u32_e32 v5, 20, v4
	v_lshrrev_b64 v[22:23], v4, v[54:55]
	s_delay_alu instid0(VALU_DEP_2) | instskip(SKIP_1) | instid1(VALU_DEP_3)
	v_lshlrev_b64_e64 v[6:7], v5, -1
	v_add_nc_u32_e32 v5, 19, v4
	v_mov_b64_e32 v[24:25], v[22:23]
	s_delay_alu instid0(VALU_DEP_2) | instskip(NEXT) | instid1(VALU_DEP_4)
	v_lshlrev_b64_e64 v[8:9], v5, 1
	v_bfi_b32 v7, v7, 0, 0
	v_bfi_b32 v6, v6, 0, v54
	s_delay_alu instid0(VALU_DEP_1)
	v_cmpx_eq_u64_e64 v[6:7], v[8:9]
; %bb.2248:                             ;   in Loop: Header=BB6_128 Depth=2
	v_bfe_u32 v54, v22, 20, 1
	s_delay_alu instid0(VALU_DEP_1) | instskip(NEXT) | instid1(VALU_DEP_1)
	v_add_nc_u64_e32 v[6:7], v[22:23], v[54:55]
	v_add_nc_u64_e32 v[24:25], -1, v[6:7]
; %bb.2249:                             ;   in Loop: Header=BB6_128 Depth=2
	s_or_b32 exec_lo, exec_lo, s43
	v_add_nc_u32_e32 v1, 0xffffff81, v1
	v_lshrrev_b32_e32 v5, 23, v22
	s_mov_b32 s10, exec_lo
	s_delay_alu instid0(VALU_DEP_2) | instskip(NEXT) | instid1(VALU_DEP_1)
	v_cndmask_b32_e64 v1, v1, 0xffffff82, vcc_lo
	v_add3_u32 v5, v4, v1, v5
	v_and_b32_e32 v1, 0xfffff, v24
	s_delay_alu instid0(VALU_DEP_1) | instskip(NEXT) | instid1(VALU_DEP_1)
	v_dual_add_nc_u32 v4, 6, v5 :: v_dual_add_nc_u32 v54, v1, v22
                                        ; implicit-def: $vgpr22_vgpr23
                                        ; implicit-def: $vgpr1
	v_cmpx_ne_u32_e32 0, v4
	s_xor_b32 s10, exec_lo, s10
; %bb.2250:                             ;   in Loop: Header=BB6_128 Depth=2
	s_delay_alu instid0(VALU_DEP_2) | instskip(SKIP_1) | instid1(VALU_DEP_1)
	v_cmp_lt_u64_e32 vcc_lo, 0xffffff, v[54:55]
	v_add_nc_u32_e32 v1, 7, v5
	v_cndmask_b32_e32 v1, v4, v1, vcc_lo
	v_cndmask_b32_e64 v4, 0, 1, vcc_lo
	s_delay_alu instid0(VALU_DEP_1)
	v_lshrrev_b64 v[22:23], v4, v[54:55]
; %bb.2251:                             ;   in Loop: Header=BB6_128 Depth=2
	s_and_not1_saveexec_b32 s10, s10
; %bb.2252:                             ;   in Loop: Header=BB6_128 Depth=2
	v_mov_b64_e32 v[22:23], v[54:55]
	v_bfe_u32 v1, v54, 23, 1
; %bb.2253:                             ;   in Loop: Header=BB6_128 Depth=2
	s_or_b32 exec_lo, exec_lo, s10
	s_delay_alu instid0(VALU_DEP_2) | instskip(NEXT) | instid1(VALU_DEP_2)
	v_lshrrev_b64 v[4:5], 20, v[22:23]
	v_cmp_gt_i32_e32 vcc_lo, 16, v1
	v_min_i32_e32 v6, 15, v1
	v_cmp_eq_u32_e64 s10, 0, v1
	s_delay_alu instid0(VALU_DEP_2) | instskip(SKIP_1) | instid1(VALU_DEP_2)
	v_dual_cndmask_b32 v4, 7, v4, vcc_lo :: v_dual_lshlrev_b32 v6, 3, v6
	v_cndmask_b32_e32 v5, 0, v5, vcc_lo
	v_and_b32_e32 v6, 0xf8, v6
	s_delay_alu instid0(VALU_DEP_2) | instskip(NEXT) | instid1(VALU_DEP_2)
	v_cmp_eq_u64_e32 vcc_lo, 0, v[4:5]
	v_and_or_b32 v1, v4, 7, v6
	s_and_b32 s10, s10, vcc_lo
	s_delay_alu instid0(VALU_DEP_1) | instid1(SALU_CYCLE_1)
	v_cndmask_b32_e64 v1, v1, 0, s10
	s_delay_alu instid0(VALU_DEP_1)
	v_or_b32_e32 v37, v1, v0
.LBB6_2254:                             ;   in Loop: Header=BB6_128 Depth=2
	s_or_b32 exec_lo, exec_lo, s42
                                        ; implicit-def: $vgpr0
.LBB6_2255:                             ;   in Loop: Header=BB6_128 Depth=2
	s_and_not1_saveexec_b32 s10, s41
; %bb.2256:                             ;   in Loop: Header=BB6_128 Depth=2
	v_or_b32_e32 v37, 0x7e, v0
; %bb.2257:                             ;   in Loop: Header=BB6_128 Depth=2
	s_or_b32 exec_lo, exec_lo, s10
                                        ; implicit-def: $vgpr0
.LBB6_2258:                             ;   in Loop: Header=BB6_128 Depth=2
	s_and_not1_saveexec_b32 s10, s40
; %bb.2259:                             ;   in Loop: Header=BB6_128 Depth=2
	v_or_b32_e32 v37, 0x7f, v0
; %bb.2260:                             ;   in Loop: Header=BB6_128 Depth=2
	s_or_b32 exec_lo, exec_lo, s10
	v_lshl_or_b32 v0, v44, 8, v42
	v_dual_lshlrev_b32 v1, 16, v43 :: v_dual_lshlrev_b32 v4, 24, v53
	s_mov_b32 s10, exec_lo
	s_delay_alu instid0(VALU_DEP_1)
	v_or3_b32 v54, v1, v4, v0
	v_dual_mov_b32 v1, 0 :: v_dual_mov_b32 v4, 0
	v_cmpx_ne_u32_e32 0, v42
	s_cbranch_execz .LBB6_2266
; %bb.2261:                             ;   in Loop: Header=BB6_128 Depth=2
	v_bfrev_b32_e32 v4, 1
	s_mov_b32 s40, exec_lo
	v_cmpx_ne_u32_e32 0x80, v42
	s_cbranch_execz .LBB6_2265
; %bb.2262:                             ;   in Loop: Header=BB6_128 Depth=2
	v_and_b32_e32 v5, 0x7f, v42
	v_mov_b32_e32 v4, 0x7f800001
	s_mov_b32 s41, exec_lo
	s_delay_alu instid0(VALU_DEP_2)
	v_cmpx_ne_u32_e32 0x7f, v5
	s_cbranch_execz .LBB6_2264
; %bb.2263:                             ;   in Loop: Header=BB6_128 Depth=2
	v_dual_lshrrev_b32 v6, 3, v5 :: v_dual_bitop2_b32 v4, 7, v42 bitop3:0x40
	v_cmp_gt_u32_e32 vcc_lo, 8, v5
	s_delay_alu instid0(VALU_DEP_2) | instskip(NEXT) | instid1(VALU_DEP_1)
	v_clz_i32_u32_e32 v4, v4
	v_min_u32_e32 v4, 32, v4
	s_delay_alu instid0(VALU_DEP_1) | instskip(SKIP_1) | instid1(VALU_DEP_1)
	v_subrev_nc_u32_e32 v5, 28, v4
	v_sub_nc_u32_e32 v4, 29, v4
	v_dual_cndmask_b32 v6, v6, v4, vcc_lo :: v_dual_cndmask_b32 v4, 0, v5, vcc_lo
	s_delay_alu instid0(VALU_DEP_1) | instskip(NEXT) | instid1(VALU_DEP_2)
	v_lshl_add_u32 v6, v6, 23, 0x3c000000
	v_lshlrev_b64_e32 v[4:5], v4, v[54:55]
	v_lshlrev_b32_e32 v5, 24, v54
	s_delay_alu instid0(VALU_DEP_1) | instskip(NEXT) | instid1(VALU_DEP_3)
	v_and_b32_e32 v5, 0x80000000, v5
	v_lshlrev_b32_e32 v4, 20, v4
	s_delay_alu instid0(VALU_DEP_1) | instskip(NEXT) | instid1(VALU_DEP_1)
	v_and_b32_e32 v4, 0x700000, v4
	v_or3_b32 v4, v4, v5, v6
.LBB6_2264:                             ;   in Loop: Header=BB6_128 Depth=2
	s_or_b32 exec_lo, exec_lo, s41
.LBB6_2265:                             ;   in Loop: Header=BB6_128 Depth=2
	s_delay_alu instid0(SALU_CYCLE_1)
	s_or_b32 exec_lo, exec_lo, s40
.LBB6_2266:                             ;   in Loop: Header=BB6_128 Depth=2
	s_delay_alu instid0(SALU_CYCLE_1) | instskip(SKIP_2) | instid1(VALU_DEP_1)
	s_or_b32 exec_lo, exec_lo, s10
	v_and_b32_e32 v5, 0xff, v19
	s_mov_b32 s10, exec_lo
	v_cmpx_ne_u16_e32 0, v5
	s_cbranch_execz .LBB6_2272
; %bb.2267:                             ;   in Loop: Header=BB6_128 Depth=2
	v_bfrev_b32_e32 v1, 1
	s_mov_b32 s40, exec_lo
	v_cmpx_ne_u16_e32 0x80, v5
	s_cbranch_execz .LBB6_2271
; %bb.2268:                             ;   in Loop: Header=BB6_128 Depth=2
	v_and_b32_e32 v5, 0x7f, v19
	v_mov_b32_e32 v1, 0x7f800001
	s_mov_b32 s41, exec_lo
	s_delay_alu instid0(VALU_DEP_2)
	v_cmpx_ne_u32_e32 0x7f, v5
	s_cbranch_execz .LBB6_2270
; %bb.2269:                             ;   in Loop: Header=BB6_128 Depth=2
	v_dual_lshrrev_b32 v8, 3, v5 :: v_dual_bitop2_b32 v1, 7, v19 bitop3:0x40
	v_cmp_gt_u32_e32 vcc_lo, 8, v5
	v_mov_b32_e32 v6, v19
	s_delay_alu instid0(VALU_DEP_3) | instskip(NEXT) | instid1(VALU_DEP_1)
	v_clz_i32_u32_e32 v1, v1
	v_min_u32_e32 v1, 32, v1
	s_delay_alu instid0(VALU_DEP_1) | instskip(SKIP_1) | instid1(VALU_DEP_2)
	v_sub_nc_u32_e32 v9, 29, v1
	v_subrev_nc_u32_e32 v1, 28, v1
	v_dual_mov_b32 v7, v55 :: v_dual_cndmask_b32 v5, v8, v9, vcc_lo
	s_delay_alu instid0(VALU_DEP_2) | instskip(NEXT) | instid1(VALU_DEP_2)
	v_cndmask_b32_e32 v1, 0, v1, vcc_lo
	v_lshl_add_u32 v5, v5, 23, 0x3c000000
	s_delay_alu instid0(VALU_DEP_2) | instskip(SKIP_1) | instid1(VALU_DEP_1)
	v_lshlrev_b64_e32 v[8:9], v1, v[6:7]
	v_lshlrev_b32_e32 v1, 24, v6
	v_and_b32_e32 v1, 0x80000000, v1
	s_delay_alu instid0(VALU_DEP_3) | instskip(NEXT) | instid1(VALU_DEP_1)
	v_lshlrev_b32_e32 v6, 20, v8
	v_and_b32_e32 v6, 0x700000, v6
	s_delay_alu instid0(VALU_DEP_1)
	v_or3_b32 v1, v6, v1, v5
.LBB6_2270:                             ;   in Loop: Header=BB6_128 Depth=2
	s_or_b32 exec_lo, exec_lo, s41
.LBB6_2271:                             ;   in Loop: Header=BB6_128 Depth=2
	s_delay_alu instid0(SALU_CYCLE_1)
	s_or_b32 exec_lo, exec_lo, s40
.LBB6_2272:                             ;   in Loop: Header=BB6_128 Depth=2
	s_delay_alu instid0(SALU_CYCLE_1) | instskip(NEXT) | instid1(VALU_DEP_1)
	s_or_b32 exec_lo, exec_lo, s10
	v_dual_add_f32 v4, v4, v1 :: v_dual_mov_b32 v7, v55
                                        ; implicit-def: $vgpr52
	s_mov_b32 s10, exec_lo
	s_delay_alu instid0(VALU_DEP_1) | instskip(SKIP_1) | instid1(VALU_DEP_2)
	v_and_b32_e32 v6, 0x7f800000, v4
	v_lshrrev_b32_e32 v1, 24, v4
	v_cmpx_ne_u64_e32 0x7f800000, v[6:7]
	s_xor_b32 s40, exec_lo, s10
	s_cbranch_execz .LBB6_2286
; %bb.2273:                             ;   in Loop: Header=BB6_128 Depth=2
	v_and_b32_e32 v6, 0x7fffffff, v4
	v_mov_b32_e32 v7, v55
	v_and_b32_e32 v1, 0x80, v1
                                        ; implicit-def: $vgpr52
	s_mov_b32 s10, exec_lo
	s_delay_alu instid0(VALU_DEP_2)
	v_cmpx_gt_u64_e32 0x43e00001, v[6:7]
	s_xor_b32 s41, exec_lo, s10
	s_cbranch_execz .LBB6_2283
; %bb.2274:                             ;   in Loop: Header=BB6_128 Depth=2
	v_mov_b32_e32 v52, 0
	s_mov_b32 s42, exec_lo
	v_cmpx_ne_u32_e32 0, v4
	s_cbranch_execz .LBB6_2282
; %bb.2275:                             ;   in Loop: Header=BB6_128 Depth=2
	v_and_b32_e32 v6, 0x7fffff, v4
	v_bfe_u32 v4, v4, 23, 8
	s_delay_alu instid0(VALU_DEP_2) | instskip(NEXT) | instid1(VALU_DEP_2)
	v_or_b32_e32 v7, 0x800000, v6
	v_cmp_eq_u32_e32 vcc_lo, 0, v4
	v_cmp_gt_u32_e64 s10, 0x7a, v4
	s_delay_alu instid0(VALU_DEP_3) | instskip(NEXT) | instid1(VALU_DEP_1)
	v_dual_cndmask_b32 v6, v7, v6 :: v_dual_sub_nc_u32 v5, 0x79, v4
	v_dual_mov_b32 v7, v55 :: v_dual_cndmask_b32 v5, 0, v5, s10
	s_delay_alu instid0(VALU_DEP_1) | instskip(NEXT) | instid1(VALU_DEP_1)
	v_cndmask_b32_e64 v5, v5, 0x78, vcc_lo
	v_dual_add_nc_u32 v8, 20, v5 :: v_dual_add_nc_u32 v22, 19, v5
	s_delay_alu instid0(VALU_DEP_1) | instskip(NEXT) | instid1(VALU_DEP_2)
	v_lshlrev_b64_e64 v[8:9], v8, -1
	v_lshlrev_b64_e64 v[22:23], v22, 1
	s_delay_alu instid0(VALU_DEP_2) | instskip(NEXT) | instid1(VALU_DEP_3)
	v_bfi_b32 v9, v9, 0, 0
	v_bfi_b32 v8, v8, 0, v6
	s_delay_alu instid0(VALU_DEP_1) | instskip(SKIP_1) | instid1(VALU_DEP_1)
	v_cmp_eq_u64_e64 s10, v[8:9], v[22:23]
	v_lshrrev_b64 v[22:23], v5, v[6:7]
	v_mov_b64_e32 v[24:25], v[22:23]
	s_and_saveexec_b32 s43, s10
; %bb.2276:                             ;   in Loop: Header=BB6_128 Depth=2
	v_bfe_u32 v6, v22, 20, 1
	v_mov_b32_e32 v7, v55
	s_delay_alu instid0(VALU_DEP_1) | instskip(NEXT) | instid1(VALU_DEP_1)
	v_add_nc_u64_e32 v[6:7], v[22:23], v[6:7]
	v_add_nc_u64_e32 v[24:25], -1, v[6:7]
; %bb.2277:                             ;   in Loop: Header=BB6_128 Depth=2
	s_or_b32 exec_lo, exec_lo, s43
	v_dual_mov_b32 v23, v55 :: v_dual_add_nc_u32 v4, 0xffffff81, v4
	v_lshrrev_b32_e32 v6, 23, v22
	s_mov_b32 s10, exec_lo
	s_delay_alu instid0(VALU_DEP_2) | instskip(NEXT) | instid1(VALU_DEP_1)
	v_cndmask_b32_e64 v4, v4, 0xffffff82, vcc_lo
	v_add3_u32 v6, v5, v4, v6
	v_and_b32_e32 v4, 0xfffff, v24
	s_delay_alu instid0(VALU_DEP_2) | instskip(NEXT) | instid1(VALU_DEP_2)
	v_add_nc_u32_e32 v5, 6, v6
	v_add_nc_u32_e32 v22, v4, v22
                                        ; implicit-def: $vgpr4
	s_delay_alu instid0(VALU_DEP_2)
	v_cmpx_ne_u32_e32 0, v5
	s_xor_b32 s10, exec_lo, s10
; %bb.2278:                             ;   in Loop: Header=BB6_128 Depth=2
	s_delay_alu instid0(VALU_DEP_2) | instskip(SKIP_1) | instid1(VALU_DEP_1)
	v_cmp_lt_u64_e32 vcc_lo, 0xffffff, v[22:23]
	v_add_nc_u32_e32 v4, 7, v6
	v_cndmask_b32_e32 v4, v5, v4, vcc_lo
	v_cndmask_b32_e64 v5, 0, 1, vcc_lo
	s_delay_alu instid0(VALU_DEP_1)
	v_lshrrev_b64 v[22:23], v5, v[22:23]
; %bb.2279:                             ;   in Loop: Header=BB6_128 Depth=2
	s_and_not1_saveexec_b32 s10, s10
; %bb.2280:                             ;   in Loop: Header=BB6_128 Depth=2
	s_delay_alu instid0(VALU_DEP_1)
	v_bfe_u32 v4, v22, 23, 1
; %bb.2281:                             ;   in Loop: Header=BB6_128 Depth=2
	s_or_b32 exec_lo, exec_lo, s10
	s_delay_alu instid0(VALU_DEP_2) | instskip(NEXT) | instid1(VALU_DEP_2)
	v_lshrrev_b64 v[6:7], 20, v[22:23]
	v_cmp_gt_i32_e32 vcc_lo, 16, v4
	v_min_i32_e32 v5, 15, v4
	v_cmp_eq_u32_e64 s10, 0, v4
	s_delay_alu instid0(VALU_DEP_2) | instskip(SKIP_1) | instid1(VALU_DEP_2)
	v_dual_cndmask_b32 v7, 0, v7, vcc_lo :: v_dual_lshlrev_b32 v5, 3, v5
	v_cndmask_b32_e32 v6, 7, v6, vcc_lo
	v_and_b32_e32 v5, 0xf8, v5
	s_delay_alu instid0(VALU_DEP_2) | instskip(NEXT) | instid1(VALU_DEP_2)
	v_cmp_eq_u64_e32 vcc_lo, 0, v[6:7]
	v_and_or_b32 v4, v6, 7, v5
	s_and_b32 s10, s10, vcc_lo
	s_delay_alu instid0(VALU_DEP_1) | instid1(SALU_CYCLE_1)
	v_cndmask_b32_e64 v4, v4, 0, s10
	s_delay_alu instid0(VALU_DEP_1)
	v_or_b32_e32 v52, v4, v1
.LBB6_2282:                             ;   in Loop: Header=BB6_128 Depth=2
	s_or_b32 exec_lo, exec_lo, s42
                                        ; implicit-def: $vgpr1
.LBB6_2283:                             ;   in Loop: Header=BB6_128 Depth=2
	s_and_not1_saveexec_b32 s10, s41
; %bb.2284:                             ;   in Loop: Header=BB6_128 Depth=2
	v_or_b32_e32 v52, 0x7e, v1
; %bb.2285:                             ;   in Loop: Header=BB6_128 Depth=2
	s_or_b32 exec_lo, exec_lo, s10
                                        ; implicit-def: $vgpr1
.LBB6_2286:                             ;   in Loop: Header=BB6_128 Depth=2
	s_and_not1_saveexec_b32 s10, s40
; %bb.2287:                             ;   in Loop: Header=BB6_128 Depth=2
	v_or_b32_e32 v52, 0x7f, v1
; %bb.2288:                             ;   in Loop: Header=BB6_128 Depth=2
	s_or_b32 exec_lo, exec_lo, s10
	v_lshrrev_b16 v5, 8, v0
	v_dual_mov_b32 v1, 0 :: v_dual_mov_b32 v4, 0
	s_mov_b32 s10, exec_lo
	s_delay_alu instid0(VALU_DEP_2)
	v_cmpx_ne_u16_e32 0, v5
	s_cbranch_execz .LBB6_2296
; %bb.2289:                             ;   in Loop: Header=BB6_128 Depth=2
	v_bfrev_b32_e32 v4, 1
	s_mov_b32 s40, exec_lo
	v_cmpx_ne_u16_e32 0x80, v5
	s_cbranch_execz .LBB6_2295
; %bb.2290:                             ;   in Loop: Header=BB6_128 Depth=2
	v_and_b32_e32 v6, 0xffff, v5
	v_mov_b32_e32 v4, 0x7f800001
	s_mov_b32 s41, exec_lo
	s_delay_alu instid0(VALU_DEP_2) | instskip(NEXT) | instid1(VALU_DEP_1)
	v_and_b32_e32 v5, 0x7f, v6
	v_cmpx_ne_u32_e32 0x7f, v5
	s_cbranch_execz .LBB6_2294
; %bb.2291:                             ;   in Loop: Header=BB6_128 Depth=2
	v_dual_mov_b32 v23, v55 :: v_dual_bitop2_b32 v22, 7, v6 bitop3:0x40
	v_lshrrev_b32_e32 v4, 3, v5
	s_mov_b32 s42, exec_lo
	v_cmpx_gt_u32_e32 8, v5
; %bb.2292:                             ;   in Loop: Header=BB6_128 Depth=2
	s_delay_alu instid0(VALU_DEP_3) | instskip(NEXT) | instid1(VALU_DEP_1)
	v_clz_i32_u32_e32 v4, v22
	v_min_u32_e32 v4, 32, v4
	s_delay_alu instid0(VALU_DEP_1) | instskip(NEXT) | instid1(VALU_DEP_1)
	v_subrev_nc_u32_e32 v5, 28, v4
	v_lshlrev_b64_e32 v[6:7], v5, v[22:23]
	s_delay_alu instid0(VALU_DEP_1)
	v_dual_sub_nc_u32 v4, 29, v4 :: v_dual_bitop2_b32 v22, 7, v6 bitop3:0x40
; %bb.2293:                             ;   in Loop: Header=BB6_128 Depth=2
	s_or_b32 exec_lo, exec_lo, s42
	s_delay_alu instid0(VALU_DEP_1) | instskip(NEXT) | instid1(VALU_DEP_2)
	v_dual_lshlrev_b32 v0, 16, v0 :: v_dual_lshlrev_b32 v5, 20, v22
	v_lshl_add_u32 v4, v4, 23, 0x3c000000
	s_delay_alu instid0(VALU_DEP_2) | instskip(NEXT) | instid1(VALU_DEP_1)
	v_and_b32_e32 v0, 0x80000000, v0
	v_or3_b32 v4, v5, v0, v4
.LBB6_2294:                             ;   in Loop: Header=BB6_128 Depth=2
	s_or_b32 exec_lo, exec_lo, s41
.LBB6_2295:                             ;   in Loop: Header=BB6_128 Depth=2
	s_delay_alu instid0(SALU_CYCLE_1)
	s_or_b32 exec_lo, exec_lo, s40
.LBB6_2296:                             ;   in Loop: Header=BB6_128 Depth=2
	s_delay_alu instid0(SALU_CYCLE_1) | instskip(SKIP_2) | instid1(VALU_DEP_1)
	s_or_b32 exec_lo, exec_lo, s10
	v_lshrrev_b16 v0, 8, v19
	s_mov_b32 s10, exec_lo
	v_cmpx_ne_u16_e32 0, v0
	s_cbranch_execz .LBB6_2304
; %bb.2297:                             ;   in Loop: Header=BB6_128 Depth=2
	v_bfrev_b32_e32 v1, 1
	s_mov_b32 s40, exec_lo
	v_cmpx_ne_u16_e32 0x80, v0
	s_cbranch_execz .LBB6_2303
; %bb.2298:                             ;   in Loop: Header=BB6_128 Depth=2
	v_and_b32_e32 v0, 0xffff, v0
	v_mov_b32_e32 v1, 0x7f800001
	s_mov_b32 s41, exec_lo
	s_delay_alu instid0(VALU_DEP_2) | instskip(NEXT) | instid1(VALU_DEP_1)
	v_and_b32_e32 v5, 0x7f, v0
	v_cmpx_ne_u32_e32 0x7f, v5
	s_cbranch_execz .LBB6_2302
; %bb.2299:                             ;   in Loop: Header=BB6_128 Depth=2
	v_dual_mov_b32 v23, v55 :: v_dual_bitop2_b32 v22, 7, v0 bitop3:0x40
	v_lshrrev_b32_e32 v0, 3, v5
	s_mov_b32 s42, exec_lo
	v_cmpx_gt_u32_e32 8, v5
; %bb.2300:                             ;   in Loop: Header=BB6_128 Depth=2
	s_delay_alu instid0(VALU_DEP_3) | instskip(NEXT) | instid1(VALU_DEP_1)
	v_clz_i32_u32_e32 v0, v22
	v_min_u32_e32 v0, 32, v0
	s_delay_alu instid0(VALU_DEP_1) | instskip(NEXT) | instid1(VALU_DEP_1)
	v_subrev_nc_u32_e32 v1, 28, v0
	v_lshlrev_b64_e32 v[6:7], v1, v[22:23]
	s_delay_alu instid0(VALU_DEP_1)
	v_dual_sub_nc_u32 v0, 29, v0 :: v_dual_bitop2_b32 v22, 7, v6 bitop3:0x40
; %bb.2301:                             ;   in Loop: Header=BB6_128 Depth=2
	s_or_b32 exec_lo, exec_lo, s42
	s_delay_alu instid0(VALU_DEP_1) | instskip(NEXT) | instid1(VALU_DEP_2)
	v_dual_lshlrev_b32 v1, 16, v19 :: v_dual_lshlrev_b32 v5, 20, v22
	v_lshl_add_u32 v0, v0, 23, 0x3c000000
	s_delay_alu instid0(VALU_DEP_2) | instskip(NEXT) | instid1(VALU_DEP_1)
	v_and_b32_e32 v1, 0x80000000, v1
	v_or3_b32 v1, v5, v1, v0
.LBB6_2302:                             ;   in Loop: Header=BB6_128 Depth=2
	s_or_b32 exec_lo, exec_lo, s41
.LBB6_2303:                             ;   in Loop: Header=BB6_128 Depth=2
	s_delay_alu instid0(SALU_CYCLE_1)
	s_or_b32 exec_lo, exec_lo, s40
.LBB6_2304:                             ;   in Loop: Header=BB6_128 Depth=2
	s_delay_alu instid0(SALU_CYCLE_1) | instskip(NEXT) | instid1(VALU_DEP_1)
	s_or_b32 exec_lo, exec_lo, s10
	v_dual_add_f32 v4, v4, v1 :: v_dual_mov_b32 v1, v55
	s_delay_alu instid0(VALU_DEP_1) | instskip(NEXT) | instid1(VALU_DEP_1)
	v_and_b32_e32 v0, 0x7f800000, v4
	v_cmp_ne_u64_e32 vcc_lo, 0x7f800000, v[0:1]
	v_lshrrev_b32_e32 v1, 24, v4
                                        ; implicit-def: $vgpr0
	s_and_saveexec_b32 s10, vcc_lo
	s_delay_alu instid0(SALU_CYCLE_1)
	s_xor_b32 s40, exec_lo, s10
	s_cbranch_execz .LBB6_2318
; %bb.2305:                             ;   in Loop: Header=BB6_128 Depth=2
	v_and_b32_e32 v6, 0x7fffffff, v4
	v_mov_b32_e32 v7, v55
	v_and_b32_e32 v1, 0x80, v1
                                        ; implicit-def: $vgpr0
	s_mov_b32 s10, exec_lo
	s_delay_alu instid0(VALU_DEP_2)
	v_cmpx_gt_u64_e32 0x43e00001, v[6:7]
	s_xor_b32 s41, exec_lo, s10
	s_cbranch_execz .LBB6_2315
; %bb.2306:                             ;   in Loop: Header=BB6_128 Depth=2
	v_mov_b32_e32 v0, 0
	s_mov_b32 s42, exec_lo
	v_cmpx_ne_u32_e32 0, v4
	s_cbranch_execz .LBB6_2314
; %bb.2307:                             ;   in Loop: Header=BB6_128 Depth=2
	v_bfe_u32 v0, v4, 23, 8
	v_and_b32_e32 v5, 0x7fffff, v4
	s_delay_alu instid0(VALU_DEP_2) | instskip(SKIP_2) | instid1(VALU_DEP_4)
	v_dual_mov_b32 v7, v55 :: v_dual_sub_nc_u32 v4, 0x79, v0
	v_cmp_gt_u32_e64 s10, 0x7a, v0
	v_cmp_eq_u32_e32 vcc_lo, 0, v0
	v_or_b32_e32 v6, 0x800000, v5
	s_delay_alu instid0(VALU_DEP_1) | instskip(NEXT) | instid1(VALU_DEP_1)
	v_dual_cndmask_b32 v4, 0, v4, s10 :: v_dual_cndmask_b32 v6, v6, v5, vcc_lo
	v_cndmask_b32_e64 v4, v4, 0x78, vcc_lo
	s_delay_alu instid0(VALU_DEP_1) | instskip(NEXT) | instid1(VALU_DEP_1)
	v_add_nc_u32_e32 v5, 20, v4
	v_lshlrev_b64_e64 v[8:9], v5, -1
	v_add_nc_u32_e32 v5, 19, v4
	s_delay_alu instid0(VALU_DEP_1) | instskip(NEXT) | instid1(VALU_DEP_3)
	v_lshlrev_b64_e64 v[22:23], v5, 1
	v_bfi_b32 v9, v9, 0, 0
	s_delay_alu instid0(VALU_DEP_4) | instskip(NEXT) | instid1(VALU_DEP_1)
	v_bfi_b32 v8, v8, 0, v6
	v_cmp_eq_u64_e64 s10, v[8:9], v[22:23]
	v_lshrrev_b64 v[22:23], v4, v[6:7]
	s_delay_alu instid0(VALU_DEP_1)
	v_mov_b64_e32 v[24:25], v[22:23]
	s_and_saveexec_b32 s43, s10
; %bb.2308:                             ;   in Loop: Header=BB6_128 Depth=2
	v_bfe_u32 v6, v22, 20, 1
	v_mov_b32_e32 v7, v55
	s_delay_alu instid0(VALU_DEP_1) | instskip(NEXT) | instid1(VALU_DEP_1)
	v_add_nc_u64_e32 v[6:7], v[22:23], v[6:7]
	v_add_nc_u64_e32 v[24:25], -1, v[6:7]
; %bb.2309:                             ;   in Loop: Header=BB6_128 Depth=2
	s_or_b32 exec_lo, exec_lo, s43
	v_dual_mov_b32 v23, v55 :: v_dual_add_nc_u32 v0, 0xffffff81, v0
	v_lshrrev_b32_e32 v5, 23, v22
	s_mov_b32 s10, exec_lo
	s_delay_alu instid0(VALU_DEP_2) | instskip(NEXT) | instid1(VALU_DEP_1)
	v_cndmask_b32_e64 v0, v0, 0xffffff82, vcc_lo
	v_add3_u32 v5, v4, v0, v5
	v_and_b32_e32 v0, 0xfffff, v24
	s_delay_alu instid0(VALU_DEP_1) | instskip(NEXT) | instid1(VALU_DEP_1)
	v_dual_add_nc_u32 v4, 6, v5 :: v_dual_add_nc_u32 v22, v0, v22
                                        ; implicit-def: $vgpr0
	v_cmpx_ne_u32_e32 0, v4
	s_xor_b32 s10, exec_lo, s10
; %bb.2310:                             ;   in Loop: Header=BB6_128 Depth=2
	s_delay_alu instid0(VALU_DEP_2) | instskip(SKIP_1) | instid1(VALU_DEP_1)
	v_cmp_lt_u64_e32 vcc_lo, 0xffffff, v[22:23]
	v_add_nc_u32_e32 v0, 7, v5
	v_cndmask_b32_e32 v0, v4, v0, vcc_lo
	v_cndmask_b32_e64 v4, 0, 1, vcc_lo
	s_delay_alu instid0(VALU_DEP_1)
	v_lshrrev_b64 v[22:23], v4, v[22:23]
; %bb.2311:                             ;   in Loop: Header=BB6_128 Depth=2
	s_and_not1_saveexec_b32 s10, s10
; %bb.2312:                             ;   in Loop: Header=BB6_128 Depth=2
	s_delay_alu instid0(VALU_DEP_1)
	v_bfe_u32 v0, v22, 23, 1
; %bb.2313:                             ;   in Loop: Header=BB6_128 Depth=2
	s_or_b32 exec_lo, exec_lo, s10
	s_delay_alu instid0(VALU_DEP_2) | instskip(NEXT) | instid1(VALU_DEP_2)
	v_lshrrev_b64 v[4:5], 20, v[22:23]
	v_cmp_gt_i32_e32 vcc_lo, 16, v0
	v_min_i32_e32 v6, 15, v0
	v_cmp_eq_u32_e64 s10, 0, v0
	s_delay_alu instid0(VALU_DEP_2) | instskip(SKIP_1) | instid1(VALU_DEP_2)
	v_dual_cndmask_b32 v5, 0, v5 :: v_dual_lshlrev_b32 v6, 3, v6
	v_cndmask_b32_e32 v4, 7, v4, vcc_lo
	v_and_b32_e32 v6, 0xf8, v6
	s_delay_alu instid0(VALU_DEP_2) | instskip(NEXT) | instid1(VALU_DEP_2)
	v_cmp_eq_u64_e32 vcc_lo, 0, v[4:5]
	v_and_or_b32 v0, v4, 7, v6
	s_and_b32 s10, s10, vcc_lo
	s_delay_alu instid0(VALU_DEP_1) | instid1(SALU_CYCLE_1)
	v_cndmask_b32_e64 v0, v0, 0, s10
	s_delay_alu instid0(VALU_DEP_1)
	v_or_b32_e32 v0, v0, v1
.LBB6_2314:                             ;   in Loop: Header=BB6_128 Depth=2
	s_or_b32 exec_lo, exec_lo, s42
                                        ; implicit-def: $vgpr1
.LBB6_2315:                             ;   in Loop: Header=BB6_128 Depth=2
	s_and_not1_saveexec_b32 s10, s41
; %bb.2316:                             ;   in Loop: Header=BB6_128 Depth=2
	v_or_b32_e32 v0, 0x7e, v1
; %bb.2317:                             ;   in Loop: Header=BB6_128 Depth=2
	s_or_b32 exec_lo, exec_lo, s10
                                        ; implicit-def: $vgpr1
.LBB6_2318:                             ;   in Loop: Header=BB6_128 Depth=2
	s_and_not1_saveexec_b32 s10, s40
; %bb.2319:                             ;   in Loop: Header=BB6_128 Depth=2
	v_or_b32_e32 v0, 0x7f, v1
; %bb.2320:                             ;   in Loop: Header=BB6_128 Depth=2
	s_or_b32 exec_lo, exec_lo, s10
	v_dual_lshrrev_b32 v5, 16, v54 :: v_dual_mov_b32 v1, 0
	v_mov_b32_e32 v4, 0
	s_mov_b32 s10, exec_lo
	s_delay_alu instid0(VALU_DEP_2) | instskip(NEXT) | instid1(VALU_DEP_1)
	v_and_b32_e32 v6, 0xff, v5
	v_cmpx_ne_u16_e32 0, v6
	s_cbranch_execz .LBB6_2328
; %bb.2321:                             ;   in Loop: Header=BB6_128 Depth=2
	v_bfrev_b32_e32 v4, 1
	s_mov_b32 s40, exec_lo
	v_cmpx_ne_u16_e32 0x80, v6
	s_cbranch_execz .LBB6_2327
; %bb.2322:                             ;   in Loop: Header=BB6_128 Depth=2
	v_bfe_u32 v6, v54, 16, 7
	v_mov_b32_e32 v4, 0x7f800001
	s_mov_b32 s41, exec_lo
	s_delay_alu instid0(VALU_DEP_2)
	v_cmpx_ne_u32_e32 0x7f, v6
	s_cbranch_execz .LBB6_2326
; %bb.2323:                             ;   in Loop: Header=BB6_128 Depth=2
	v_dual_mov_b32 v23, v55 :: v_dual_bitop2_b32 v22, 7, v5 bitop3:0x40
	v_lshrrev_b32_e32 v4, 3, v6
	s_mov_b32 s42, exec_lo
	v_cmpx_gt_u32_e32 8, v6
; %bb.2324:                             ;   in Loop: Header=BB6_128 Depth=2
	s_delay_alu instid0(VALU_DEP_3) | instskip(NEXT) | instid1(VALU_DEP_1)
	v_clz_i32_u32_e32 v4, v22
	v_min_u32_e32 v4, 32, v4
	s_delay_alu instid0(VALU_DEP_1) | instskip(NEXT) | instid1(VALU_DEP_1)
	v_subrev_nc_u32_e32 v6, 28, v4
	v_lshlrev_b64_e32 v[6:7], v6, v[22:23]
	s_delay_alu instid0(VALU_DEP_1)
	v_dual_sub_nc_u32 v4, 29, v4 :: v_dual_bitop2_b32 v22, 7, v6 bitop3:0x40
; %bb.2325:                             ;   in Loop: Header=BB6_128 Depth=2
	s_or_b32 exec_lo, exec_lo, s42
	s_delay_alu instid0(VALU_DEP_1) | instskip(NEXT) | instid1(VALU_DEP_2)
	v_dual_lshlrev_b32 v5, 24, v5 :: v_dual_lshlrev_b32 v6, 20, v22
	v_lshl_add_u32 v4, v4, 23, 0x3c000000
	s_delay_alu instid0(VALU_DEP_2) | instskip(NEXT) | instid1(VALU_DEP_1)
	v_and_b32_e32 v5, 0x80000000, v5
	v_or3_b32 v4, v6, v5, v4
.LBB6_2326:                             ;   in Loop: Header=BB6_128 Depth=2
	s_or_b32 exec_lo, exec_lo, s41
.LBB6_2327:                             ;   in Loop: Header=BB6_128 Depth=2
	s_delay_alu instid0(SALU_CYCLE_1)
	s_or_b32 exec_lo, exec_lo, s40
.LBB6_2328:                             ;   in Loop: Header=BB6_128 Depth=2
	s_delay_alu instid0(SALU_CYCLE_1) | instskip(SKIP_2) | instid1(VALU_DEP_1)
	s_or_b32 exec_lo, exec_lo, s10
	v_lshrrev_b32_e32 v5, 16, v19
	s_mov_b32 s10, exec_lo
	v_and_b32_e32 v6, 0xff, v5
	s_delay_alu instid0(VALU_DEP_1)
	v_cmpx_ne_u16_e32 0, v6
	s_cbranch_execz .LBB6_2336
; %bb.2329:                             ;   in Loop: Header=BB6_128 Depth=2
	v_bfrev_b32_e32 v1, 1
	s_mov_b32 s40, exec_lo
	v_cmpx_ne_u16_e32 0x80, v6
	s_cbranch_execz .LBB6_2335
; %bb.2330:                             ;   in Loop: Header=BB6_128 Depth=2
	v_bfe_u32 v6, v19, 16, 7
	v_mov_b32_e32 v1, 0x7f800001
	s_mov_b32 s41, exec_lo
	s_delay_alu instid0(VALU_DEP_2)
	v_cmpx_ne_u32_e32 0x7f, v6
	s_cbranch_execz .LBB6_2334
; %bb.2331:                             ;   in Loop: Header=BB6_128 Depth=2
	v_dual_mov_b32 v23, v55 :: v_dual_bitop2_b32 v22, 7, v5 bitop3:0x40
	v_lshrrev_b32_e32 v1, 3, v6
	s_mov_b32 s42, exec_lo
	v_cmpx_gt_u32_e32 8, v6
; %bb.2332:                             ;   in Loop: Header=BB6_128 Depth=2
	s_delay_alu instid0(VALU_DEP_3) | instskip(NEXT) | instid1(VALU_DEP_1)
	v_clz_i32_u32_e32 v1, v22
	v_min_u32_e32 v1, 32, v1
	s_delay_alu instid0(VALU_DEP_1) | instskip(NEXT) | instid1(VALU_DEP_1)
	v_subrev_nc_u32_e32 v5, 28, v1
	v_lshlrev_b64_e32 v[6:7], v5, v[22:23]
	s_delay_alu instid0(VALU_DEP_1)
	v_dual_sub_nc_u32 v1, 29, v1 :: v_dual_bitop2_b32 v22, 7, v6 bitop3:0x40
; %bb.2333:                             ;   in Loop: Header=BB6_128 Depth=2
	s_or_b32 exec_lo, exec_lo, s42
	s_delay_alu instid0(VALU_DEP_1) | instskip(NEXT) | instid1(VALU_DEP_2)
	v_dual_lshlrev_b32 v5, 8, v19 :: v_dual_lshlrev_b32 v6, 20, v22
	v_lshl_add_u32 v1, v1, 23, 0x3c000000
	s_delay_alu instid0(VALU_DEP_2) | instskip(NEXT) | instid1(VALU_DEP_1)
	v_and_b32_e32 v5, 0x80000000, v5
	v_or3_b32 v1, v6, v5, v1
.LBB6_2334:                             ;   in Loop: Header=BB6_128 Depth=2
	s_or_b32 exec_lo, exec_lo, s41
.LBB6_2335:                             ;   in Loop: Header=BB6_128 Depth=2
	s_delay_alu instid0(SALU_CYCLE_1)
	s_or_b32 exec_lo, exec_lo, s40
.LBB6_2336:                             ;   in Loop: Header=BB6_128 Depth=2
	s_delay_alu instid0(SALU_CYCLE_1) | instskip(NEXT) | instid1(VALU_DEP_1)
	s_or_b32 exec_lo, exec_lo, s10
	v_dual_add_f32 v5, v4, v1 :: v_dual_mov_b32 v7, v55
                                        ; implicit-def: $vgpr1
	s_mov_b32 s10, exec_lo
	s_delay_alu instid0(VALU_DEP_1) | instskip(SKIP_1) | instid1(VALU_DEP_2)
	v_and_b32_e32 v6, 0x7f800000, v5
	v_lshrrev_b32_e32 v4, 24, v5
	v_cmpx_ne_u64_e32 0x7f800000, v[6:7]
	s_xor_b32 s40, exec_lo, s10
	s_cbranch_execz .LBB6_2350
; %bb.2337:                             ;   in Loop: Header=BB6_128 Depth=2
	v_and_b32_e32 v6, 0x7fffffff, v5
	v_mov_b32_e32 v7, v55
	v_and_b32_e32 v4, 0x80, v4
                                        ; implicit-def: $vgpr1
	s_mov_b32 s10, exec_lo
	s_delay_alu instid0(VALU_DEP_2)
	v_cmpx_gt_u64_e32 0x43e00001, v[6:7]
	s_xor_b32 s41, exec_lo, s10
	s_cbranch_execz .LBB6_2347
; %bb.2338:                             ;   in Loop: Header=BB6_128 Depth=2
	v_mov_b32_e32 v1, 0
	s_mov_b32 s42, exec_lo
	v_cmpx_ne_u32_e32 0, v5
	s_cbranch_execz .LBB6_2346
; %bb.2339:                             ;   in Loop: Header=BB6_128 Depth=2
	v_and_b32_e32 v6, 0x7fffff, v5
	v_bfe_u32 v1, v5, 23, 8
	s_delay_alu instid0(VALU_DEP_2) | instskip(NEXT) | instid1(VALU_DEP_2)
	v_or_b32_e32 v7, 0x800000, v6
	v_cmp_eq_u32_e32 vcc_lo, 0, v1
	v_cmp_gt_u32_e64 s10, 0x7a, v1
	s_delay_alu instid0(VALU_DEP_3) | instskip(NEXT) | instid1(VALU_DEP_1)
	v_dual_cndmask_b32 v6, v7, v6 :: v_dual_sub_nc_u32 v5, 0x79, v1
	v_dual_mov_b32 v7, v55 :: v_dual_cndmask_b32 v5, 0, v5, s10
	s_delay_alu instid0(VALU_DEP_1) | instskip(NEXT) | instid1(VALU_DEP_1)
	v_cndmask_b32_e64 v5, v5, 0x78, vcc_lo
	v_dual_add_nc_u32 v8, 20, v5 :: v_dual_add_nc_u32 v22, 19, v5
	s_delay_alu instid0(VALU_DEP_1) | instskip(NEXT) | instid1(VALU_DEP_2)
	v_lshlrev_b64_e64 v[8:9], v8, -1
	v_lshlrev_b64_e64 v[22:23], v22, 1
	s_delay_alu instid0(VALU_DEP_2) | instskip(NEXT) | instid1(VALU_DEP_3)
	v_bfi_b32 v9, v9, 0, 0
	v_bfi_b32 v8, v8, 0, v6
	s_delay_alu instid0(VALU_DEP_1) | instskip(SKIP_1) | instid1(VALU_DEP_1)
	v_cmp_eq_u64_e64 s10, v[8:9], v[22:23]
	v_lshrrev_b64 v[22:23], v5, v[6:7]
	v_mov_b64_e32 v[24:25], v[22:23]
	s_and_saveexec_b32 s43, s10
; %bb.2340:                             ;   in Loop: Header=BB6_128 Depth=2
	v_bfe_u32 v6, v22, 20, 1
	v_mov_b32_e32 v7, v55
	s_delay_alu instid0(VALU_DEP_1) | instskip(NEXT) | instid1(VALU_DEP_1)
	v_add_nc_u64_e32 v[6:7], v[22:23], v[6:7]
	v_add_nc_u64_e32 v[24:25], -1, v[6:7]
; %bb.2341:                             ;   in Loop: Header=BB6_128 Depth=2
	s_or_b32 exec_lo, exec_lo, s43
	v_add_nc_u32_e32 v1, 0xffffff81, v1
	v_lshrrev_b32_e32 v6, 23, v22
	s_mov_b32 s10, exec_lo
	v_mov_b32_e32 v23, v55
	s_delay_alu instid0(VALU_DEP_3) | instskip(NEXT) | instid1(VALU_DEP_1)
	v_cndmask_b32_e64 v1, v1, 0xffffff82, vcc_lo
	v_add3_u32 v6, v5, v1, v6
	v_and_b32_e32 v1, 0xfffff, v24
	s_delay_alu instid0(VALU_DEP_2) | instskip(NEXT) | instid1(VALU_DEP_2)
	v_add_nc_u32_e32 v5, 6, v6
	v_add_nc_u32_e32 v22, v1, v22
                                        ; implicit-def: $vgpr1
	s_delay_alu instid0(VALU_DEP_2)
	v_cmpx_ne_u32_e32 0, v5
	s_xor_b32 s10, exec_lo, s10
; %bb.2342:                             ;   in Loop: Header=BB6_128 Depth=2
	s_delay_alu instid0(VALU_DEP_2) | instskip(SKIP_1) | instid1(VALU_DEP_1)
	v_cmp_lt_u64_e32 vcc_lo, 0xffffff, v[22:23]
	v_add_nc_u32_e32 v1, 7, v6
	v_cndmask_b32_e32 v1, v5, v1, vcc_lo
	v_cndmask_b32_e64 v5, 0, 1, vcc_lo
	s_delay_alu instid0(VALU_DEP_1)
	v_lshrrev_b64 v[22:23], v5, v[22:23]
; %bb.2343:                             ;   in Loop: Header=BB6_128 Depth=2
	s_and_not1_saveexec_b32 s10, s10
; %bb.2344:                             ;   in Loop: Header=BB6_128 Depth=2
	s_delay_alu instid0(VALU_DEP_1)
	v_bfe_u32 v1, v22, 23, 1
; %bb.2345:                             ;   in Loop: Header=BB6_128 Depth=2
	s_or_b32 exec_lo, exec_lo, s10
	s_delay_alu instid0(VALU_DEP_2) | instskip(NEXT) | instid1(VALU_DEP_2)
	v_lshrrev_b64 v[6:7], 20, v[22:23]
	v_cmp_gt_i32_e32 vcc_lo, 16, v1
	v_min_i32_e32 v5, 15, v1
	v_cmp_eq_u32_e64 s10, 0, v1
	s_delay_alu instid0(VALU_DEP_2) | instskip(SKIP_1) | instid1(VALU_DEP_2)
	v_dual_cndmask_b32 v7, 0, v7, vcc_lo :: v_dual_lshlrev_b32 v5, 3, v5
	v_cndmask_b32_e32 v6, 7, v6, vcc_lo
	v_and_b32_e32 v5, 0xf8, v5
	s_delay_alu instid0(VALU_DEP_2) | instskip(NEXT) | instid1(VALU_DEP_2)
	v_cmp_eq_u64_e32 vcc_lo, 0, v[6:7]
	v_and_or_b32 v1, v6, 7, v5
	s_and_b32 s10, s10, vcc_lo
	s_delay_alu instid0(VALU_DEP_1) | instid1(SALU_CYCLE_1)
	v_cndmask_b32_e64 v1, v1, 0, s10
	s_delay_alu instid0(VALU_DEP_1)
	v_or_b32_e32 v1, v1, v4
.LBB6_2346:                             ;   in Loop: Header=BB6_128 Depth=2
	s_or_b32 exec_lo, exec_lo, s42
                                        ; implicit-def: $vgpr4
.LBB6_2347:                             ;   in Loop: Header=BB6_128 Depth=2
	s_and_not1_saveexec_b32 s10, s41
; %bb.2348:                             ;   in Loop: Header=BB6_128 Depth=2
	v_or_b32_e32 v1, 0x7e, v4
; %bb.2349:                             ;   in Loop: Header=BB6_128 Depth=2
	s_or_b32 exec_lo, exec_lo, s10
                                        ; implicit-def: $vgpr4
.LBB6_2350:                             ;   in Loop: Header=BB6_128 Depth=2
	s_and_not1_saveexec_b32 s10, s40
; %bb.2351:                             ;   in Loop: Header=BB6_128 Depth=2
	v_or_b32_e32 v1, 0x7f, v4
; %bb.2352:                             ;   in Loop: Header=BB6_128 Depth=2
	s_or_b32 exec_lo, exec_lo, s10
	v_dual_mov_b32 v4, 0 :: v_dual_mov_b32 v5, 0
	s_mov_b32 s10, exec_lo
	v_cmpx_lt_u32_e32 0xffffff, v54
	s_cbranch_execz .LBB6_2360
; %bb.2353:                             ;   in Loop: Header=BB6_128 Depth=2
	v_lshrrev_b32_e32 v6, 24, v54
	v_bfrev_b32_e32 v5, 1
	s_mov_b32 s40, exec_lo
	s_delay_alu instid0(VALU_DEP_2)
	v_cmpx_ne_u32_e32 0x80, v6
	s_cbranch_execz .LBB6_2359
; %bb.2354:                             ;   in Loop: Header=BB6_128 Depth=2
	v_bfe_u32 v7, v54, 24, 7
	v_mov_b32_e32 v5, 0x7f800001
	s_mov_b32 s41, exec_lo
	s_delay_alu instid0(VALU_DEP_2)
	v_cmpx_ne_u32_e32 0x7f, v7
	s_cbranch_execz .LBB6_2358
; %bb.2355:                             ;   in Loop: Header=BB6_128 Depth=2
	v_dual_lshrrev_b32 v5, 3, v7 :: v_dual_bitop2_b32 v54, 7, v6 bitop3:0x40
	s_mov_b32 s42, exec_lo
	s_delay_alu instid0(VALU_DEP_1)
	v_mov_b64_e32 v[22:23], v[54:55]
	v_cmpx_gt_u32_e32 8, v7
; %bb.2356:                             ;   in Loop: Header=BB6_128 Depth=2
	v_clz_i32_u32_e32 v5, v54
	s_delay_alu instid0(VALU_DEP_1) | instskip(NEXT) | instid1(VALU_DEP_1)
	v_min_u32_e32 v5, 32, v5
	v_subrev_nc_u32_e32 v7, 28, v5
	s_delay_alu instid0(VALU_DEP_1) | instskip(NEXT) | instid1(VALU_DEP_1)
	v_lshlrev_b64_e32 v[8:9], v7, v[54:55]
	v_dual_sub_nc_u32 v5, 29, v5 :: v_dual_bitop2_b32 v22, 7, v8 bitop3:0x40
; %bb.2357:                             ;   in Loop: Header=BB6_128 Depth=2
	s_or_b32 exec_lo, exec_lo, s42
	v_lshlrev_b32_e32 v6, 24, v6
	s_delay_alu instid0(VALU_DEP_2) | instskip(NEXT) | instid1(VALU_DEP_3)
	v_lshlrev_b32_e32 v7, 20, v22
	v_lshl_add_u32 v5, v5, 23, 0x3c000000
	s_delay_alu instid0(VALU_DEP_3) | instskip(NEXT) | instid1(VALU_DEP_1)
	v_and_b32_e32 v6, 0x80000000, v6
	v_or3_b32 v5, v7, v6, v5
.LBB6_2358:                             ;   in Loop: Header=BB6_128 Depth=2
	s_or_b32 exec_lo, exec_lo, s41
.LBB6_2359:                             ;   in Loop: Header=BB6_128 Depth=2
	s_delay_alu instid0(SALU_CYCLE_1)
	s_or_b32 exec_lo, exec_lo, s40
.LBB6_2360:                             ;   in Loop: Header=BB6_128 Depth=2
	s_delay_alu instid0(SALU_CYCLE_1) | instskip(NEXT) | instid1(SALU_CYCLE_1)
	s_or_b32 exec_lo, exec_lo, s10
	s_mov_b32 s10, exec_lo
	v_cmpx_lt_u64_e64 s[14:15], v[18:19]
	s_cbranch_execz .LBB6_2368
; %bb.2361:                             ;   in Loop: Header=BB6_128 Depth=2
	v_lshrrev_b32_e32 v6, 24, v19
	v_bfrev_b32_e32 v4, 1
	s_mov_b32 s40, exec_lo
	s_delay_alu instid0(VALU_DEP_2)
	v_cmpx_ne_u32_e32 0x80, v6
	s_cbranch_execz .LBB6_2367
; %bb.2362:                             ;   in Loop: Header=BB6_128 Depth=2
	v_bfe_u32 v7, v19, 24, 7
	v_mov_b32_e32 v4, 0x7f800001
	s_mov_b32 s41, exec_lo
	s_delay_alu instid0(VALU_DEP_2)
	v_cmpx_ne_u32_e32 0x7f, v7
	s_cbranch_execz .LBB6_2366
; %bb.2363:                             ;   in Loop: Header=BB6_128 Depth=2
	v_dual_lshrrev_b32 v4, 3, v7 :: v_dual_bitop2_b32 v54, 7, v6 bitop3:0x40
	s_mov_b32 s42, exec_lo
	s_delay_alu instid0(VALU_DEP_1)
	v_mov_b64_e32 v[18:19], v[54:55]
	v_cmpx_gt_u32_e32 8, v7
; %bb.2364:                             ;   in Loop: Header=BB6_128 Depth=2
	v_clz_i32_u32_e32 v4, v54
	s_delay_alu instid0(VALU_DEP_1) | instskip(NEXT) | instid1(VALU_DEP_1)
	v_min_u32_e32 v4, 32, v4
	v_subrev_nc_u32_e32 v7, 28, v4
	v_sub_nc_u32_e32 v4, 29, v4
	s_delay_alu instid0(VALU_DEP_2) | instskip(NEXT) | instid1(VALU_DEP_1)
	v_lshlrev_b64_e32 v[8:9], v7, v[54:55]
	v_and_b32_e32 v18, 7, v8
; %bb.2365:                             ;   in Loop: Header=BB6_128 Depth=2
	s_or_b32 exec_lo, exec_lo, s42
	v_lshlrev_b32_e32 v6, 24, v6
	s_delay_alu instid0(VALU_DEP_2) | instskip(SKIP_1) | instid1(VALU_DEP_3)
	v_lshlrev_b32_e32 v7, 20, v18
	v_lshl_add_u32 v4, v4, 23, 0x3c000000
	v_and_b32_e32 v6, 0x80000000, v6
	s_delay_alu instid0(VALU_DEP_1)
	v_or3_b32 v4, v7, v6, v4
.LBB6_2366:                             ;   in Loop: Header=BB6_128 Depth=2
	s_or_b32 exec_lo, exec_lo, s41
.LBB6_2367:                             ;   in Loop: Header=BB6_128 Depth=2
	s_delay_alu instid0(SALU_CYCLE_1)
	s_or_b32 exec_lo, exec_lo, s40
.LBB6_2368:                             ;   in Loop: Header=BB6_128 Depth=2
	s_delay_alu instid0(SALU_CYCLE_1) | instskip(NEXT) | instid1(VALU_DEP_1)
	s_or_b32 exec_lo, exec_lo, s10
	v_add_f32_e32 v5, v5, v4
                                        ; implicit-def: $vgpr24
	s_mov_b32 s10, exec_lo
	s_delay_alu instid0(VALU_DEP_1) | instskip(SKIP_1) | instid1(VALU_DEP_2)
	v_and_b32_e32 v54, 0x7f800000, v5
	v_lshrrev_b32_e32 v4, 24, v5
	v_cmpx_ne_u64_e32 0x7f800000, v[54:55]
	s_xor_b32 s40, exec_lo, s10
	s_cbranch_execz .LBB6_2382
; %bb.2369:                             ;   in Loop: Header=BB6_128 Depth=2
	v_and_b32_e32 v54, 0x7fffffff, v5
	v_and_b32_e32 v4, 0x80, v4
                                        ; implicit-def: $vgpr24
	s_mov_b32 s10, exec_lo
	s_delay_alu instid0(VALU_DEP_2)
	v_cmpx_gt_u64_e32 0x43e00001, v[54:55]
	s_xor_b32 s41, exec_lo, s10
	s_cbranch_execz .LBB6_2379
; %bb.2370:                             ;   in Loop: Header=BB6_128 Depth=2
	v_mov_b32_e32 v24, 0
	s_mov_b32 s42, exec_lo
	v_cmpx_ne_u32_e32 0, v5
	s_cbranch_execz .LBB6_2378
; %bb.2371:                             ;   in Loop: Header=BB6_128 Depth=2
	v_and_b32_e32 v7, 0x7fffff, v5
	v_bfe_u32 v5, v5, 23, 8
	s_delay_alu instid0(VALU_DEP_2) | instskip(NEXT) | instid1(VALU_DEP_2)
	v_or_b32_e32 v8, 0x800000, v7
	v_cmp_gt_u32_e64 s10, 0x7a, v5
	v_sub_nc_u32_e32 v6, 0x79, v5
	v_cmp_eq_u32_e32 vcc_lo, 0, v5
	s_delay_alu instid0(VALU_DEP_2) | instskip(NEXT) | instid1(VALU_DEP_1)
	v_dual_cndmask_b32 v6, 0, v6, s10 :: v_dual_cndmask_b32 v54, v8, v7, vcc_lo
	v_cndmask_b32_e64 v6, v6, 0x78, vcc_lo
	s_delay_alu instid0(VALU_DEP_1) | instskip(NEXT) | instid1(VALU_DEP_1)
	v_add_nc_u32_e32 v7, 20, v6
	v_lshlrev_b64_e64 v[8:9], v7, -1
	v_add_nc_u32_e32 v7, 19, v6
	s_delay_alu instid0(VALU_DEP_1) | instskip(NEXT) | instid1(VALU_DEP_3)
	v_lshlrev_b64_e64 v[18:19], v7, 1
	v_bfi_b32 v9, v9, 0, 0
	s_delay_alu instid0(VALU_DEP_4) | instskip(NEXT) | instid1(VALU_DEP_1)
	v_bfi_b32 v8, v8, 0, v54
	v_cmp_eq_u64_e64 s10, v[8:9], v[18:19]
	v_lshrrev_b64 v[18:19], v6, v[54:55]
	s_delay_alu instid0(VALU_DEP_1)
	v_mov_b64_e32 v[22:23], v[18:19]
	s_and_saveexec_b32 s43, s10
; %bb.2372:                             ;   in Loop: Header=BB6_128 Depth=2
	v_bfe_u32 v54, v18, 20, 1
	s_delay_alu instid0(VALU_DEP_1) | instskip(NEXT) | instid1(VALU_DEP_1)
	v_add_nc_u64_e32 v[8:9], v[18:19], v[54:55]
	v_add_nc_u64_e32 v[22:23], -1, v[8:9]
; %bb.2373:                             ;   in Loop: Header=BB6_128 Depth=2
	s_or_b32 exec_lo, exec_lo, s43
	v_add_nc_u32_e32 v5, 0xffffff81, v5
	v_lshrrev_b32_e32 v7, 23, v18
	s_mov_b32 s10, exec_lo
	s_delay_alu instid0(VALU_DEP_2) | instskip(NEXT) | instid1(VALU_DEP_1)
	v_cndmask_b32_e64 v5, v5, 0xffffff82, vcc_lo
	v_add3_u32 v7, v6, v5, v7
	v_and_b32_e32 v5, 0xfffff, v22
	s_delay_alu instid0(VALU_DEP_1) | instskip(NEXT) | instid1(VALU_DEP_1)
	v_dual_add_nc_u32 v6, 6, v7 :: v_dual_add_nc_u32 v54, v5, v18
                                        ; implicit-def: $vgpr18_vgpr19
                                        ; implicit-def: $vgpr5
	v_cmpx_ne_u32_e32 0, v6
	s_xor_b32 s10, exec_lo, s10
; %bb.2374:                             ;   in Loop: Header=BB6_128 Depth=2
	s_delay_alu instid0(VALU_DEP_2) | instskip(SKIP_1) | instid1(VALU_DEP_1)
	v_cmp_lt_u64_e32 vcc_lo, 0xffffff, v[54:55]
	v_add_nc_u32_e32 v5, 7, v7
	v_cndmask_b32_e32 v5, v6, v5, vcc_lo
	v_cndmask_b32_e64 v6, 0, 1, vcc_lo
	s_delay_alu instid0(VALU_DEP_1)
	v_lshrrev_b64 v[18:19], v6, v[54:55]
; %bb.2375:                             ;   in Loop: Header=BB6_128 Depth=2
	s_and_not1_saveexec_b32 s10, s10
; %bb.2376:                             ;   in Loop: Header=BB6_128 Depth=2
	v_mov_b64_e32 v[18:19], v[54:55]
	v_bfe_u32 v5, v54, 23, 1
; %bb.2377:                             ;   in Loop: Header=BB6_128 Depth=2
	s_or_b32 exec_lo, exec_lo, s10
	s_delay_alu instid0(VALU_DEP_2) | instskip(NEXT) | instid1(VALU_DEP_2)
	v_lshrrev_b64 v[6:7], 20, v[18:19]
	v_cmp_gt_i32_e32 vcc_lo, 16, v5
	v_min_i32_e32 v8, 15, v5
	v_cmp_eq_u32_e64 s10, 0, v5
	s_delay_alu instid0(VALU_DEP_2) | instskip(SKIP_1) | instid1(VALU_DEP_2)
	v_dual_cndmask_b32 v7, 0, v7 :: v_dual_lshlrev_b32 v8, 3, v8
	v_cndmask_b32_e32 v6, 7, v6, vcc_lo
	v_and_b32_e32 v8, 0xf8, v8
	s_delay_alu instid0(VALU_DEP_2) | instskip(NEXT) | instid1(VALU_DEP_2)
	v_cmp_eq_u64_e32 vcc_lo, 0, v[6:7]
	v_and_or_b32 v5, v6, 7, v8
	s_and_b32 s10, s10, vcc_lo
	s_delay_alu instid0(VALU_DEP_1) | instid1(SALU_CYCLE_1)
	v_cndmask_b32_e64 v5, v5, 0, s10
	s_delay_alu instid0(VALU_DEP_1)
	v_or_b32_e32 v24, v5, v4
.LBB6_2378:                             ;   in Loop: Header=BB6_128 Depth=2
	s_or_b32 exec_lo, exec_lo, s42
                                        ; implicit-def: $vgpr4
.LBB6_2379:                             ;   in Loop: Header=BB6_128 Depth=2
	s_and_not1_saveexec_b32 s10, s41
; %bb.2380:                             ;   in Loop: Header=BB6_128 Depth=2
	v_or_b32_e32 v24, 0x7e, v4
; %bb.2381:                             ;   in Loop: Header=BB6_128 Depth=2
	s_or_b32 exec_lo, exec_lo, s10
                                        ; implicit-def: $vgpr4
.LBB6_2382:                             ;   in Loop: Header=BB6_128 Depth=2
	s_and_not1_saveexec_b32 s10, s40
; %bb.2383:                             ;   in Loop: Header=BB6_128 Depth=2
	v_or_b32_e32 v24, 0x7f, v4
; %bb.2384:                             ;   in Loop: Header=BB6_128 Depth=2
	s_or_b32 exec_lo, exec_lo, s10
	v_lshl_or_b32 v5, v126, 8, v35
	v_dual_lshlrev_b32 v4, 16, v41 :: v_dual_lshlrev_b32 v6, 24, v67
	s_mov_b32 s10, exec_lo
	s_delay_alu instid0(VALU_DEP_1)
	v_or3_b32 v54, v4, v6, v5
	v_dual_mov_b32 v4, 0 :: v_dual_mov_b32 v6, 0
	v_cmpx_ne_u32_e32 0, v35
	s_cbranch_execz .LBB6_2390
; %bb.2385:                             ;   in Loop: Header=BB6_128 Depth=2
	v_bfrev_b32_e32 v6, 1
	s_mov_b32 s40, exec_lo
	v_cmpx_ne_u32_e32 0x80, v35
	s_cbranch_execz .LBB6_2389
; %bb.2386:                             ;   in Loop: Header=BB6_128 Depth=2
	v_and_b32_e32 v7, 0x7f, v35
	v_mov_b32_e32 v6, 0x7f800001
	s_mov_b32 s41, exec_lo
	s_delay_alu instid0(VALU_DEP_2)
	v_cmpx_ne_u32_e32 0x7f, v7
	s_cbranch_execz .LBB6_2388
; %bb.2387:                             ;   in Loop: Header=BB6_128 Depth=2
	v_and_b32_e32 v6, 7, v35
	v_cmp_gt_u32_e32 vcc_lo, 8, v7
	s_delay_alu instid0(VALU_DEP_2) | instskip(NEXT) | instid1(VALU_DEP_1)
	v_clz_i32_u32_e32 v6, v6
	v_min_u32_e32 v6, 32, v6
	v_lshrrev_b32_e32 v8, 3, v7
	s_delay_alu instid0(VALU_DEP_2) | instskip(SKIP_1) | instid1(VALU_DEP_1)
	v_subrev_nc_u32_e32 v7, 28, v6
	v_sub_nc_u32_e32 v6, 29, v6
	v_dual_cndmask_b32 v8, v8, v6, vcc_lo :: v_dual_cndmask_b32 v6, 0, v7, vcc_lo
	s_delay_alu instid0(VALU_DEP_1) | instskip(NEXT) | instid1(VALU_DEP_2)
	v_lshl_add_u32 v8, v8, 23, 0x3c000000
	v_lshlrev_b64_e32 v[6:7], v6, v[54:55]
	v_lshlrev_b32_e32 v7, 24, v54
	s_delay_alu instid0(VALU_DEP_1) | instskip(NEXT) | instid1(VALU_DEP_3)
	v_and_b32_e32 v7, 0x80000000, v7
	v_lshlrev_b32_e32 v6, 20, v6
	s_delay_alu instid0(VALU_DEP_1) | instskip(NEXT) | instid1(VALU_DEP_1)
	v_and_b32_e32 v6, 0x700000, v6
	v_or3_b32 v6, v6, v7, v8
.LBB6_2388:                             ;   in Loop: Header=BB6_128 Depth=2
	s_or_b32 exec_lo, exec_lo, s41
.LBB6_2389:                             ;   in Loop: Header=BB6_128 Depth=2
	s_delay_alu instid0(SALU_CYCLE_1)
	s_or_b32 exec_lo, exec_lo, s40
.LBB6_2390:                             ;   in Loop: Header=BB6_128 Depth=2
	s_delay_alu instid0(SALU_CYCLE_1) | instskip(SKIP_2) | instid1(VALU_DEP_1)
	s_or_b32 exec_lo, exec_lo, s10
	v_and_b32_e32 v7, 0xff, v20
	s_mov_b32 s10, exec_lo
	v_cmpx_ne_u16_e32 0, v7
	s_cbranch_execz .LBB6_2396
; %bb.2391:                             ;   in Loop: Header=BB6_128 Depth=2
	v_bfrev_b32_e32 v4, 1
	s_mov_b32 s40, exec_lo
	v_cmpx_ne_u16_e32 0x80, v7
	s_cbranch_execz .LBB6_2395
; %bb.2392:                             ;   in Loop: Header=BB6_128 Depth=2
	v_and_b32_e32 v7, 0x7f, v20
	v_mov_b32_e32 v4, 0x7f800001
	s_mov_b32 s41, exec_lo
	s_delay_alu instid0(VALU_DEP_2)
	v_cmpx_ne_u32_e32 0x7f, v7
	s_cbranch_execz .LBB6_2394
; %bb.2393:                             ;   in Loop: Header=BB6_128 Depth=2
	v_dual_lshrrev_b32 v8, 3, v7 :: v_dual_bitop2_b32 v4, 7, v20 bitop3:0x40
	v_cmp_gt_u32_e32 vcc_lo, 8, v7
	s_delay_alu instid0(VALU_DEP_2) | instskip(NEXT) | instid1(VALU_DEP_1)
	v_clz_i32_u32_e32 v4, v4
	v_min_u32_e32 v4, 32, v4
	s_delay_alu instid0(VALU_DEP_1) | instskip(NEXT) | instid1(VALU_DEP_1)
	v_subrev_nc_u32_e32 v7, 28, v4
	v_dual_cndmask_b32 v7, 0, v7 :: v_dual_sub_nc_u32 v4, 29, v4
	s_delay_alu instid0(VALU_DEP_1) | instskip(NEXT) | instid1(VALU_DEP_2)
	v_cndmask_b32_e32 v4, v8, v4, vcc_lo
	v_lshlrev_b64_e32 v[8:9], v7, v[20:21]
	s_delay_alu instid0(VALU_DEP_2) | instskip(NEXT) | instid1(VALU_DEP_2)
	v_lshl_add_u32 v4, v4, 23, 0x3c000000
	v_lshlrev_b32_e32 v7, 20, v8
	v_lshlrev_b32_e32 v8, 24, v20
	s_delay_alu instid0(VALU_DEP_2) | instskip(NEXT) | instid1(VALU_DEP_2)
	v_and_b32_e32 v7, 0x700000, v7
	v_and_b32_e32 v8, 0x80000000, v8
	s_delay_alu instid0(VALU_DEP_1)
	v_or3_b32 v4, v7, v8, v4
.LBB6_2394:                             ;   in Loop: Header=BB6_128 Depth=2
	s_or_b32 exec_lo, exec_lo, s41
.LBB6_2395:                             ;   in Loop: Header=BB6_128 Depth=2
	s_delay_alu instid0(SALU_CYCLE_1)
	s_or_b32 exec_lo, exec_lo, s40
.LBB6_2396:                             ;   in Loop: Header=BB6_128 Depth=2
	s_delay_alu instid0(SALU_CYCLE_1) | instskip(NEXT) | instid1(VALU_DEP_1)
	s_or_b32 exec_lo, exec_lo, s10
	v_dual_add_f32 v7, v6, v4 :: v_dual_mov_b32 v9, v55
                                        ; implicit-def: $vgpr4
	s_mov_b32 s10, exec_lo
	s_delay_alu instid0(VALU_DEP_1) | instskip(SKIP_1) | instid1(VALU_DEP_2)
	v_and_b32_e32 v8, 0x7f800000, v7
	v_lshrrev_b32_e32 v6, 24, v7
	v_cmpx_ne_u64_e32 0x7f800000, v[8:9]
	s_xor_b32 s40, exec_lo, s10
	s_cbranch_execz .LBB6_2410
; %bb.2397:                             ;   in Loop: Header=BB6_128 Depth=2
	v_and_b32_e32 v8, 0x7fffffff, v7
	v_mov_b32_e32 v9, v55
	v_and_b32_e32 v6, 0x80, v6
                                        ; implicit-def: $vgpr4
	s_mov_b32 s10, exec_lo
	s_delay_alu instid0(VALU_DEP_2)
	v_cmpx_gt_u64_e32 0x43e00001, v[8:9]
	s_xor_b32 s41, exec_lo, s10
	s_cbranch_execz .LBB6_2407
; %bb.2398:                             ;   in Loop: Header=BB6_128 Depth=2
	v_mov_b32_e32 v4, 0
	s_mov_b32 s42, exec_lo
	v_cmpx_ne_u32_e32 0, v7
	s_cbranch_execz .LBB6_2406
; %bb.2399:                             ;   in Loop: Header=BB6_128 Depth=2
	v_bfe_u32 v4, v7, 23, 8
	v_and_b32_e32 v8, 0x7fffff, v7
	s_delay_alu instid0(VALU_DEP_2) | instskip(SKIP_2) | instid1(VALU_DEP_4)
	v_cmp_gt_u32_e64 s10, 0x7a, v4
	v_sub_nc_u32_e32 v7, 0x79, v4
	v_cmp_eq_u32_e32 vcc_lo, 0, v4
	v_or_b32_e32 v9, 0x800000, v8
	s_delay_alu instid0(VALU_DEP_1) | instskip(NEXT) | instid1(VALU_DEP_1)
	v_dual_cndmask_b32 v7, 0, v7, s10 :: v_dual_cndmask_b32 v8, v9, v8, vcc_lo
	v_cndmask_b32_e64 v7, v7, 0x78, vcc_lo
	s_delay_alu instid0(VALU_DEP_1) | instskip(SKIP_1) | instid1(VALU_DEP_2)
	v_dual_mov_b32 v9, v55 :: v_dual_add_nc_u32 v18, 20, v7
	v_add_nc_u32_e32 v22, 19, v7
	v_lshlrev_b64_e64 v[18:19], v18, -1
	s_delay_alu instid0(VALU_DEP_2) | instskip(NEXT) | instid1(VALU_DEP_2)
	v_lshlrev_b64_e64 v[22:23], v22, 1
	v_bfi_b32 v19, v19, 0, 0
	s_delay_alu instid0(VALU_DEP_3) | instskip(NEXT) | instid1(VALU_DEP_1)
	v_bfi_b32 v18, v18, 0, v8
	v_cmp_eq_u64_e64 s10, v[18:19], v[22:23]
	v_lshrrev_b64 v[18:19], v7, v[8:9]
	s_delay_alu instid0(VALU_DEP_1)
	v_mov_b64_e32 v[22:23], v[18:19]
	s_and_saveexec_b32 s43, s10
; %bb.2400:                             ;   in Loop: Header=BB6_128 Depth=2
	v_bfe_u32 v8, v18, 20, 1
	v_mov_b32_e32 v9, v55
	s_delay_alu instid0(VALU_DEP_1) | instskip(NEXT) | instid1(VALU_DEP_1)
	v_add_nc_u64_e32 v[8:9], v[18:19], v[8:9]
	v_add_nc_u64_e32 v[22:23], -1, v[8:9]
; %bb.2401:                             ;   in Loop: Header=BB6_128 Depth=2
	s_or_b32 exec_lo, exec_lo, s43
	v_dual_mov_b32 v19, v55 :: v_dual_add_nc_u32 v4, 0xffffff81, v4
	v_lshrrev_b32_e32 v8, 23, v18
	s_mov_b32 s10, exec_lo
	s_delay_alu instid0(VALU_DEP_2) | instskip(NEXT) | instid1(VALU_DEP_1)
	v_cndmask_b32_e64 v4, v4, 0xffffff82, vcc_lo
	v_add3_u32 v8, v7, v4, v8
	v_and_b32_e32 v4, 0xfffff, v22
	s_delay_alu instid0(VALU_DEP_1) | instskip(NEXT) | instid1(VALU_DEP_1)
	v_dual_add_nc_u32 v7, 6, v8 :: v_dual_add_nc_u32 v18, v4, v18
                                        ; implicit-def: $vgpr4
	v_cmpx_ne_u32_e32 0, v7
	s_xor_b32 s10, exec_lo, s10
; %bb.2402:                             ;   in Loop: Header=BB6_128 Depth=2
	s_delay_alu instid0(VALU_DEP_2) | instskip(SKIP_1) | instid1(VALU_DEP_1)
	v_cmp_lt_u64_e32 vcc_lo, 0xffffff, v[18:19]
	v_add_nc_u32_e32 v4, 7, v8
	v_cndmask_b32_e32 v4, v7, v4, vcc_lo
	v_cndmask_b32_e64 v7, 0, 1, vcc_lo
	s_delay_alu instid0(VALU_DEP_1)
	v_lshrrev_b64 v[18:19], v7, v[18:19]
; %bb.2403:                             ;   in Loop: Header=BB6_128 Depth=2
	s_and_not1_saveexec_b32 s10, s10
; %bb.2404:                             ;   in Loop: Header=BB6_128 Depth=2
	s_delay_alu instid0(VALU_DEP_1)
	v_bfe_u32 v4, v18, 23, 1
; %bb.2405:                             ;   in Loop: Header=BB6_128 Depth=2
	s_or_b32 exec_lo, exec_lo, s10
	s_delay_alu instid0(VALU_DEP_2) | instskip(NEXT) | instid1(VALU_DEP_2)
	v_lshrrev_b64 v[8:9], 20, v[18:19]
	v_cmp_gt_i32_e32 vcc_lo, 16, v4
	v_min_i32_e32 v7, 15, v4
	v_cmp_eq_u32_e64 s10, 0, v4
	s_delay_alu instid0(VALU_DEP_2) | instskip(SKIP_1) | instid1(VALU_DEP_2)
	v_dual_cndmask_b32 v9, 0, v9, vcc_lo :: v_dual_lshlrev_b32 v7, 3, v7
	v_cndmask_b32_e32 v8, 7, v8, vcc_lo
	v_and_b32_e32 v7, 0xf8, v7
	s_delay_alu instid0(VALU_DEP_2) | instskip(NEXT) | instid1(VALU_DEP_2)
	v_cmp_eq_u64_e32 vcc_lo, 0, v[8:9]
	v_and_or_b32 v4, v8, 7, v7
	s_and_b32 s10, s10, vcc_lo
	s_delay_alu instid0(VALU_DEP_1) | instid1(SALU_CYCLE_1)
	v_cndmask_b32_e64 v4, v4, 0, s10
	s_delay_alu instid0(VALU_DEP_1)
	v_or_b32_e32 v4, v4, v6
.LBB6_2406:                             ;   in Loop: Header=BB6_128 Depth=2
	s_or_b32 exec_lo, exec_lo, s42
                                        ; implicit-def: $vgpr6
.LBB6_2407:                             ;   in Loop: Header=BB6_128 Depth=2
	s_and_not1_saveexec_b32 s10, s41
; %bb.2408:                             ;   in Loop: Header=BB6_128 Depth=2
	v_or_b32_e32 v4, 0x7e, v6
; %bb.2409:                             ;   in Loop: Header=BB6_128 Depth=2
	s_or_b32 exec_lo, exec_lo, s10
                                        ; implicit-def: $vgpr6
.LBB6_2410:                             ;   in Loop: Header=BB6_128 Depth=2
	s_and_not1_saveexec_b32 s10, s40
; %bb.2411:                             ;   in Loop: Header=BB6_128 Depth=2
	v_or_b32_e32 v4, 0x7f, v6
; %bb.2412:                             ;   in Loop: Header=BB6_128 Depth=2
	s_or_b32 exec_lo, exec_lo, s10
	v_lshrrev_b16 v8, 8, v5
	v_dual_mov_b32 v6, 0 :: v_dual_mov_b32 v7, 0
	s_mov_b32 s10, exec_lo
	s_delay_alu instid0(VALU_DEP_2)
	v_cmpx_ne_u16_e32 0, v8
	s_cbranch_execz .LBB6_2420
; %bb.2413:                             ;   in Loop: Header=BB6_128 Depth=2
	v_bfrev_b32_e32 v7, 1
	s_mov_b32 s40, exec_lo
	v_cmpx_ne_u16_e32 0x80, v8
	s_cbranch_execz .LBB6_2419
; %bb.2414:                             ;   in Loop: Header=BB6_128 Depth=2
	v_and_b32_e32 v9, 0xffff, v8
	v_mov_b32_e32 v7, 0x7f800001
	s_mov_b32 s41, exec_lo
	s_delay_alu instid0(VALU_DEP_2) | instskip(NEXT) | instid1(VALU_DEP_1)
	v_and_b32_e32 v8, 0x7f, v9
	v_cmpx_ne_u32_e32 0x7f, v8
	s_cbranch_execz .LBB6_2418
; %bb.2415:                             ;   in Loop: Header=BB6_128 Depth=2
	v_dual_mov_b32 v19, v55 :: v_dual_bitop2_b32 v18, 7, v9 bitop3:0x40
	v_lshrrev_b32_e32 v7, 3, v8
	s_mov_b32 s42, exec_lo
	v_cmpx_gt_u32_e32 8, v8
; %bb.2416:                             ;   in Loop: Header=BB6_128 Depth=2
	s_delay_alu instid0(VALU_DEP_3) | instskip(NEXT) | instid1(VALU_DEP_1)
	v_clz_i32_u32_e32 v7, v18
	v_min_u32_e32 v7, 32, v7
	s_delay_alu instid0(VALU_DEP_1) | instskip(NEXT) | instid1(VALU_DEP_1)
	v_subrev_nc_u32_e32 v8, 28, v7
	v_lshlrev_b64_e32 v[8:9], v8, v[18:19]
	s_delay_alu instid0(VALU_DEP_1)
	v_dual_sub_nc_u32 v7, 29, v7 :: v_dual_bitop2_b32 v18, 7, v8 bitop3:0x40
; %bb.2417:                             ;   in Loop: Header=BB6_128 Depth=2
	s_or_b32 exec_lo, exec_lo, s42
	s_delay_alu instid0(VALU_DEP_1) | instskip(NEXT) | instid1(VALU_DEP_2)
	v_dual_lshlrev_b32 v5, 16, v5 :: v_dual_lshlrev_b32 v8, 20, v18
	v_lshl_add_u32 v7, v7, 23, 0x3c000000
	s_delay_alu instid0(VALU_DEP_2) | instskip(NEXT) | instid1(VALU_DEP_1)
	v_and_b32_e32 v5, 0x80000000, v5
	v_or3_b32 v7, v8, v5, v7
.LBB6_2418:                             ;   in Loop: Header=BB6_128 Depth=2
	s_or_b32 exec_lo, exec_lo, s41
.LBB6_2419:                             ;   in Loop: Header=BB6_128 Depth=2
	s_delay_alu instid0(SALU_CYCLE_1)
	s_or_b32 exec_lo, exec_lo, s40
.LBB6_2420:                             ;   in Loop: Header=BB6_128 Depth=2
	s_delay_alu instid0(SALU_CYCLE_1) | instskip(SKIP_2) | instid1(VALU_DEP_1)
	s_or_b32 exec_lo, exec_lo, s10
	v_lshrrev_b16 v5, 8, v20
	s_mov_b32 s10, exec_lo
	v_cmpx_ne_u16_e32 0, v5
	s_cbranch_execz .LBB6_2428
; %bb.2421:                             ;   in Loop: Header=BB6_128 Depth=2
	v_bfrev_b32_e32 v6, 1
	s_mov_b32 s40, exec_lo
	v_cmpx_ne_u16_e32 0x80, v5
	s_cbranch_execz .LBB6_2427
; %bb.2422:                             ;   in Loop: Header=BB6_128 Depth=2
	v_and_b32_e32 v5, 0xffff, v5
	v_mov_b32_e32 v6, 0x7f800001
	s_mov_b32 s41, exec_lo
	s_delay_alu instid0(VALU_DEP_2) | instskip(NEXT) | instid1(VALU_DEP_1)
	v_and_b32_e32 v8, 0x7f, v5
	v_cmpx_ne_u32_e32 0x7f, v8
	s_cbranch_execz .LBB6_2426
; %bb.2423:                             ;   in Loop: Header=BB6_128 Depth=2
	v_dual_mov_b32 v19, v55 :: v_dual_bitop2_b32 v18, 7, v5 bitop3:0x40
	v_lshrrev_b32_e32 v5, 3, v8
	s_mov_b32 s42, exec_lo
	v_cmpx_gt_u32_e32 8, v8
; %bb.2424:                             ;   in Loop: Header=BB6_128 Depth=2
	s_delay_alu instid0(VALU_DEP_3) | instskip(NEXT) | instid1(VALU_DEP_1)
	v_clz_i32_u32_e32 v5, v18
	v_min_u32_e32 v5, 32, v5
	s_delay_alu instid0(VALU_DEP_1) | instskip(NEXT) | instid1(VALU_DEP_1)
	v_subrev_nc_u32_e32 v6, 28, v5
	v_lshlrev_b64_e32 v[8:9], v6, v[18:19]
	s_delay_alu instid0(VALU_DEP_1)
	v_dual_sub_nc_u32 v5, 29, v5 :: v_dual_bitop2_b32 v18, 7, v8 bitop3:0x40
; %bb.2425:                             ;   in Loop: Header=BB6_128 Depth=2
	s_or_b32 exec_lo, exec_lo, s42
	s_delay_alu instid0(VALU_DEP_1) | instskip(NEXT) | instid1(VALU_DEP_2)
	v_dual_lshlrev_b32 v6, 16, v20 :: v_dual_lshlrev_b32 v8, 20, v18
	v_lshl_add_u32 v5, v5, 23, 0x3c000000
	s_delay_alu instid0(VALU_DEP_2) | instskip(NEXT) | instid1(VALU_DEP_1)
	v_and_b32_e32 v6, 0x80000000, v6
	v_or3_b32 v6, v8, v6, v5
.LBB6_2426:                             ;   in Loop: Header=BB6_128 Depth=2
	s_or_b32 exec_lo, exec_lo, s41
.LBB6_2427:                             ;   in Loop: Header=BB6_128 Depth=2
	s_delay_alu instid0(SALU_CYCLE_1)
	s_or_b32 exec_lo, exec_lo, s40
.LBB6_2428:                             ;   in Loop: Header=BB6_128 Depth=2
	s_delay_alu instid0(SALU_CYCLE_1) | instskip(NEXT) | instid1(VALU_DEP_1)
	s_or_b32 exec_lo, exec_lo, s10
	v_add_f32_e32 v7, v7, v6
	v_mov_b32_e32 v9, v55
                                        ; implicit-def: $vgpr5
	s_mov_b32 s10, exec_lo
	s_delay_alu instid0(VALU_DEP_2) | instskip(SKIP_1) | instid1(VALU_DEP_2)
	v_and_b32_e32 v8, 0x7f800000, v7
	v_lshrrev_b32_e32 v6, 24, v7
	v_cmpx_ne_u64_e32 0x7f800000, v[8:9]
	s_xor_b32 s40, exec_lo, s10
	s_cbranch_execz .LBB6_2442
; %bb.2429:                             ;   in Loop: Header=BB6_128 Depth=2
	v_and_b32_e32 v8, 0x7fffffff, v7
	v_mov_b32_e32 v9, v55
	v_and_b32_e32 v6, 0x80, v6
                                        ; implicit-def: $vgpr5
	s_mov_b32 s10, exec_lo
	s_delay_alu instid0(VALU_DEP_2)
	v_cmpx_gt_u64_e32 0x43e00001, v[8:9]
	s_xor_b32 s41, exec_lo, s10
	s_cbranch_execz .LBB6_2439
; %bb.2430:                             ;   in Loop: Header=BB6_128 Depth=2
	v_mov_b32_e32 v5, 0
	s_mov_b32 s42, exec_lo
	v_cmpx_ne_u32_e32 0, v7
	s_cbranch_execz .LBB6_2438
; %bb.2431:                             ;   in Loop: Header=BB6_128 Depth=2
	v_and_b32_e32 v8, 0x7fffff, v7
	v_bfe_u32 v5, v7, 23, 8
	s_delay_alu instid0(VALU_DEP_2) | instskip(NEXT) | instid1(VALU_DEP_2)
	v_or_b32_e32 v9, 0x800000, v8
	v_cmp_eq_u32_e32 vcc_lo, 0, v5
	v_cmp_gt_u32_e64 s10, 0x7a, v5
	s_delay_alu instid0(VALU_DEP_3) | instskip(NEXT) | instid1(VALU_DEP_1)
	v_dual_cndmask_b32 v8, v9, v8 :: v_dual_sub_nc_u32 v7, 0x79, v5
	v_dual_mov_b32 v9, v55 :: v_dual_cndmask_b32 v7, 0, v7, s10
	s_delay_alu instid0(VALU_DEP_1) | instskip(NEXT) | instid1(VALU_DEP_1)
	v_cndmask_b32_e64 v7, v7, 0x78, vcc_lo
	v_dual_add_nc_u32 v18, 20, v7 :: v_dual_add_nc_u32 v22, 19, v7
	s_delay_alu instid0(VALU_DEP_1) | instskip(NEXT) | instid1(VALU_DEP_2)
	v_lshlrev_b64_e64 v[18:19], v18, -1
	v_lshlrev_b64_e64 v[22:23], v22, 1
	s_delay_alu instid0(VALU_DEP_2) | instskip(NEXT) | instid1(VALU_DEP_3)
	v_bfi_b32 v19, v19, 0, 0
	v_bfi_b32 v18, v18, 0, v8
	s_delay_alu instid0(VALU_DEP_1) | instskip(SKIP_1) | instid1(VALU_DEP_1)
	v_cmp_eq_u64_e64 s10, v[18:19], v[22:23]
	v_lshrrev_b64 v[18:19], v7, v[8:9]
	v_mov_b64_e32 v[22:23], v[18:19]
	s_and_saveexec_b32 s43, s10
; %bb.2432:                             ;   in Loop: Header=BB6_128 Depth=2
	v_bfe_u32 v8, v18, 20, 1
	v_mov_b32_e32 v9, v55
	s_delay_alu instid0(VALU_DEP_1) | instskip(NEXT) | instid1(VALU_DEP_1)
	v_add_nc_u64_e32 v[8:9], v[18:19], v[8:9]
	v_add_nc_u64_e32 v[22:23], -1, v[8:9]
; %bb.2433:                             ;   in Loop: Header=BB6_128 Depth=2
	s_or_b32 exec_lo, exec_lo, s43
	v_add_nc_u32_e32 v5, 0xffffff81, v5
	v_lshrrev_b32_e32 v8, 23, v18
	s_mov_b32 s10, exec_lo
	v_mov_b32_e32 v19, v55
	s_delay_alu instid0(VALU_DEP_3) | instskip(NEXT) | instid1(VALU_DEP_1)
	v_cndmask_b32_e64 v5, v5, 0xffffff82, vcc_lo
	v_add3_u32 v8, v7, v5, v8
	v_and_b32_e32 v5, 0xfffff, v22
	s_delay_alu instid0(VALU_DEP_1) | instskip(NEXT) | instid1(VALU_DEP_1)
	v_dual_add_nc_u32 v7, 6, v8 :: v_dual_add_nc_u32 v18, v5, v18
                                        ; implicit-def: $vgpr5
	v_cmpx_ne_u32_e32 0, v7
	s_xor_b32 s10, exec_lo, s10
; %bb.2434:                             ;   in Loop: Header=BB6_128 Depth=2
	s_delay_alu instid0(VALU_DEP_2) | instskip(SKIP_1) | instid1(VALU_DEP_1)
	v_cmp_lt_u64_e32 vcc_lo, 0xffffff, v[18:19]
	v_add_nc_u32_e32 v5, 7, v8
	v_cndmask_b32_e32 v5, v7, v5, vcc_lo
	v_cndmask_b32_e64 v7, 0, 1, vcc_lo
	s_delay_alu instid0(VALU_DEP_1)
	v_lshrrev_b64 v[18:19], v7, v[18:19]
; %bb.2435:                             ;   in Loop: Header=BB6_128 Depth=2
	s_and_not1_saveexec_b32 s10, s10
; %bb.2436:                             ;   in Loop: Header=BB6_128 Depth=2
	s_delay_alu instid0(VALU_DEP_1)
	v_bfe_u32 v5, v18, 23, 1
; %bb.2437:                             ;   in Loop: Header=BB6_128 Depth=2
	s_or_b32 exec_lo, exec_lo, s10
	s_delay_alu instid0(VALU_DEP_2) | instskip(NEXT) | instid1(VALU_DEP_2)
	v_lshrrev_b64 v[8:9], 20, v[18:19]
	v_cmp_gt_i32_e32 vcc_lo, 16, v5
	v_min_i32_e32 v7, 15, v5
	v_cmp_eq_u32_e64 s10, 0, v5
	s_delay_alu instid0(VALU_DEP_2) | instskip(SKIP_1) | instid1(VALU_DEP_2)
	v_dual_cndmask_b32 v8, 7, v8 :: v_dual_lshlrev_b32 v7, 3, v7
	v_cndmask_b32_e32 v9, 0, v9, vcc_lo
	v_and_b32_e32 v7, 0xf8, v7
	s_delay_alu instid0(VALU_DEP_2) | instskip(NEXT) | instid1(VALU_DEP_2)
	v_cmp_eq_u64_e32 vcc_lo, 0, v[8:9]
	v_and_or_b32 v5, v8, 7, v7
	s_and_b32 s10, s10, vcc_lo
	s_delay_alu instid0(VALU_DEP_1) | instid1(SALU_CYCLE_1)
	v_cndmask_b32_e64 v5, v5, 0, s10
	s_delay_alu instid0(VALU_DEP_1)
	v_or_b32_e32 v5, v5, v6
.LBB6_2438:                             ;   in Loop: Header=BB6_128 Depth=2
	s_or_b32 exec_lo, exec_lo, s42
                                        ; implicit-def: $vgpr6
.LBB6_2439:                             ;   in Loop: Header=BB6_128 Depth=2
	s_and_not1_saveexec_b32 s10, s41
; %bb.2440:                             ;   in Loop: Header=BB6_128 Depth=2
	v_or_b32_e32 v5, 0x7e, v6
; %bb.2441:                             ;   in Loop: Header=BB6_128 Depth=2
	s_or_b32 exec_lo, exec_lo, s10
                                        ; implicit-def: $vgpr6
.LBB6_2442:                             ;   in Loop: Header=BB6_128 Depth=2
	s_and_not1_saveexec_b32 s10, s40
; %bb.2443:                             ;   in Loop: Header=BB6_128 Depth=2
	v_or_b32_e32 v5, 0x7f, v6
; %bb.2444:                             ;   in Loop: Header=BB6_128 Depth=2
	s_or_b32 exec_lo, exec_lo, s10
	v_dual_lshrrev_b32 v8, 16, v54 :: v_dual_mov_b32 v6, 0
	v_mov_b32_e32 v7, 0
	s_mov_b32 s10, exec_lo
	s_delay_alu instid0(VALU_DEP_2) | instskip(NEXT) | instid1(VALU_DEP_1)
	v_and_b32_e32 v9, 0xff, v8
	v_cmpx_ne_u16_e32 0, v9
	s_cbranch_execz .LBB6_2452
; %bb.2445:                             ;   in Loop: Header=BB6_128 Depth=2
	v_bfrev_b32_e32 v7, 1
	s_mov_b32 s40, exec_lo
	v_cmpx_ne_u16_e32 0x80, v9
	s_cbranch_execz .LBB6_2451
; %bb.2446:                             ;   in Loop: Header=BB6_128 Depth=2
	v_bfe_u32 v9, v54, 16, 7
	v_mov_b32_e32 v7, 0x7f800001
	s_mov_b32 s41, exec_lo
	s_delay_alu instid0(VALU_DEP_2)
	v_cmpx_ne_u32_e32 0x7f, v9
	s_cbranch_execz .LBB6_2450
; %bb.2447:                             ;   in Loop: Header=BB6_128 Depth=2
	v_dual_mov_b32 v19, v55 :: v_dual_bitop2_b32 v18, 7, v8 bitop3:0x40
	v_lshrrev_b32_e32 v7, 3, v9
	s_mov_b32 s42, exec_lo
	v_cmpx_gt_u32_e32 8, v9
; %bb.2448:                             ;   in Loop: Header=BB6_128 Depth=2
	s_delay_alu instid0(VALU_DEP_3) | instskip(NEXT) | instid1(VALU_DEP_1)
	v_clz_i32_u32_e32 v7, v18
	v_min_u32_e32 v7, 32, v7
	s_delay_alu instid0(VALU_DEP_1) | instskip(NEXT) | instid1(VALU_DEP_1)
	v_subrev_nc_u32_e32 v9, 28, v7
	v_lshlrev_b64_e32 v[18:19], v9, v[18:19]
	s_delay_alu instid0(VALU_DEP_1)
	v_dual_sub_nc_u32 v7, 29, v7 :: v_dual_bitop2_b32 v18, 7, v18 bitop3:0x40
; %bb.2449:                             ;   in Loop: Header=BB6_128 Depth=2
	s_or_b32 exec_lo, exec_lo, s42
	s_delay_alu instid0(VALU_DEP_1) | instskip(NEXT) | instid1(VALU_DEP_2)
	v_dual_lshlrev_b32 v8, 24, v8 :: v_dual_lshlrev_b32 v9, 20, v18
	v_lshl_add_u32 v7, v7, 23, 0x3c000000
	s_delay_alu instid0(VALU_DEP_2) | instskip(NEXT) | instid1(VALU_DEP_1)
	v_and_b32_e32 v8, 0x80000000, v8
	v_or3_b32 v7, v9, v8, v7
.LBB6_2450:                             ;   in Loop: Header=BB6_128 Depth=2
	s_or_b32 exec_lo, exec_lo, s41
.LBB6_2451:                             ;   in Loop: Header=BB6_128 Depth=2
	s_delay_alu instid0(SALU_CYCLE_1)
	s_or_b32 exec_lo, exec_lo, s40
.LBB6_2452:                             ;   in Loop: Header=BB6_128 Depth=2
	s_delay_alu instid0(SALU_CYCLE_1) | instskip(SKIP_2) | instid1(VALU_DEP_1)
	s_or_b32 exec_lo, exec_lo, s10
	v_lshrrev_b32_e32 v8, 16, v20
	s_mov_b32 s10, exec_lo
	v_and_b32_e32 v9, 0xff, v8
	s_delay_alu instid0(VALU_DEP_1)
	v_cmpx_ne_u16_e32 0, v9
	s_cbranch_execz .LBB6_2460
; %bb.2453:                             ;   in Loop: Header=BB6_128 Depth=2
	v_bfrev_b32_e32 v6, 1
	s_mov_b32 s40, exec_lo
	v_cmpx_ne_u16_e32 0x80, v9
	s_cbranch_execz .LBB6_2459
; %bb.2454:                             ;   in Loop: Header=BB6_128 Depth=2
	v_bfe_u32 v9, v20, 16, 7
	v_mov_b32_e32 v6, 0x7f800001
	s_mov_b32 s41, exec_lo
	s_delay_alu instid0(VALU_DEP_2)
	v_cmpx_ne_u32_e32 0x7f, v9
	s_cbranch_execz .LBB6_2458
; %bb.2455:                             ;   in Loop: Header=BB6_128 Depth=2
	v_dual_mov_b32 v19, v55 :: v_dual_bitop2_b32 v18, 7, v8 bitop3:0x40
	v_lshrrev_b32_e32 v6, 3, v9
	s_mov_b32 s42, exec_lo
	v_cmpx_gt_u32_e32 8, v9
; %bb.2456:                             ;   in Loop: Header=BB6_128 Depth=2
	s_delay_alu instid0(VALU_DEP_3) | instskip(NEXT) | instid1(VALU_DEP_1)
	v_clz_i32_u32_e32 v6, v18
	v_min_u32_e32 v6, 32, v6
	s_delay_alu instid0(VALU_DEP_1) | instskip(NEXT) | instid1(VALU_DEP_1)
	v_subrev_nc_u32_e32 v8, 28, v6
	v_lshlrev_b64_e32 v[8:9], v8, v[18:19]
	s_delay_alu instid0(VALU_DEP_1)
	v_dual_sub_nc_u32 v6, 29, v6 :: v_dual_bitop2_b32 v18, 7, v8 bitop3:0x40
; %bb.2457:                             ;   in Loop: Header=BB6_128 Depth=2
	s_or_b32 exec_lo, exec_lo, s42
	s_delay_alu instid0(VALU_DEP_1) | instskip(NEXT) | instid1(VALU_DEP_2)
	v_dual_lshlrev_b32 v8, 8, v20 :: v_dual_lshlrev_b32 v9, 20, v18
	v_lshl_add_u32 v6, v6, 23, 0x3c000000
	s_delay_alu instid0(VALU_DEP_2) | instskip(NEXT) | instid1(VALU_DEP_1)
	v_and_b32_e32 v8, 0x80000000, v8
	v_or3_b32 v6, v9, v8, v6
.LBB6_2458:                             ;   in Loop: Header=BB6_128 Depth=2
	s_or_b32 exec_lo, exec_lo, s41
.LBB6_2459:                             ;   in Loop: Header=BB6_128 Depth=2
	s_delay_alu instid0(SALU_CYCLE_1)
	s_or_b32 exec_lo, exec_lo, s40
.LBB6_2460:                             ;   in Loop: Header=BB6_128 Depth=2
	s_delay_alu instid0(SALU_CYCLE_1) | instskip(NEXT) | instid1(VALU_DEP_1)
	s_or_b32 exec_lo, exec_lo, s10
	v_add_f32_e32 v7, v7, v6
	v_mov_b32_e32 v9, v55
                                        ; implicit-def: $vgpr25
	s_mov_b32 s10, exec_lo
	s_delay_alu instid0(VALU_DEP_2) | instskip(SKIP_1) | instid1(VALU_DEP_2)
	v_and_b32_e32 v8, 0x7f800000, v7
	v_lshrrev_b32_e32 v6, 24, v7
	v_cmpx_ne_u64_e32 0x7f800000, v[8:9]
	s_xor_b32 s40, exec_lo, s10
	s_cbranch_execz .LBB6_2474
; %bb.2461:                             ;   in Loop: Header=BB6_128 Depth=2
	v_and_b32_e32 v8, 0x7fffffff, v7
	v_mov_b32_e32 v9, v55
	v_and_b32_e32 v6, 0x80, v6
                                        ; implicit-def: $vgpr25
	s_mov_b32 s10, exec_lo
	s_delay_alu instid0(VALU_DEP_2)
	v_cmpx_gt_u64_e32 0x43e00001, v[8:9]
	s_xor_b32 s41, exec_lo, s10
	s_cbranch_execz .LBB6_2471
; %bb.2462:                             ;   in Loop: Header=BB6_128 Depth=2
	v_mov_b32_e32 v25, 0
	s_mov_b32 s42, exec_lo
	v_cmpx_ne_u32_e32 0, v7
	s_cbranch_execz .LBB6_2470
; %bb.2463:                             ;   in Loop: Header=BB6_128 Depth=2
	v_and_b32_e32 v9, 0x7fffff, v7
	v_bfe_u32 v7, v7, 23, 8
	v_mov_b32_e32 v19, v55
	s_delay_alu instid0(VALU_DEP_3) | instskip(NEXT) | instid1(VALU_DEP_3)
	v_or_b32_e32 v18, 0x800000, v9
	v_cmp_gt_u32_e64 s10, 0x7a, v7
	v_sub_nc_u32_e32 v8, 0x79, v7
	v_cmp_eq_u32_e32 vcc_lo, 0, v7
	s_delay_alu instid0(VALU_DEP_2) | instskip(NEXT) | instid1(VALU_DEP_1)
	v_dual_cndmask_b32 v8, 0, v8, s10 :: v_dual_cndmask_b32 v18, v18, v9, vcc_lo
	v_cndmask_b32_e64 v8, v8, 0x78, vcc_lo
	s_delay_alu instid0(VALU_DEP_1) | instskip(NEXT) | instid1(VALU_DEP_1)
	v_add_nc_u32_e32 v9, 20, v8
	v_lshlrev_b64_e64 v[22:23], v9, -1
	v_add_nc_u32_e32 v9, 19, v8
	s_delay_alu instid0(VALU_DEP_1) | instskip(NEXT) | instid1(VALU_DEP_3)
	v_lshlrev_b64_e64 v[38:39], v9, 1
	v_bfi_b32 v22, v22, 0, v18
	v_lshrrev_b64 v[18:19], v8, v[18:19]
	v_bfi_b32 v23, v23, 0, 0
	s_delay_alu instid0(VALU_DEP_1) | instskip(NEXT) | instid1(VALU_DEP_3)
	v_cmp_eq_u64_e64 s10, v[22:23], v[38:39]
	v_mov_b64_e32 v[22:23], v[18:19]
	s_and_saveexec_b32 s43, s10
; %bb.2464:                             ;   in Loop: Header=BB6_128 Depth=2
	v_bfe_u32 v22, v18, 20, 1
	v_mov_b32_e32 v23, v55
	s_delay_alu instid0(VALU_DEP_1) | instskip(NEXT) | instid1(VALU_DEP_1)
	v_add_nc_u64_e32 v[22:23], v[18:19], v[22:23]
	v_add_nc_u64_e32 v[22:23], -1, v[22:23]
; %bb.2465:                             ;   in Loop: Header=BB6_128 Depth=2
	s_or_b32 exec_lo, exec_lo, s43
	v_add_nc_u32_e32 v7, 0xffffff81, v7
	v_lshrrev_b32_e32 v9, 23, v18
	s_mov_b32 s10, exec_lo
	v_mov_b32_e32 v19, v55
	s_delay_alu instid0(VALU_DEP_3) | instskip(NEXT) | instid1(VALU_DEP_1)
	v_cndmask_b32_e64 v7, v7, 0xffffff82, vcc_lo
	v_add3_u32 v9, v8, v7, v9
	v_and_b32_e32 v7, 0xfffff, v22
	s_delay_alu instid0(VALU_DEP_1) | instskip(NEXT) | instid1(VALU_DEP_1)
	v_dual_add_nc_u32 v8, 6, v9 :: v_dual_add_nc_u32 v18, v7, v18
                                        ; implicit-def: $vgpr7
	v_cmpx_ne_u32_e32 0, v8
	s_xor_b32 s10, exec_lo, s10
; %bb.2466:                             ;   in Loop: Header=BB6_128 Depth=2
	s_delay_alu instid0(VALU_DEP_2) | instskip(SKIP_1) | instid1(VALU_DEP_1)
	v_cmp_lt_u64_e32 vcc_lo, 0xffffff, v[18:19]
	v_add_nc_u32_e32 v7, 7, v9
	v_cndmask_b32_e32 v7, v8, v7, vcc_lo
	v_cndmask_b32_e64 v8, 0, 1, vcc_lo
	s_delay_alu instid0(VALU_DEP_1)
	v_lshrrev_b64 v[18:19], v8, v[18:19]
; %bb.2467:                             ;   in Loop: Header=BB6_128 Depth=2
	s_and_not1_saveexec_b32 s10, s10
; %bb.2468:                             ;   in Loop: Header=BB6_128 Depth=2
	s_delay_alu instid0(VALU_DEP_1)
	v_bfe_u32 v7, v18, 23, 1
; %bb.2469:                             ;   in Loop: Header=BB6_128 Depth=2
	s_or_b32 exec_lo, exec_lo, s10
	s_delay_alu instid0(VALU_DEP_2) | instskip(NEXT) | instid1(VALU_DEP_2)
	v_lshrrev_b64 v[8:9], 20, v[18:19]
	v_cmp_gt_i32_e32 vcc_lo, 16, v7
	v_min_i32_e32 v18, 15, v7
	v_cmp_eq_u32_e64 s10, 0, v7
	s_delay_alu instid0(VALU_DEP_2) | instskip(SKIP_1) | instid1(VALU_DEP_2)
	v_dual_cndmask_b32 v9, 0, v9 :: v_dual_lshlrev_b32 v18, 3, v18
	v_cndmask_b32_e32 v8, 7, v8, vcc_lo
	v_and_b32_e32 v18, 0xf8, v18
	s_delay_alu instid0(VALU_DEP_2) | instskip(NEXT) | instid1(VALU_DEP_2)
	v_cmp_eq_u64_e32 vcc_lo, 0, v[8:9]
	v_and_or_b32 v7, v8, 7, v18
	s_and_b32 s10, s10, vcc_lo
	s_delay_alu instid0(VALU_DEP_1) | instid1(SALU_CYCLE_1)
	v_cndmask_b32_e64 v7, v7, 0, s10
	s_delay_alu instid0(VALU_DEP_1)
	v_or_b32_e32 v25, v7, v6
.LBB6_2470:                             ;   in Loop: Header=BB6_128 Depth=2
	s_or_b32 exec_lo, exec_lo, s42
                                        ; implicit-def: $vgpr6
.LBB6_2471:                             ;   in Loop: Header=BB6_128 Depth=2
	s_and_not1_saveexec_b32 s10, s41
; %bb.2472:                             ;   in Loop: Header=BB6_128 Depth=2
	v_or_b32_e32 v25, 0x7e, v6
; %bb.2473:                             ;   in Loop: Header=BB6_128 Depth=2
	s_or_b32 exec_lo, exec_lo, s10
                                        ; implicit-def: $vgpr6
.LBB6_2474:                             ;   in Loop: Header=BB6_128 Depth=2
	s_and_not1_saveexec_b32 s10, s40
; %bb.2475:                             ;   in Loop: Header=BB6_128 Depth=2
	v_or_b32_e32 v25, 0x7f, v6
; %bb.2476:                             ;   in Loop: Header=BB6_128 Depth=2
	s_or_b32 exec_lo, exec_lo, s10
	v_dual_mov_b32 v6, 0 :: v_dual_mov_b32 v7, 0
	s_mov_b32 s10, exec_lo
	v_cmpx_lt_u32_e32 0xffffff, v54
	s_cbranch_execz .LBB6_2484
; %bb.2477:                             ;   in Loop: Header=BB6_128 Depth=2
	v_lshrrev_b32_e32 v8, 24, v54
	v_bfrev_b32_e32 v7, 1
	s_mov_b32 s40, exec_lo
	s_delay_alu instid0(VALU_DEP_2)
	v_cmpx_ne_u32_e32 0x80, v8
	s_cbranch_execz .LBB6_2483
; %bb.2478:                             ;   in Loop: Header=BB6_128 Depth=2
	v_bfe_u32 v9, v54, 24, 7
	v_mov_b32_e32 v7, 0x7f800001
	s_mov_b32 s41, exec_lo
	s_delay_alu instid0(VALU_DEP_2)
	v_cmpx_ne_u32_e32 0x7f, v9
	s_cbranch_execz .LBB6_2482
; %bb.2479:                             ;   in Loop: Header=BB6_128 Depth=2
	v_dual_lshrrev_b32 v7, 3, v9 :: v_dual_bitop2_b32 v54, 7, v8 bitop3:0x40
	s_mov_b32 s42, exec_lo
	s_delay_alu instid0(VALU_DEP_1)
	v_mov_b64_e32 v[18:19], v[54:55]
	v_cmpx_gt_u32_e32 8, v9
; %bb.2480:                             ;   in Loop: Header=BB6_128 Depth=2
	v_clz_i32_u32_e32 v7, v54
	s_delay_alu instid0(VALU_DEP_1) | instskip(NEXT) | instid1(VALU_DEP_1)
	v_min_u32_e32 v7, 32, v7
	v_subrev_nc_u32_e32 v9, 28, v7
	s_delay_alu instid0(VALU_DEP_1) | instskip(NEXT) | instid1(VALU_DEP_1)
	v_lshlrev_b64_e32 v[18:19], v9, v[54:55]
	v_dual_sub_nc_u32 v7, 29, v7 :: v_dual_bitop2_b32 v18, 7, v18 bitop3:0x40
; %bb.2481:                             ;   in Loop: Header=BB6_128 Depth=2
	s_or_b32 exec_lo, exec_lo, s42
	s_delay_alu instid0(VALU_DEP_1) | instskip(NEXT) | instid1(VALU_DEP_2)
	v_dual_lshlrev_b32 v8, 24, v8 :: v_dual_lshlrev_b32 v9, 20, v18
	v_lshl_add_u32 v7, v7, 23, 0x3c000000
	s_delay_alu instid0(VALU_DEP_2) | instskip(NEXT) | instid1(VALU_DEP_1)
	v_and_b32_e32 v8, 0x80000000, v8
	v_or3_b32 v7, v9, v8, v7
.LBB6_2482:                             ;   in Loop: Header=BB6_128 Depth=2
	s_or_b32 exec_lo, exec_lo, s41
.LBB6_2483:                             ;   in Loop: Header=BB6_128 Depth=2
	s_delay_alu instid0(SALU_CYCLE_1)
	s_or_b32 exec_lo, exec_lo, s40
.LBB6_2484:                             ;   in Loop: Header=BB6_128 Depth=2
	s_delay_alu instid0(SALU_CYCLE_1) | instskip(NEXT) | instid1(SALU_CYCLE_1)
	s_or_b32 exec_lo, exec_lo, s10
	s_mov_b32 s10, exec_lo
	v_cmpx_lt_u32_e32 0xffffff, v20
	s_cbranch_execz .LBB6_2492
; %bb.2485:                             ;   in Loop: Header=BB6_128 Depth=2
	v_lshrrev_b32_e32 v8, 24, v20
	v_bfrev_b32_e32 v6, 1
	s_mov_b32 s40, exec_lo
	s_delay_alu instid0(VALU_DEP_2)
	v_cmpx_ne_u32_e32 0x80, v8
	s_cbranch_execz .LBB6_2491
; %bb.2486:                             ;   in Loop: Header=BB6_128 Depth=2
	v_bfe_u32 v9, v20, 24, 7
	v_mov_b32_e32 v6, 0x7f800001
	s_mov_b32 s41, exec_lo
	s_delay_alu instid0(VALU_DEP_2)
	v_cmpx_ne_u32_e32 0x7f, v9
	s_cbranch_execz .LBB6_2490
; %bb.2487:                             ;   in Loop: Header=BB6_128 Depth=2
	v_dual_lshrrev_b32 v6, 3, v9 :: v_dual_bitop2_b32 v54, 7, v8 bitop3:0x40
	s_mov_b32 s42, exec_lo
	s_delay_alu instid0(VALU_DEP_1)
	v_mov_b64_e32 v[18:19], v[54:55]
	v_cmpx_gt_u32_e32 8, v9
; %bb.2488:                             ;   in Loop: Header=BB6_128 Depth=2
	v_clz_i32_u32_e32 v6, v54
	s_delay_alu instid0(VALU_DEP_1) | instskip(NEXT) | instid1(VALU_DEP_1)
	v_min_u32_e32 v6, 32, v6
	v_subrev_nc_u32_e32 v9, 28, v6
	v_sub_nc_u32_e32 v6, 29, v6
	s_delay_alu instid0(VALU_DEP_2) | instskip(NEXT) | instid1(VALU_DEP_1)
	v_lshlrev_b64_e32 v[18:19], v9, v[54:55]
	v_and_b32_e32 v18, 7, v18
; %bb.2489:                             ;   in Loop: Header=BB6_128 Depth=2
	s_or_b32 exec_lo, exec_lo, s42
	s_delay_alu instid0(VALU_DEP_1) | instskip(SKIP_1) | instid1(VALU_DEP_2)
	v_dual_lshlrev_b32 v8, 24, v8 :: v_dual_lshlrev_b32 v9, 20, v18
	v_lshl_add_u32 v6, v6, 23, 0x3c000000
	v_and_b32_e32 v8, 0x80000000, v8
	s_delay_alu instid0(VALU_DEP_1)
	v_or3_b32 v6, v9, v8, v6
.LBB6_2490:                             ;   in Loop: Header=BB6_128 Depth=2
	s_or_b32 exec_lo, exec_lo, s41
.LBB6_2491:                             ;   in Loop: Header=BB6_128 Depth=2
	s_delay_alu instid0(SALU_CYCLE_1)
	s_or_b32 exec_lo, exec_lo, s40
.LBB6_2492:                             ;   in Loop: Header=BB6_128 Depth=2
	s_delay_alu instid0(SALU_CYCLE_1) | instskip(NEXT) | instid1(VALU_DEP_1)
	s_or_b32 exec_lo, exec_lo, s10
	v_add_f32_e32 v7, v7, v6
                                        ; implicit-def: $vgpr35
	s_mov_b32 s10, exec_lo
	s_delay_alu instid0(VALU_DEP_1) | instskip(SKIP_1) | instid1(VALU_DEP_2)
	v_and_b32_e32 v54, 0x7f800000, v7
	v_lshrrev_b32_e32 v6, 24, v7
	v_cmpx_ne_u64_e32 0x7f800000, v[54:55]
	s_xor_b32 s40, exec_lo, s10
	s_cbranch_execz .LBB6_2506
; %bb.2493:                             ;   in Loop: Header=BB6_128 Depth=2
	v_and_b32_e32 v54, 0x7fffffff, v7
	v_and_b32_e32 v6, 0x80, v6
                                        ; implicit-def: $vgpr35
	s_mov_b32 s10, exec_lo
	s_delay_alu instid0(VALU_DEP_2)
	v_cmpx_gt_u64_e32 0x43e00001, v[54:55]
	s_xor_b32 s41, exec_lo, s10
	s_cbranch_execz .LBB6_2503
; %bb.2494:                             ;   in Loop: Header=BB6_128 Depth=2
	v_mov_b32_e32 v35, 0
	s_mov_b32 s42, exec_lo
	v_cmpx_ne_u32_e32 0, v7
	s_cbranch_execz .LBB6_2502
; %bb.2495:                             ;   in Loop: Header=BB6_128 Depth=2
	v_and_b32_e32 v9, 0x7fffff, v7
	v_bfe_u32 v7, v7, 23, 8
	s_delay_alu instid0(VALU_DEP_2) | instskip(NEXT) | instid1(VALU_DEP_2)
	v_or_b32_e32 v18, 0x800000, v9
	v_cmp_gt_u32_e64 s10, 0x7a, v7
	v_sub_nc_u32_e32 v8, 0x79, v7
	v_cmp_eq_u32_e32 vcc_lo, 0, v7
	s_delay_alu instid0(VALU_DEP_2) | instskip(NEXT) | instid1(VALU_DEP_1)
	v_dual_cndmask_b32 v8, 0, v8, s10 :: v_dual_cndmask_b32 v54, v18, v9, vcc_lo
	v_cndmask_b32_e64 v8, v8, 0x78, vcc_lo
	s_delay_alu instid0(VALU_DEP_1) | instskip(NEXT) | instid1(VALU_DEP_1)
	v_add_nc_u32_e32 v9, 20, v8
	v_lshlrev_b64_e64 v[18:19], v9, -1
	v_add_nc_u32_e32 v9, 19, v8
	s_delay_alu instid0(VALU_DEP_1) | instskip(NEXT) | instid1(VALU_DEP_3)
	v_lshlrev_b64_e64 v[22:23], v9, 1
	v_bfi_b32 v19, v19, 0, 0
	s_delay_alu instid0(VALU_DEP_4) | instskip(NEXT) | instid1(VALU_DEP_1)
	v_bfi_b32 v18, v18, 0, v54
	v_cmp_eq_u64_e64 s10, v[18:19], v[22:23]
	v_lshrrev_b64 v[18:19], v8, v[54:55]
	s_delay_alu instid0(VALU_DEP_1)
	v_mov_b64_e32 v[22:23], v[18:19]
	s_and_saveexec_b32 s43, s10
; %bb.2496:                             ;   in Loop: Header=BB6_128 Depth=2
	v_bfe_u32 v54, v18, 20, 1
	s_delay_alu instid0(VALU_DEP_1) | instskip(NEXT) | instid1(VALU_DEP_1)
	v_add_nc_u64_e32 v[22:23], v[18:19], v[54:55]
	v_add_nc_u64_e32 v[22:23], -1, v[22:23]
; %bb.2497:                             ;   in Loop: Header=BB6_128 Depth=2
	s_or_b32 exec_lo, exec_lo, s43
	v_add_nc_u32_e32 v7, 0xffffff81, v7
	v_lshrrev_b32_e32 v9, 23, v18
	s_mov_b32 s10, exec_lo
	s_delay_alu instid0(VALU_DEP_2) | instskip(NEXT) | instid1(VALU_DEP_1)
	v_cndmask_b32_e64 v7, v7, 0xffffff82, vcc_lo
	v_add3_u32 v9, v8, v7, v9
	v_and_b32_e32 v7, 0xfffff, v22
	s_delay_alu instid0(VALU_DEP_1) | instskip(NEXT) | instid1(VALU_DEP_1)
	v_dual_add_nc_u32 v8, 6, v9 :: v_dual_add_nc_u32 v54, v7, v18
                                        ; implicit-def: $vgpr18_vgpr19
                                        ; implicit-def: $vgpr7
	v_cmpx_ne_u32_e32 0, v8
	s_xor_b32 s10, exec_lo, s10
; %bb.2498:                             ;   in Loop: Header=BB6_128 Depth=2
	s_delay_alu instid0(VALU_DEP_2) | instskip(SKIP_1) | instid1(VALU_DEP_1)
	v_cmp_lt_u64_e32 vcc_lo, 0xffffff, v[54:55]
	v_add_nc_u32_e32 v7, 7, v9
	v_cndmask_b32_e32 v7, v8, v7, vcc_lo
	v_cndmask_b32_e64 v8, 0, 1, vcc_lo
	s_delay_alu instid0(VALU_DEP_1)
	v_lshrrev_b64 v[18:19], v8, v[54:55]
; %bb.2499:                             ;   in Loop: Header=BB6_128 Depth=2
	s_and_not1_saveexec_b32 s10, s10
; %bb.2500:                             ;   in Loop: Header=BB6_128 Depth=2
	v_mov_b64_e32 v[18:19], v[54:55]
	v_bfe_u32 v7, v54, 23, 1
; %bb.2501:                             ;   in Loop: Header=BB6_128 Depth=2
	s_or_b32 exec_lo, exec_lo, s10
	s_delay_alu instid0(VALU_DEP_2) | instskip(NEXT) | instid1(VALU_DEP_2)
	v_lshrrev_b64 v[8:9], 20, v[18:19]
	v_cmp_gt_i32_e32 vcc_lo, 16, v7
	v_min_i32_e32 v18, 15, v7
	v_cmp_eq_u32_e64 s10, 0, v7
	s_delay_alu instid0(VALU_DEP_2) | instskip(SKIP_1) | instid1(VALU_DEP_2)
	v_dual_cndmask_b32 v9, 0, v9 :: v_dual_lshlrev_b32 v18, 3, v18
	v_cndmask_b32_e32 v8, 7, v8, vcc_lo
	v_and_b32_e32 v18, 0xf8, v18
	s_delay_alu instid0(VALU_DEP_2) | instskip(NEXT) | instid1(VALU_DEP_2)
	v_cmp_eq_u64_e32 vcc_lo, 0, v[8:9]
	v_and_or_b32 v7, v8, 7, v18
	s_and_b32 s10, s10, vcc_lo
	s_delay_alu instid0(VALU_DEP_1) | instid1(SALU_CYCLE_1)
	v_cndmask_b32_e64 v7, v7, 0, s10
	s_delay_alu instid0(VALU_DEP_1)
	v_or_b32_e32 v35, v7, v6
.LBB6_2502:                             ;   in Loop: Header=BB6_128 Depth=2
	s_or_b32 exec_lo, exec_lo, s42
                                        ; implicit-def: $vgpr6
.LBB6_2503:                             ;   in Loop: Header=BB6_128 Depth=2
	s_and_not1_saveexec_b32 s10, s41
; %bb.2504:                             ;   in Loop: Header=BB6_128 Depth=2
	v_or_b32_e32 v35, 0x7e, v6
; %bb.2505:                             ;   in Loop: Header=BB6_128 Depth=2
	s_or_b32 exec_lo, exec_lo, s10
                                        ; implicit-def: $vgpr6
.LBB6_2506:                             ;   in Loop: Header=BB6_128 Depth=2
	s_and_not1_saveexec_b32 s10, s40
; %bb.2507:                             ;   in Loop: Header=BB6_128 Depth=2
	v_or_b32_e32 v35, 0x7f, v6
; %bb.2508:                             ;   in Loop: Header=BB6_128 Depth=2
	s_or_b32 exec_lo, exec_lo, s10
	v_dual_lshlrev_b32 v7, 24, v125 :: v_dual_lshlrev_b32 v8, 16, v34
	v_lshl_or_b32 v6, v122, 8, v120
	s_mov_b32 s10, exec_lo
	s_delay_alu instid0(VALU_DEP_1)
	v_or3_b32 v54, v8, v7, v6
	v_dual_mov_b32 v7, 0 :: v_dual_mov_b32 v8, 0
	v_cmpx_ne_u32_e32 0, v120
	s_cbranch_execz .LBB6_2514
; %bb.2509:                             ;   in Loop: Header=BB6_128 Depth=2
	v_bfrev_b32_e32 v8, 1
	s_mov_b32 s40, exec_lo
	v_cmpx_ne_u32_e32 0x80, v120
	s_cbranch_execz .LBB6_2513
; %bb.2510:                             ;   in Loop: Header=BB6_128 Depth=2
	v_and_b32_e32 v9, 0x7f, v120
	v_mov_b32_e32 v8, 0x7f800001
	s_mov_b32 s41, exec_lo
	s_delay_alu instid0(VALU_DEP_2)
	v_cmpx_ne_u32_e32 0x7f, v9
	s_cbranch_execz .LBB6_2512
; %bb.2511:                             ;   in Loop: Header=BB6_128 Depth=2
	v_dual_lshrrev_b32 v18, 3, v9 :: v_dual_bitop2_b32 v8, 7, v120 bitop3:0x40
	v_cmp_gt_u32_e32 vcc_lo, 8, v9
	s_delay_alu instid0(VALU_DEP_2) | instskip(NEXT) | instid1(VALU_DEP_1)
	v_clz_i32_u32_e32 v8, v8
	v_min_u32_e32 v8, 32, v8
	s_delay_alu instid0(VALU_DEP_1) | instskip(SKIP_1) | instid1(VALU_DEP_1)
	v_subrev_nc_u32_e32 v9, 28, v8
	v_sub_nc_u32_e32 v8, 29, v8
	v_dual_cndmask_b32 v18, v18, v8, vcc_lo :: v_dual_cndmask_b32 v8, 0, v9, vcc_lo
	s_delay_alu instid0(VALU_DEP_1) | instskip(NEXT) | instid1(VALU_DEP_2)
	v_lshl_add_u32 v18, v18, 23, 0x3c000000
	v_lshlrev_b64_e32 v[8:9], v8, v[54:55]
	v_lshlrev_b32_e32 v9, 24, v54
	s_delay_alu instid0(VALU_DEP_1) | instskip(NEXT) | instid1(VALU_DEP_3)
	v_and_b32_e32 v9, 0x80000000, v9
	v_lshlrev_b32_e32 v8, 20, v8
	s_delay_alu instid0(VALU_DEP_1) | instskip(NEXT) | instid1(VALU_DEP_1)
	v_and_b32_e32 v8, 0x700000, v8
	v_or3_b32 v8, v8, v9, v18
.LBB6_2512:                             ;   in Loop: Header=BB6_128 Depth=2
	s_or_b32 exec_lo, exec_lo, s41
.LBB6_2513:                             ;   in Loop: Header=BB6_128 Depth=2
	s_delay_alu instid0(SALU_CYCLE_1)
	s_or_b32 exec_lo, exec_lo, s40
.LBB6_2514:                             ;   in Loop: Header=BB6_128 Depth=2
	s_delay_alu instid0(SALU_CYCLE_1) | instskip(SKIP_2) | instid1(VALU_DEP_1)
	s_or_b32 exec_lo, exec_lo, s10
	v_and_b32_e32 v9, 0xff, v21
	s_mov_b32 s10, exec_lo
	v_cmpx_ne_u16_e32 0, v9
	s_cbranch_execz .LBB6_2520
; %bb.2515:                             ;   in Loop: Header=BB6_128 Depth=2
	v_bfrev_b32_e32 v7, 1
	s_mov_b32 s40, exec_lo
	v_cmpx_ne_u16_e32 0x80, v9
	s_cbranch_execz .LBB6_2519
; %bb.2516:                             ;   in Loop: Header=BB6_128 Depth=2
	v_and_b32_e32 v9, 0x7f, v21
	v_mov_b32_e32 v7, 0x7f800001
	s_mov_b32 s41, exec_lo
	s_delay_alu instid0(VALU_DEP_2)
	v_cmpx_ne_u32_e32 0x7f, v9
	s_cbranch_execz .LBB6_2518
; %bb.2517:                             ;   in Loop: Header=BB6_128 Depth=2
	v_dual_mov_b32 v18, v21 :: v_dual_bitop2_b32 v7, 7, v21 bitop3:0x40
	v_cmp_gt_u32_e32 vcc_lo, 8, v9
	s_delay_alu instid0(VALU_DEP_2) | instskip(NEXT) | instid1(VALU_DEP_1)
	v_clz_i32_u32_e32 v7, v7
	v_min_u32_e32 v7, 32, v7
	s_delay_alu instid0(VALU_DEP_1) | instskip(SKIP_1) | instid1(VALU_DEP_2)
	v_dual_lshrrev_b32 v22, 3, v9 :: v_dual_sub_nc_u32 v23, 29, v7
	v_subrev_nc_u32_e32 v7, 28, v7
	v_dual_mov_b32 v19, v55 :: v_dual_cndmask_b32 v9, v22, v23, vcc_lo
	s_delay_alu instid0(VALU_DEP_2) | instskip(NEXT) | instid1(VALU_DEP_2)
	v_cndmask_b32_e32 v7, 0, v7, vcc_lo
	v_lshl_add_u32 v9, v9, 23, 0x3c000000
	s_delay_alu instid0(VALU_DEP_2) | instskip(SKIP_1) | instid1(VALU_DEP_1)
	v_lshlrev_b64_e32 v[22:23], v7, v[18:19]
	v_lshlrev_b32_e32 v7, 24, v18
	v_and_b32_e32 v7, 0x80000000, v7
	s_delay_alu instid0(VALU_DEP_3) | instskip(NEXT) | instid1(VALU_DEP_1)
	v_lshlrev_b32_e32 v18, 20, v22
	v_and_b32_e32 v18, 0x700000, v18
	s_delay_alu instid0(VALU_DEP_1)
	v_or3_b32 v7, v18, v7, v9
.LBB6_2518:                             ;   in Loop: Header=BB6_128 Depth=2
	s_or_b32 exec_lo, exec_lo, s41
.LBB6_2519:                             ;   in Loop: Header=BB6_128 Depth=2
	s_delay_alu instid0(SALU_CYCLE_1)
	s_or_b32 exec_lo, exec_lo, s40
.LBB6_2520:                             ;   in Loop: Header=BB6_128 Depth=2
	s_delay_alu instid0(SALU_CYCLE_1) | instskip(NEXT) | instid1(VALU_DEP_1)
	s_or_b32 exec_lo, exec_lo, s10
	v_dual_add_f32 v8, v8, v7 :: v_dual_mov_b32 v19, v55
                                        ; implicit-def: $vgpr34
	s_mov_b32 s10, exec_lo
	s_delay_alu instid0(VALU_DEP_1) | instskip(SKIP_1) | instid1(VALU_DEP_2)
	v_and_b32_e32 v18, 0x7f800000, v8
	v_lshrrev_b32_e32 v7, 24, v8
	v_cmpx_ne_u64_e32 0x7f800000, v[18:19]
	s_xor_b32 s40, exec_lo, s10
	s_cbranch_execz .LBB6_2534
; %bb.2521:                             ;   in Loop: Header=BB6_128 Depth=2
	v_and_b32_e32 v18, 0x7fffffff, v8
	v_mov_b32_e32 v19, v55
	v_and_b32_e32 v7, 0x80, v7
                                        ; implicit-def: $vgpr34
	s_mov_b32 s10, exec_lo
	s_delay_alu instid0(VALU_DEP_2)
	v_cmpx_gt_u64_e32 0x43e00001, v[18:19]
	s_xor_b32 s41, exec_lo, s10
	s_cbranch_execz .LBB6_2531
; %bb.2522:                             ;   in Loop: Header=BB6_128 Depth=2
	v_mov_b32_e32 v34, 0
	s_mov_b32 s42, exec_lo
	v_cmpx_ne_u32_e32 0, v8
	s_cbranch_execz .LBB6_2530
; %bb.2523:                             ;   in Loop: Header=BB6_128 Depth=2
	v_and_b32_e32 v18, 0x7fffff, v8
	v_bfe_u32 v8, v8, 23, 8
	s_delay_alu instid0(VALU_DEP_2) | instskip(NEXT) | instid1(VALU_DEP_2)
	v_or_b32_e32 v19, 0x800000, v18
	v_cmp_eq_u32_e32 vcc_lo, 0, v8
	v_cmp_gt_u32_e64 s10, 0x7a, v8
	s_delay_alu instid0(VALU_DEP_3) | instskip(NEXT) | instid1(VALU_DEP_1)
	v_dual_cndmask_b32 v18, v19, v18 :: v_dual_sub_nc_u32 v9, 0x79, v8
	v_dual_mov_b32 v19, v55 :: v_dual_cndmask_b32 v9, 0, v9, s10
	s_delay_alu instid0(VALU_DEP_1) | instskip(NEXT) | instid1(VALU_DEP_1)
	v_cndmask_b32_e64 v9, v9, 0x78, vcc_lo
	v_dual_add_nc_u32 v22, 20, v9 :: v_dual_add_nc_u32 v30, 19, v9
	s_delay_alu instid0(VALU_DEP_1) | instskip(NEXT) | instid1(VALU_DEP_2)
	v_lshlrev_b64_e64 v[22:23], v22, -1
	v_lshlrev_b64_e64 v[38:39], v30, 1
	s_delay_alu instid0(VALU_DEP_2) | instskip(SKIP_1) | instid1(VALU_DEP_4)
	v_bfi_b32 v22, v22, 0, v18
	v_lshrrev_b64 v[18:19], v9, v[18:19]
	v_bfi_b32 v23, v23, 0, 0
	s_delay_alu instid0(VALU_DEP_1) | instskip(NEXT) | instid1(VALU_DEP_3)
	v_cmp_eq_u64_e64 s10, v[22:23], v[38:39]
	v_mov_b64_e32 v[22:23], v[18:19]
	s_and_saveexec_b32 s43, s10
; %bb.2524:                             ;   in Loop: Header=BB6_128 Depth=2
	v_bfe_u32 v22, v18, 20, 1
	v_mov_b32_e32 v23, v55
	s_delay_alu instid0(VALU_DEP_1) | instskip(NEXT) | instid1(VALU_DEP_1)
	v_add_nc_u64_e32 v[22:23], v[18:19], v[22:23]
	v_add_nc_u64_e32 v[22:23], -1, v[22:23]
; %bb.2525:                             ;   in Loop: Header=BB6_128 Depth=2
	s_or_b32 exec_lo, exec_lo, s43
	v_add_nc_u32_e32 v8, 0xffffff81, v8
	v_lshrrev_b32_e32 v19, 23, v18
	s_mov_b32 s10, exec_lo
	s_delay_alu instid0(VALU_DEP_2) | instskip(NEXT) | instid1(VALU_DEP_1)
	v_cndmask_b32_e64 v8, v8, 0xffffff82, vcc_lo
	v_add3_u32 v23, v9, v8, v19
	v_and_b32_e32 v8, 0xfffff, v22
	s_delay_alu instid0(VALU_DEP_2) | instskip(NEXT) | instid1(VALU_DEP_2)
	v_dual_mov_b32 v19, v55 :: v_dual_add_nc_u32 v9, 6, v23
	v_add_nc_u32_e32 v18, v8, v18
                                        ; implicit-def: $vgpr8
	s_delay_alu instid0(VALU_DEP_2)
	v_cmpx_ne_u32_e32 0, v9
	s_xor_b32 s10, exec_lo, s10
; %bb.2526:                             ;   in Loop: Header=BB6_128 Depth=2
	s_delay_alu instid0(VALU_DEP_2) | instskip(SKIP_1) | instid1(VALU_DEP_1)
	v_cmp_lt_u64_e32 vcc_lo, 0xffffff, v[18:19]
	v_add_nc_u32_e32 v8, 7, v23
	v_cndmask_b32_e32 v8, v9, v8, vcc_lo
	v_cndmask_b32_e64 v9, 0, 1, vcc_lo
	s_delay_alu instid0(VALU_DEP_1)
	v_lshrrev_b64 v[18:19], v9, v[18:19]
; %bb.2527:                             ;   in Loop: Header=BB6_128 Depth=2
	s_and_not1_saveexec_b32 s10, s10
; %bb.2528:                             ;   in Loop: Header=BB6_128 Depth=2
	s_delay_alu instid0(VALU_DEP_1)
	v_bfe_u32 v8, v18, 23, 1
; %bb.2529:                             ;   in Loop: Header=BB6_128 Depth=2
	s_or_b32 exec_lo, exec_lo, s10
	s_delay_alu instid0(VALU_DEP_2) | instskip(NEXT) | instid1(VALU_DEP_2)
	v_lshrrev_b64 v[18:19], 20, v[18:19]
	v_cmp_gt_i32_e32 vcc_lo, 16, v8
	v_min_i32_e32 v9, 15, v8
	v_cmp_eq_u32_e64 s10, 0, v8
	s_delay_alu instid0(VALU_DEP_2) | instskip(SKIP_1) | instid1(VALU_DEP_2)
	v_dual_cndmask_b32 v19, 0, v19, vcc_lo :: v_dual_lshlrev_b32 v9, 3, v9
	v_cndmask_b32_e32 v18, 7, v18, vcc_lo
	v_and_b32_e32 v9, 0xf8, v9
	s_delay_alu instid0(VALU_DEP_2) | instskip(NEXT) | instid1(VALU_DEP_2)
	v_cmp_eq_u64_e32 vcc_lo, 0, v[18:19]
	v_and_or_b32 v8, v18, 7, v9
	s_and_b32 s10, s10, vcc_lo
	s_delay_alu instid0(VALU_DEP_1) | instid1(SALU_CYCLE_1)
	v_cndmask_b32_e64 v8, v8, 0, s10
	s_delay_alu instid0(VALU_DEP_1)
	v_or_b32_e32 v34, v8, v7
.LBB6_2530:                             ;   in Loop: Header=BB6_128 Depth=2
	s_or_b32 exec_lo, exec_lo, s42
                                        ; implicit-def: $vgpr7
.LBB6_2531:                             ;   in Loop: Header=BB6_128 Depth=2
	s_and_not1_saveexec_b32 s10, s41
; %bb.2532:                             ;   in Loop: Header=BB6_128 Depth=2
	v_or_b32_e32 v34, 0x7e, v7
; %bb.2533:                             ;   in Loop: Header=BB6_128 Depth=2
	s_or_b32 exec_lo, exec_lo, s10
                                        ; implicit-def: $vgpr7
.LBB6_2534:                             ;   in Loop: Header=BB6_128 Depth=2
	s_and_not1_saveexec_b32 s10, s40
; %bb.2535:                             ;   in Loop: Header=BB6_128 Depth=2
	v_or_b32_e32 v34, 0x7f, v7
; %bb.2536:                             ;   in Loop: Header=BB6_128 Depth=2
	s_or_b32 exec_lo, exec_lo, s10
	v_lshrrev_b16 v9, 8, v6
	v_dual_mov_b32 v7, 0 :: v_dual_mov_b32 v8, 0
	s_mov_b32 s10, exec_lo
	s_delay_alu instid0(VALU_DEP_2)
	v_cmpx_ne_u16_e32 0, v9
	s_cbranch_execz .LBB6_2544
; %bb.2537:                             ;   in Loop: Header=BB6_128 Depth=2
	v_bfrev_b32_e32 v8, 1
	s_mov_b32 s40, exec_lo
	v_cmpx_ne_u16_e32 0x80, v9
	s_cbranch_execz .LBB6_2543
; %bb.2538:                             ;   in Loop: Header=BB6_128 Depth=2
	v_and_b32_e32 v18, 0xffff, v9
	v_mov_b32_e32 v8, 0x7f800001
	s_mov_b32 s41, exec_lo
	s_delay_alu instid0(VALU_DEP_2) | instskip(NEXT) | instid1(VALU_DEP_1)
	v_and_b32_e32 v9, 0x7f, v18
	v_cmpx_ne_u32_e32 0x7f, v9
	s_cbranch_execz .LBB6_2542
; %bb.2539:                             ;   in Loop: Header=BB6_128 Depth=2
	v_dual_mov_b32 v19, v55 :: v_dual_bitop2_b32 v18, 7, v18 bitop3:0x40
	v_lshrrev_b32_e32 v8, 3, v9
	s_mov_b32 s42, exec_lo
	v_cmpx_gt_u32_e32 8, v9
; %bb.2540:                             ;   in Loop: Header=BB6_128 Depth=2
	s_delay_alu instid0(VALU_DEP_3) | instskip(NEXT) | instid1(VALU_DEP_1)
	v_clz_i32_u32_e32 v8, v18
	v_min_u32_e32 v8, 32, v8
	s_delay_alu instid0(VALU_DEP_1) | instskip(NEXT) | instid1(VALU_DEP_1)
	v_subrev_nc_u32_e32 v9, 28, v8
	v_lshlrev_b64_e32 v[18:19], v9, v[18:19]
	s_delay_alu instid0(VALU_DEP_1)
	v_dual_sub_nc_u32 v8, 29, v8 :: v_dual_bitop2_b32 v18, 7, v18 bitop3:0x40
; %bb.2541:                             ;   in Loop: Header=BB6_128 Depth=2
	s_or_b32 exec_lo, exec_lo, s42
	v_lshlrev_b32_e32 v6, 16, v6
	s_delay_alu instid0(VALU_DEP_2) | instskip(NEXT) | instid1(VALU_DEP_3)
	v_lshlrev_b32_e32 v9, 20, v18
	v_lshl_add_u32 v8, v8, 23, 0x3c000000
	s_delay_alu instid0(VALU_DEP_3) | instskip(NEXT) | instid1(VALU_DEP_1)
	v_and_b32_e32 v6, 0x80000000, v6
	v_or3_b32 v8, v9, v6, v8
.LBB6_2542:                             ;   in Loop: Header=BB6_128 Depth=2
	s_or_b32 exec_lo, exec_lo, s41
.LBB6_2543:                             ;   in Loop: Header=BB6_128 Depth=2
	s_delay_alu instid0(SALU_CYCLE_1)
	s_or_b32 exec_lo, exec_lo, s40
.LBB6_2544:                             ;   in Loop: Header=BB6_128 Depth=2
	s_delay_alu instid0(SALU_CYCLE_1) | instskip(SKIP_2) | instid1(VALU_DEP_1)
	s_or_b32 exec_lo, exec_lo, s10
	v_lshrrev_b16 v6, 8, v21
	s_mov_b32 s10, exec_lo
	v_cmpx_ne_u16_e32 0, v6
	s_cbranch_execz .LBB6_2552
; %bb.2545:                             ;   in Loop: Header=BB6_128 Depth=2
	v_bfrev_b32_e32 v7, 1
	s_mov_b32 s40, exec_lo
	v_cmpx_ne_u16_e32 0x80, v6
	s_cbranch_execz .LBB6_2551
; %bb.2546:                             ;   in Loop: Header=BB6_128 Depth=2
	v_and_b32_e32 v6, 0xffff, v6
	v_mov_b32_e32 v7, 0x7f800001
	s_mov_b32 s41, exec_lo
	s_delay_alu instid0(VALU_DEP_2) | instskip(NEXT) | instid1(VALU_DEP_1)
	v_and_b32_e32 v9, 0x7f, v6
	v_cmpx_ne_u32_e32 0x7f, v9
	s_cbranch_execz .LBB6_2550
; %bb.2547:                             ;   in Loop: Header=BB6_128 Depth=2
	v_dual_mov_b32 v19, v55 :: v_dual_bitop2_b32 v18, 7, v6 bitop3:0x40
	v_lshrrev_b32_e32 v6, 3, v9
	s_mov_b32 s42, exec_lo
	v_cmpx_gt_u32_e32 8, v9
; %bb.2548:                             ;   in Loop: Header=BB6_128 Depth=2
	s_delay_alu instid0(VALU_DEP_3) | instskip(NEXT) | instid1(VALU_DEP_1)
	v_clz_i32_u32_e32 v6, v18
	v_min_u32_e32 v6, 32, v6
	s_delay_alu instid0(VALU_DEP_1) | instskip(SKIP_1) | instid1(VALU_DEP_2)
	v_subrev_nc_u32_e32 v7, 28, v6
	v_sub_nc_u32_e32 v6, 29, v6
	v_lshlrev_b64_e32 v[18:19], v7, v[18:19]
	s_delay_alu instid0(VALU_DEP_1)
	v_and_b32_e32 v18, 7, v18
; %bb.2549:                             ;   in Loop: Header=BB6_128 Depth=2
	s_or_b32 exec_lo, exec_lo, s42
	s_delay_alu instid0(VALU_DEP_1) | instskip(SKIP_1) | instid1(VALU_DEP_2)
	v_dual_lshlrev_b32 v7, 16, v21 :: v_dual_lshlrev_b32 v9, 20, v18
	v_lshl_add_u32 v6, v6, 23, 0x3c000000
	v_and_b32_e32 v7, 0x80000000, v7
	s_delay_alu instid0(VALU_DEP_1)
	v_or3_b32 v7, v9, v7, v6
.LBB6_2550:                             ;   in Loop: Header=BB6_128 Depth=2
	s_or_b32 exec_lo, exec_lo, s41
.LBB6_2551:                             ;   in Loop: Header=BB6_128 Depth=2
	s_delay_alu instid0(SALU_CYCLE_1)
	s_or_b32 exec_lo, exec_lo, s40
.LBB6_2552:                             ;   in Loop: Header=BB6_128 Depth=2
	s_delay_alu instid0(SALU_CYCLE_1) | instskip(NEXT) | instid1(VALU_DEP_1)
	s_or_b32 exec_lo, exec_lo, s10
	v_dual_add_f32 v7, v8, v7 :: v_dual_mov_b32 v9, v55
                                        ; implicit-def: $vgpr38
	s_mov_b32 s10, exec_lo
	s_delay_alu instid0(VALU_DEP_1) | instskip(SKIP_1) | instid1(VALU_DEP_2)
	v_and_b32_e32 v8, 0x7f800000, v7
	v_lshrrev_b32_e32 v6, 24, v7
	v_cmpx_ne_u64_e32 0x7f800000, v[8:9]
	s_xor_b32 s40, exec_lo, s10
	s_cbranch_execz .LBB6_2566
; %bb.2553:                             ;   in Loop: Header=BB6_128 Depth=2
	v_and_b32_e32 v8, 0x7fffffff, v7
	v_mov_b32_e32 v9, v55
	v_and_b32_e32 v6, 0x80, v6
                                        ; implicit-def: $vgpr38
	s_mov_b32 s10, exec_lo
	s_delay_alu instid0(VALU_DEP_2)
	v_cmpx_gt_u64_e32 0x43e00001, v[8:9]
	s_xor_b32 s41, exec_lo, s10
	s_cbranch_execz .LBB6_2563
; %bb.2554:                             ;   in Loop: Header=BB6_128 Depth=2
	v_mov_b32_e32 v38, 0
	s_mov_b32 s42, exec_lo
	v_cmpx_ne_u32_e32 0, v7
	s_cbranch_execz .LBB6_2562
; %bb.2555:                             ;   in Loop: Header=BB6_128 Depth=2
	v_and_b32_e32 v9, 0x7fffff, v7
	v_bfe_u32 v7, v7, 23, 8
	v_mov_b32_e32 v19, v55
	s_delay_alu instid0(VALU_DEP_3) | instskip(NEXT) | instid1(VALU_DEP_3)
	v_or_b32_e32 v18, 0x800000, v9
	v_cmp_gt_u32_e64 s10, 0x7a, v7
	v_sub_nc_u32_e32 v8, 0x79, v7
	v_cmp_eq_u32_e32 vcc_lo, 0, v7
	s_delay_alu instid0(VALU_DEP_2) | instskip(NEXT) | instid1(VALU_DEP_1)
	v_dual_cndmask_b32 v8, 0, v8, s10 :: v_dual_cndmask_b32 v18, v18, v9, vcc_lo
	v_cndmask_b32_e64 v8, v8, 0x78, vcc_lo
	s_delay_alu instid0(VALU_DEP_1) | instskip(NEXT) | instid1(VALU_DEP_1)
	v_add_nc_u32_e32 v9, 20, v8
	v_lshlrev_b64_e64 v[22:23], v9, -1
	v_add_nc_u32_e32 v9, 19, v8
	s_delay_alu instid0(VALU_DEP_1) | instskip(NEXT) | instid1(VALU_DEP_3)
	v_lshlrev_b64_e64 v[38:39], v9, 1
	v_bfi_b32 v22, v22, 0, v18
	v_lshrrev_b64 v[18:19], v8, v[18:19]
	v_bfi_b32 v23, v23, 0, 0
	s_delay_alu instid0(VALU_DEP_1) | instskip(NEXT) | instid1(VALU_DEP_3)
	v_cmp_eq_u64_e64 s10, v[22:23], v[38:39]
	v_mov_b64_e32 v[22:23], v[18:19]
	s_and_saveexec_b32 s43, s10
; %bb.2556:                             ;   in Loop: Header=BB6_128 Depth=2
	v_bfe_u32 v22, v18, 20, 1
	v_mov_b32_e32 v23, v55
	s_delay_alu instid0(VALU_DEP_1) | instskip(NEXT) | instid1(VALU_DEP_1)
	v_add_nc_u64_e32 v[22:23], v[18:19], v[22:23]
	v_add_nc_u64_e32 v[22:23], -1, v[22:23]
; %bb.2557:                             ;   in Loop: Header=BB6_128 Depth=2
	s_or_b32 exec_lo, exec_lo, s43
	v_add_nc_u32_e32 v7, 0xffffff81, v7
	v_lshrrev_b32_e32 v9, 23, v18
	s_mov_b32 s10, exec_lo
	v_mov_b32_e32 v19, v55
	s_delay_alu instid0(VALU_DEP_3) | instskip(NEXT) | instid1(VALU_DEP_1)
	v_cndmask_b32_e64 v7, v7, 0xffffff82, vcc_lo
	v_add3_u32 v9, v8, v7, v9
	v_and_b32_e32 v7, 0xfffff, v22
	s_delay_alu instid0(VALU_DEP_1) | instskip(NEXT) | instid1(VALU_DEP_1)
	v_dual_add_nc_u32 v8, 6, v9 :: v_dual_add_nc_u32 v18, v7, v18
                                        ; implicit-def: $vgpr7
	v_cmpx_ne_u32_e32 0, v8
	s_xor_b32 s10, exec_lo, s10
; %bb.2558:                             ;   in Loop: Header=BB6_128 Depth=2
	s_delay_alu instid0(VALU_DEP_2) | instskip(SKIP_1) | instid1(VALU_DEP_1)
	v_cmp_lt_u64_e32 vcc_lo, 0xffffff, v[18:19]
	v_add_nc_u32_e32 v7, 7, v9
	v_cndmask_b32_e32 v7, v8, v7, vcc_lo
	v_cndmask_b32_e64 v8, 0, 1, vcc_lo
	s_delay_alu instid0(VALU_DEP_1)
	v_lshrrev_b64 v[18:19], v8, v[18:19]
; %bb.2559:                             ;   in Loop: Header=BB6_128 Depth=2
	s_and_not1_saveexec_b32 s10, s10
; %bb.2560:                             ;   in Loop: Header=BB6_128 Depth=2
	s_delay_alu instid0(VALU_DEP_1)
	v_bfe_u32 v7, v18, 23, 1
; %bb.2561:                             ;   in Loop: Header=BB6_128 Depth=2
	s_or_b32 exec_lo, exec_lo, s10
	s_delay_alu instid0(VALU_DEP_2) | instskip(NEXT) | instid1(VALU_DEP_2)
	v_lshrrev_b64 v[8:9], 20, v[18:19]
	v_cmp_gt_i32_e32 vcc_lo, 16, v7
	v_min_i32_e32 v18, 15, v7
	v_cmp_eq_u32_e64 s10, 0, v7
	s_delay_alu instid0(VALU_DEP_2) | instskip(SKIP_1) | instid1(VALU_DEP_2)
	v_dual_cndmask_b32 v9, 0, v9 :: v_dual_lshlrev_b32 v18, 3, v18
	v_cndmask_b32_e32 v8, 7, v8, vcc_lo
	v_and_b32_e32 v18, 0xf8, v18
	s_delay_alu instid0(VALU_DEP_2) | instskip(NEXT) | instid1(VALU_DEP_2)
	v_cmp_eq_u64_e32 vcc_lo, 0, v[8:9]
	v_and_or_b32 v7, v8, 7, v18
	s_and_b32 s10, s10, vcc_lo
	s_delay_alu instid0(VALU_DEP_1) | instid1(SALU_CYCLE_1)
	v_cndmask_b32_e64 v7, v7, 0, s10
	s_delay_alu instid0(VALU_DEP_1)
	v_or_b32_e32 v38, v7, v6
.LBB6_2562:                             ;   in Loop: Header=BB6_128 Depth=2
	s_or_b32 exec_lo, exec_lo, s42
                                        ; implicit-def: $vgpr6
.LBB6_2563:                             ;   in Loop: Header=BB6_128 Depth=2
	s_and_not1_saveexec_b32 s10, s41
; %bb.2564:                             ;   in Loop: Header=BB6_128 Depth=2
	v_or_b32_e32 v38, 0x7e, v6
; %bb.2565:                             ;   in Loop: Header=BB6_128 Depth=2
	s_or_b32 exec_lo, exec_lo, s10
                                        ; implicit-def: $vgpr6
.LBB6_2566:                             ;   in Loop: Header=BB6_128 Depth=2
	s_and_not1_saveexec_b32 s10, s40
; %bb.2567:                             ;   in Loop: Header=BB6_128 Depth=2
	v_or_b32_e32 v38, 0x7f, v6
; %bb.2568:                             ;   in Loop: Header=BB6_128 Depth=2
	s_or_b32 exec_lo, exec_lo, s10
	v_dual_lshrrev_b32 v8, 16, v54 :: v_dual_mov_b32 v6, 0
	v_mov_b32_e32 v7, 0
	s_mov_b32 s10, exec_lo
	s_delay_alu instid0(VALU_DEP_2) | instskip(NEXT) | instid1(VALU_DEP_1)
	v_and_b32_e32 v9, 0xff, v8
	v_cmpx_ne_u16_e32 0, v9
	s_cbranch_execz .LBB6_2576
; %bb.2569:                             ;   in Loop: Header=BB6_128 Depth=2
	v_bfrev_b32_e32 v7, 1
	s_mov_b32 s40, exec_lo
	v_cmpx_ne_u16_e32 0x80, v9
	s_cbranch_execz .LBB6_2575
; %bb.2570:                             ;   in Loop: Header=BB6_128 Depth=2
	v_bfe_u32 v9, v54, 16, 7
	v_mov_b32_e32 v7, 0x7f800001
	s_mov_b32 s41, exec_lo
	s_delay_alu instid0(VALU_DEP_2)
	v_cmpx_ne_u32_e32 0x7f, v9
	s_cbranch_execz .LBB6_2574
; %bb.2571:                             ;   in Loop: Header=BB6_128 Depth=2
	v_dual_mov_b32 v19, v55 :: v_dual_bitop2_b32 v18, 7, v8 bitop3:0x40
	v_lshrrev_b32_e32 v7, 3, v9
	s_mov_b32 s42, exec_lo
	v_cmpx_gt_u32_e32 8, v9
; %bb.2572:                             ;   in Loop: Header=BB6_128 Depth=2
	s_delay_alu instid0(VALU_DEP_3) | instskip(NEXT) | instid1(VALU_DEP_1)
	v_clz_i32_u32_e32 v7, v18
	v_min_u32_e32 v7, 32, v7
	s_delay_alu instid0(VALU_DEP_1) | instskip(NEXT) | instid1(VALU_DEP_1)
	v_subrev_nc_u32_e32 v9, 28, v7
	v_lshlrev_b64_e32 v[18:19], v9, v[18:19]
	s_delay_alu instid0(VALU_DEP_1)
	v_dual_sub_nc_u32 v7, 29, v7 :: v_dual_bitop2_b32 v18, 7, v18 bitop3:0x40
; %bb.2573:                             ;   in Loop: Header=BB6_128 Depth=2
	s_or_b32 exec_lo, exec_lo, s42
	s_delay_alu instid0(VALU_DEP_1) | instskip(NEXT) | instid1(VALU_DEP_2)
	v_dual_lshlrev_b32 v8, 24, v8 :: v_dual_lshlrev_b32 v9, 20, v18
	v_lshl_add_u32 v7, v7, 23, 0x3c000000
	s_delay_alu instid0(VALU_DEP_2) | instskip(NEXT) | instid1(VALU_DEP_1)
	v_and_b32_e32 v8, 0x80000000, v8
	v_or3_b32 v7, v9, v8, v7
.LBB6_2574:                             ;   in Loop: Header=BB6_128 Depth=2
	s_or_b32 exec_lo, exec_lo, s41
.LBB6_2575:                             ;   in Loop: Header=BB6_128 Depth=2
	s_delay_alu instid0(SALU_CYCLE_1)
	s_or_b32 exec_lo, exec_lo, s40
.LBB6_2576:                             ;   in Loop: Header=BB6_128 Depth=2
	s_delay_alu instid0(SALU_CYCLE_1) | instskip(SKIP_2) | instid1(VALU_DEP_1)
	s_or_b32 exec_lo, exec_lo, s10
	v_lshrrev_b32_e32 v8, 16, v21
	s_mov_b32 s10, exec_lo
	v_and_b32_e32 v9, 0xff, v8
	s_delay_alu instid0(VALU_DEP_1)
	v_cmpx_ne_u16_e32 0, v9
	s_cbranch_execz .LBB6_2584
; %bb.2577:                             ;   in Loop: Header=BB6_128 Depth=2
	v_bfrev_b32_e32 v6, 1
	s_mov_b32 s40, exec_lo
	v_cmpx_ne_u16_e32 0x80, v9
	s_cbranch_execz .LBB6_2583
; %bb.2578:                             ;   in Loop: Header=BB6_128 Depth=2
	v_bfe_u32 v9, v21, 16, 7
	v_mov_b32_e32 v6, 0x7f800001
	s_mov_b32 s41, exec_lo
	s_delay_alu instid0(VALU_DEP_2)
	v_cmpx_ne_u32_e32 0x7f, v9
	s_cbranch_execz .LBB6_2582
; %bb.2579:                             ;   in Loop: Header=BB6_128 Depth=2
	v_dual_mov_b32 v19, v55 :: v_dual_bitop2_b32 v18, 7, v8 bitop3:0x40
	v_lshrrev_b32_e32 v6, 3, v9
	s_mov_b32 s42, exec_lo
	v_cmpx_gt_u32_e32 8, v9
; %bb.2580:                             ;   in Loop: Header=BB6_128 Depth=2
	s_delay_alu instid0(VALU_DEP_3) | instskip(NEXT) | instid1(VALU_DEP_1)
	v_clz_i32_u32_e32 v6, v18
	v_min_u32_e32 v6, 32, v6
	s_delay_alu instid0(VALU_DEP_1) | instskip(NEXT) | instid1(VALU_DEP_1)
	v_subrev_nc_u32_e32 v8, 28, v6
	v_lshlrev_b64_e32 v[8:9], v8, v[18:19]
	s_delay_alu instid0(VALU_DEP_1)
	v_dual_sub_nc_u32 v6, 29, v6 :: v_dual_bitop2_b32 v18, 7, v8 bitop3:0x40
; %bb.2581:                             ;   in Loop: Header=BB6_128 Depth=2
	s_or_b32 exec_lo, exec_lo, s42
	s_delay_alu instid0(VALU_DEP_1) | instskip(NEXT) | instid1(VALU_DEP_2)
	v_dual_lshlrev_b32 v8, 8, v21 :: v_dual_lshlrev_b32 v9, 20, v18
	v_lshl_add_u32 v6, v6, 23, 0x3c000000
	s_delay_alu instid0(VALU_DEP_2) | instskip(NEXT) | instid1(VALU_DEP_1)
	v_and_b32_e32 v8, 0x80000000, v8
	v_or3_b32 v6, v9, v8, v6
.LBB6_2582:                             ;   in Loop: Header=BB6_128 Depth=2
	s_or_b32 exec_lo, exec_lo, s41
.LBB6_2583:                             ;   in Loop: Header=BB6_128 Depth=2
	s_delay_alu instid0(SALU_CYCLE_1)
	s_or_b32 exec_lo, exec_lo, s40
.LBB6_2584:                             ;   in Loop: Header=BB6_128 Depth=2
	s_delay_alu instid0(SALU_CYCLE_1) | instskip(NEXT) | instid1(VALU_DEP_1)
	s_or_b32 exec_lo, exec_lo, s10
	v_add_f32_e32 v8, v7, v6
	v_mov_b32_e32 v7, v55
	s_delay_alu instid0(VALU_DEP_2) | instskip(NEXT) | instid1(VALU_DEP_1)
	v_and_b32_e32 v6, 0x7f800000, v8
	v_cmp_ne_u64_e32 vcc_lo, 0x7f800000, v[6:7]
	v_lshrrev_b32_e32 v7, 24, v8
                                        ; implicit-def: $vgpr6
	s_and_saveexec_b32 s10, vcc_lo
	s_delay_alu instid0(SALU_CYCLE_1)
	s_xor_b32 s40, exec_lo, s10
	s_cbranch_execz .LBB6_2598
; %bb.2585:                             ;   in Loop: Header=BB6_128 Depth=2
	v_and_b32_e32 v18, 0x7fffffff, v8
	v_mov_b32_e32 v19, v55
	v_and_b32_e32 v7, 0x80, v7
                                        ; implicit-def: $vgpr6
	s_mov_b32 s10, exec_lo
	s_delay_alu instid0(VALU_DEP_2)
	v_cmpx_gt_u64_e32 0x43e00001, v[18:19]
	s_xor_b32 s41, exec_lo, s10
	s_cbranch_execz .LBB6_2595
; %bb.2586:                             ;   in Loop: Header=BB6_128 Depth=2
	v_mov_b32_e32 v6, 0
	s_mov_b32 s42, exec_lo
	v_cmpx_ne_u32_e32 0, v8
	s_cbranch_execz .LBB6_2594
; %bb.2587:                             ;   in Loop: Header=BB6_128 Depth=2
	v_bfe_u32 v6, v8, 23, 8
	v_and_b32_e32 v9, 0x7fffff, v8
	s_delay_alu instid0(VALU_DEP_2) | instskip(SKIP_2) | instid1(VALU_DEP_4)
	v_dual_mov_b32 v19, v55 :: v_dual_sub_nc_u32 v8, 0x79, v6
	v_cmp_gt_u32_e64 s10, 0x7a, v6
	v_cmp_eq_u32_e32 vcc_lo, 0, v6
	v_or_b32_e32 v18, 0x800000, v9
	s_delay_alu instid0(VALU_DEP_1) | instskip(NEXT) | instid1(VALU_DEP_1)
	v_dual_cndmask_b32 v8, 0, v8, s10 :: v_dual_cndmask_b32 v18, v18, v9, vcc_lo
	v_cndmask_b32_e64 v8, v8, 0x78, vcc_lo
	s_delay_alu instid0(VALU_DEP_1) | instskip(NEXT) | instid1(VALU_DEP_1)
	v_add_nc_u32_e32 v9, 20, v8
	v_lshlrev_b64_e64 v[22:23], v9, -1
	v_add_nc_u32_e32 v9, 19, v8
	s_delay_alu instid0(VALU_DEP_1) | instskip(NEXT) | instid1(VALU_DEP_3)
	v_lshlrev_b64_e64 v[50:51], v9, 1
	v_bfi_b32 v22, v22, 0, v18
	v_lshrrev_b64 v[18:19], v8, v[18:19]
	v_bfi_b32 v23, v23, 0, 0
	s_delay_alu instid0(VALU_DEP_1) | instskip(NEXT) | instid1(VALU_DEP_3)
	v_cmp_eq_u64_e64 s10, v[22:23], v[50:51]
	v_mov_b64_e32 v[22:23], v[18:19]
	s_and_saveexec_b32 s43, s10
; %bb.2588:                             ;   in Loop: Header=BB6_128 Depth=2
	v_bfe_u32 v22, v18, 20, 1
	v_mov_b32_e32 v23, v55
	s_delay_alu instid0(VALU_DEP_1) | instskip(NEXT) | instid1(VALU_DEP_1)
	v_add_nc_u64_e32 v[22:23], v[18:19], v[22:23]
	v_add_nc_u64_e32 v[22:23], -1, v[22:23]
; %bb.2589:                             ;   in Loop: Header=BB6_128 Depth=2
	s_or_b32 exec_lo, exec_lo, s43
	v_dual_mov_b32 v19, v55 :: v_dual_add_nc_u32 v6, 0xffffff81, v6
	v_lshrrev_b32_e32 v9, 23, v18
	s_mov_b32 s10, exec_lo
	s_delay_alu instid0(VALU_DEP_2) | instskip(NEXT) | instid1(VALU_DEP_1)
	v_cndmask_b32_e64 v6, v6, 0xffffff82, vcc_lo
	v_add3_u32 v9, v8, v6, v9
	v_and_b32_e32 v6, 0xfffff, v22
	s_delay_alu instid0(VALU_DEP_1) | instskip(NEXT) | instid1(VALU_DEP_1)
	v_dual_add_nc_u32 v8, 6, v9 :: v_dual_add_nc_u32 v18, v6, v18
                                        ; implicit-def: $vgpr6
	v_cmpx_ne_u32_e32 0, v8
	s_xor_b32 s10, exec_lo, s10
; %bb.2590:                             ;   in Loop: Header=BB6_128 Depth=2
	s_delay_alu instid0(VALU_DEP_2) | instskip(SKIP_1) | instid1(VALU_DEP_1)
	v_cmp_lt_u64_e32 vcc_lo, 0xffffff, v[18:19]
	v_add_nc_u32_e32 v6, 7, v9
	v_cndmask_b32_e32 v6, v8, v6, vcc_lo
	v_cndmask_b32_e64 v8, 0, 1, vcc_lo
	s_delay_alu instid0(VALU_DEP_1)
	v_lshrrev_b64 v[18:19], v8, v[18:19]
; %bb.2591:                             ;   in Loop: Header=BB6_128 Depth=2
	s_and_not1_saveexec_b32 s10, s10
; %bb.2592:                             ;   in Loop: Header=BB6_128 Depth=2
	s_delay_alu instid0(VALU_DEP_1)
	v_bfe_u32 v6, v18, 23, 1
; %bb.2593:                             ;   in Loop: Header=BB6_128 Depth=2
	s_or_b32 exec_lo, exec_lo, s10
	s_delay_alu instid0(VALU_DEP_2) | instskip(NEXT) | instid1(VALU_DEP_2)
	v_lshrrev_b64 v[8:9], 20, v[18:19]
	v_cmp_gt_i32_e32 vcc_lo, 16, v6
	v_min_i32_e32 v18, 15, v6
	v_cmp_eq_u32_e64 s10, 0, v6
	s_delay_alu instid0(VALU_DEP_2) | instskip(SKIP_1) | instid1(VALU_DEP_2)
	v_dual_cndmask_b32 v9, 0, v9 :: v_dual_lshlrev_b32 v18, 3, v18
	v_cndmask_b32_e32 v8, 7, v8, vcc_lo
	v_and_b32_e32 v18, 0xf8, v18
	s_delay_alu instid0(VALU_DEP_2) | instskip(NEXT) | instid1(VALU_DEP_2)
	v_cmp_eq_u64_e32 vcc_lo, 0, v[8:9]
	v_and_or_b32 v6, v8, 7, v18
	s_and_b32 s10, s10, vcc_lo
	s_delay_alu instid0(VALU_DEP_1) | instid1(SALU_CYCLE_1)
	v_cndmask_b32_e64 v6, v6, 0, s10
	s_delay_alu instid0(VALU_DEP_1)
	v_or_b32_e32 v6, v6, v7
.LBB6_2594:                             ;   in Loop: Header=BB6_128 Depth=2
	s_or_b32 exec_lo, exec_lo, s42
                                        ; implicit-def: $vgpr7
.LBB6_2595:                             ;   in Loop: Header=BB6_128 Depth=2
	s_and_not1_saveexec_b32 s10, s41
; %bb.2596:                             ;   in Loop: Header=BB6_128 Depth=2
	v_or_b32_e32 v6, 0x7e, v7
; %bb.2597:                             ;   in Loop: Header=BB6_128 Depth=2
	s_or_b32 exec_lo, exec_lo, s10
                                        ; implicit-def: $vgpr7
.LBB6_2598:                             ;   in Loop: Header=BB6_128 Depth=2
	s_and_not1_saveexec_b32 s10, s40
; %bb.2599:                             ;   in Loop: Header=BB6_128 Depth=2
	v_or_b32_e32 v6, 0x7f, v7
; %bb.2600:                             ;   in Loop: Header=BB6_128 Depth=2
	s_or_b32 exec_lo, exec_lo, s10
	v_dual_mov_b32 v7, 0 :: v_dual_mov_b32 v8, 0
	s_mov_b32 s10, exec_lo
	v_cmpx_lt_u32_e32 0xffffff, v54
	s_cbranch_execz .LBB6_2608
; %bb.2601:                             ;   in Loop: Header=BB6_128 Depth=2
	v_lshrrev_b32_e32 v9, 24, v54
	v_bfrev_b32_e32 v8, 1
	s_mov_b32 s40, exec_lo
	s_delay_alu instid0(VALU_DEP_2)
	v_cmpx_ne_u32_e32 0x80, v9
	s_cbranch_execz .LBB6_2607
; %bb.2602:                             ;   in Loop: Header=BB6_128 Depth=2
	v_bfe_u32 v18, v54, 24, 7
	v_mov_b32_e32 v8, 0x7f800001
	s_mov_b32 s41, exec_lo
	s_delay_alu instid0(VALU_DEP_2)
	v_cmpx_ne_u32_e32 0x7f, v18
	s_cbranch_execz .LBB6_2606
; %bb.2603:                             ;   in Loop: Header=BB6_128 Depth=2
	v_dual_lshrrev_b32 v8, 3, v18 :: v_dual_bitop2_b32 v54, 7, v9 bitop3:0x40
	v_cmp_gt_u32_e32 vcc_lo, 8, v18
	s_delay_alu instid0(VALU_DEP_2)
	v_mov_b64_e32 v[18:19], v[54:55]
	s_and_saveexec_b32 s42, vcc_lo
; %bb.2604:                             ;   in Loop: Header=BB6_128 Depth=2
	v_clz_i32_u32_e32 v8, v54
	s_delay_alu instid0(VALU_DEP_1) | instskip(NEXT) | instid1(VALU_DEP_1)
	v_min_u32_e32 v8, 32, v8
	v_subrev_nc_u32_e32 v18, 28, v8
	s_delay_alu instid0(VALU_DEP_1) | instskip(NEXT) | instid1(VALU_DEP_1)
	v_lshlrev_b64_e32 v[18:19], v18, v[54:55]
	v_dual_sub_nc_u32 v8, 29, v8 :: v_dual_bitop2_b32 v18, 7, v18 bitop3:0x40
; %bb.2605:                             ;   in Loop: Header=BB6_128 Depth=2
	s_or_b32 exec_lo, exec_lo, s42
	s_delay_alu instid0(VALU_DEP_1) | instskip(NEXT) | instid1(VALU_DEP_2)
	v_dual_lshlrev_b32 v9, 24, v9 :: v_dual_lshlrev_b32 v18, 20, v18
	v_lshl_add_u32 v8, v8, 23, 0x3c000000
	s_delay_alu instid0(VALU_DEP_2) | instskip(NEXT) | instid1(VALU_DEP_1)
	v_and_b32_e32 v9, 0x80000000, v9
	v_or3_b32 v8, v18, v9, v8
.LBB6_2606:                             ;   in Loop: Header=BB6_128 Depth=2
	s_or_b32 exec_lo, exec_lo, s41
.LBB6_2607:                             ;   in Loop: Header=BB6_128 Depth=2
	s_delay_alu instid0(SALU_CYCLE_1)
	s_or_b32 exec_lo, exec_lo, s40
.LBB6_2608:                             ;   in Loop: Header=BB6_128 Depth=2
	s_delay_alu instid0(SALU_CYCLE_1) | instskip(NEXT) | instid1(SALU_CYCLE_1)
	s_or_b32 exec_lo, exec_lo, s10
	s_mov_b32 s10, exec_lo
	v_cmpx_lt_u64_e64 s[14:15], v[20:21]
	s_cbranch_execz .LBB6_2616
; %bb.2609:                             ;   in Loop: Header=BB6_128 Depth=2
	v_lshrrev_b32_e32 v9, 24, v21
	v_bfrev_b32_e32 v7, 1
	s_mov_b32 s40, exec_lo
	s_delay_alu instid0(VALU_DEP_2)
	v_cmpx_ne_u32_e32 0x80, v9
	s_cbranch_execz .LBB6_2615
; %bb.2610:                             ;   in Loop: Header=BB6_128 Depth=2
	v_bfe_u32 v18, v21, 24, 7
	v_mov_b32_e32 v7, 0x7f800001
	s_mov_b32 s41, exec_lo
	s_delay_alu instid0(VALU_DEP_2)
	v_cmpx_ne_u32_e32 0x7f, v18
	s_cbranch_execz .LBB6_2614
; %bb.2611:                             ;   in Loop: Header=BB6_128 Depth=2
	v_dual_lshrrev_b32 v7, 3, v18 :: v_dual_bitop2_b32 v54, 7, v9 bitop3:0x40
	v_cmp_gt_u32_e32 vcc_lo, 8, v18
	s_delay_alu instid0(VALU_DEP_2)
	v_mov_b64_e32 v[18:19], v[54:55]
	s_and_saveexec_b32 s42, vcc_lo
; %bb.2612:                             ;   in Loop: Header=BB6_128 Depth=2
	v_clz_i32_u32_e32 v7, v54
	s_delay_alu instid0(VALU_DEP_1) | instskip(NEXT) | instid1(VALU_DEP_1)
	v_min_u32_e32 v7, 32, v7
	v_subrev_nc_u32_e32 v18, 28, v7
	s_delay_alu instid0(VALU_DEP_1) | instskip(NEXT) | instid1(VALU_DEP_1)
	v_lshlrev_b64_e32 v[18:19], v18, v[54:55]
	v_dual_sub_nc_u32 v7, 29, v7 :: v_dual_bitop2_b32 v18, 7, v18 bitop3:0x40
; %bb.2613:                             ;   in Loop: Header=BB6_128 Depth=2
	s_or_b32 exec_lo, exec_lo, s42
	s_delay_alu instid0(VALU_DEP_1) | instskip(NEXT) | instid1(VALU_DEP_2)
	v_dual_lshlrev_b32 v9, 24, v9 :: v_dual_lshlrev_b32 v18, 20, v18
	v_lshl_add_u32 v7, v7, 23, 0x3c000000
	s_delay_alu instid0(VALU_DEP_2) | instskip(NEXT) | instid1(VALU_DEP_1)
	v_and_b32_e32 v9, 0x80000000, v9
	v_or3_b32 v7, v18, v9, v7
.LBB6_2614:                             ;   in Loop: Header=BB6_128 Depth=2
	s_or_b32 exec_lo, exec_lo, s41
.LBB6_2615:                             ;   in Loop: Header=BB6_128 Depth=2
	s_delay_alu instid0(SALU_CYCLE_1)
	s_or_b32 exec_lo, exec_lo, s40
.LBB6_2616:                             ;   in Loop: Header=BB6_128 Depth=2
	s_delay_alu instid0(SALU_CYCLE_1) | instskip(NEXT) | instid1(VALU_DEP_1)
	s_or_b32 exec_lo, exec_lo, s10
	v_add_f32_e32 v9, v8, v7
                                        ; implicit-def: $vgpr7
	s_mov_b32 s10, exec_lo
	s_delay_alu instid0(VALU_DEP_1) | instskip(SKIP_1) | instid1(VALU_DEP_2)
	v_and_b32_e32 v54, 0x7f800000, v9
	v_lshrrev_b32_e32 v8, 24, v9
	v_cmpx_ne_u64_e32 0x7f800000, v[54:55]
	s_xor_b32 s40, exec_lo, s10
	s_cbranch_execz .LBB6_2630
; %bb.2617:                             ;   in Loop: Header=BB6_128 Depth=2
	v_and_b32_e32 v54, 0x7fffffff, v9
	v_and_b32_e32 v8, 0x80, v8
                                        ; implicit-def: $vgpr7
	s_mov_b32 s10, exec_lo
	s_delay_alu instid0(VALU_DEP_2)
	v_cmpx_gt_u64_e32 0x43e00001, v[54:55]
	s_xor_b32 s41, exec_lo, s10
	s_cbranch_execz .LBB6_2627
; %bb.2618:                             ;   in Loop: Header=BB6_128 Depth=2
	v_mov_b32_e32 v7, 0
	s_mov_b32 s42, exec_lo
	v_cmpx_ne_u32_e32 0, v9
	s_cbranch_execz .LBB6_2626
; %bb.2619:                             ;   in Loop: Header=BB6_128 Depth=2
	v_and_b32_e32 v18, 0x7fffff, v9
	v_bfe_u32 v7, v9, 23, 8
	s_delay_alu instid0(VALU_DEP_2) | instskip(NEXT) | instid1(VALU_DEP_2)
	v_or_b32_e32 v19, 0x800000, v18
	v_cmp_eq_u32_e32 vcc_lo, 0, v7
	v_cmp_gt_u32_e64 s10, 0x7a, v7
	s_delay_alu instid0(VALU_DEP_3) | instskip(NEXT) | instid1(VALU_DEP_1)
	v_dual_cndmask_b32 v54, v19, v18 :: v_dual_sub_nc_u32 v9, 0x79, v7
	v_cndmask_b32_e64 v9, 0, v9, s10
	s_delay_alu instid0(VALU_DEP_1) | instskip(NEXT) | instid1(VALU_DEP_1)
	v_cndmask_b32_e64 v9, v9, 0x78, vcc_lo
	v_dual_add_nc_u32 v18, 20, v9 :: v_dual_add_nc_u32 v20, 19, v9
	s_delay_alu instid0(VALU_DEP_1) | instskip(NEXT) | instid1(VALU_DEP_2)
	v_lshlrev_b64_e64 v[18:19], v18, -1
	v_lshlrev_b64_e64 v[20:21], v20, 1
	s_delay_alu instid0(VALU_DEP_2) | instskip(NEXT) | instid1(VALU_DEP_3)
	v_bfi_b32 v19, v19, 0, 0
	v_bfi_b32 v18, v18, 0, v54
	s_delay_alu instid0(VALU_DEP_1) | instskip(SKIP_1) | instid1(VALU_DEP_1)
	v_cmp_eq_u64_e64 s10, v[18:19], v[20:21]
	v_lshrrev_b64 v[18:19], v9, v[54:55]
	v_mov_b64_e32 v[20:21], v[18:19]
	s_and_saveexec_b32 s43, s10
; %bb.2620:                             ;   in Loop: Header=BB6_128 Depth=2
	v_bfe_u32 v54, v18, 20, 1
	s_delay_alu instid0(VALU_DEP_1) | instskip(NEXT) | instid1(VALU_DEP_1)
	v_add_nc_u64_e32 v[20:21], v[18:19], v[54:55]
	v_add_nc_u64_e32 v[20:21], -1, v[20:21]
; %bb.2621:                             ;   in Loop: Header=BB6_128 Depth=2
	s_or_b32 exec_lo, exec_lo, s43
	v_add_nc_u32_e32 v7, 0xffffff81, v7
	v_lshrrev_b32_e32 v19, 23, v18
	s_mov_b32 s10, exec_lo
	s_delay_alu instid0(VALU_DEP_2) | instskip(NEXT) | instid1(VALU_DEP_1)
	v_cndmask_b32_e64 v7, v7, 0xffffff82, vcc_lo
	v_add3_u32 v21, v9, v7, v19
	v_and_b32_e32 v7, 0xfffff, v20
	s_delay_alu instid0(VALU_DEP_1) | instskip(NEXT) | instid1(VALU_DEP_1)
	v_dual_add_nc_u32 v9, 6, v21 :: v_dual_add_nc_u32 v54, v7, v18
                                        ; implicit-def: $vgpr18_vgpr19
                                        ; implicit-def: $vgpr7
	v_cmpx_ne_u32_e32 0, v9
	s_xor_b32 s10, exec_lo, s10
; %bb.2622:                             ;   in Loop: Header=BB6_128 Depth=2
	s_delay_alu instid0(VALU_DEP_2) | instskip(SKIP_1) | instid1(VALU_DEP_1)
	v_cmp_lt_u64_e32 vcc_lo, 0xffffff, v[54:55]
	v_add_nc_u32_e32 v7, 7, v21
	v_cndmask_b32_e32 v7, v9, v7, vcc_lo
	v_cndmask_b32_e64 v9, 0, 1, vcc_lo
	s_delay_alu instid0(VALU_DEP_1)
	v_lshrrev_b64 v[18:19], v9, v[54:55]
; %bb.2623:                             ;   in Loop: Header=BB6_128 Depth=2
	s_and_not1_saveexec_b32 s10, s10
; %bb.2624:                             ;   in Loop: Header=BB6_128 Depth=2
	v_mov_b64_e32 v[18:19], v[54:55]
	v_bfe_u32 v7, v54, 23, 1
; %bb.2625:                             ;   in Loop: Header=BB6_128 Depth=2
	s_or_b32 exec_lo, exec_lo, s10
	s_delay_alu instid0(VALU_DEP_2) | instskip(NEXT) | instid1(VALU_DEP_2)
	v_lshrrev_b64 v[18:19], 20, v[18:19]
	v_cmp_gt_i32_e32 vcc_lo, 16, v7
	v_min_i32_e32 v9, 15, v7
	v_cmp_eq_u32_e64 s10, 0, v7
	s_delay_alu instid0(VALU_DEP_2) | instskip(SKIP_1) | instid1(VALU_DEP_2)
	v_dual_cndmask_b32 v18, 7, v18 :: v_dual_lshlrev_b32 v9, 3, v9
	v_cndmask_b32_e32 v19, 0, v19, vcc_lo
	v_and_b32_e32 v9, 0xf8, v9
	s_delay_alu instid0(VALU_DEP_2) | instskip(NEXT) | instid1(VALU_DEP_2)
	v_cmp_eq_u64_e32 vcc_lo, 0, v[18:19]
	v_and_or_b32 v7, v18, 7, v9
	s_and_b32 s10, s10, vcc_lo
	s_delay_alu instid0(VALU_DEP_1) | instid1(SALU_CYCLE_1)
	v_cndmask_b32_e64 v7, v7, 0, s10
	s_delay_alu instid0(VALU_DEP_1)
	v_or_b32_e32 v7, v7, v8
.LBB6_2626:                             ;   in Loop: Header=BB6_128 Depth=2
	s_or_b32 exec_lo, exec_lo, s42
                                        ; implicit-def: $vgpr8
.LBB6_2627:                             ;   in Loop: Header=BB6_128 Depth=2
	s_and_not1_saveexec_b32 s10, s41
; %bb.2628:                             ;   in Loop: Header=BB6_128 Depth=2
	v_or_b32_e32 v7, 0x7e, v8
; %bb.2629:                             ;   in Loop: Header=BB6_128 Depth=2
	s_or_b32 exec_lo, exec_lo, s10
                                        ; implicit-def: $vgpr8
.LBB6_2630:                             ;   in Loop: Header=BB6_128 Depth=2
	s_and_not1_saveexec_b32 s10, s40
; %bb.2631:                             ;   in Loop: Header=BB6_128 Depth=2
	v_or_b32_e32 v7, 0x7f, v8
; %bb.2632:                             ;   in Loop: Header=BB6_128 Depth=2
	s_or_b32 exec_lo, exec_lo, s10
	v_lshl_or_b32 v9, v110, 8, v107
	v_dual_lshlrev_b32 v8, 16, v31 :: v_dual_lshlrev_b32 v18, 24, v121
	s_mov_b32 s10, exec_lo
	s_delay_alu instid0(VALU_DEP_1)
	v_or3_b32 v54, v8, v18, v9
	v_dual_mov_b32 v8, 0 :: v_dual_mov_b32 v18, 0
	v_cmpx_ne_u32_e32 0, v107
	s_cbranch_execz .LBB6_2638
; %bb.2633:                             ;   in Loop: Header=BB6_128 Depth=2
	v_bfrev_b32_e32 v18, 1
	s_mov_b32 s40, exec_lo
	v_cmpx_ne_u32_e32 0x80, v107
	s_cbranch_execz .LBB6_2637
; %bb.2634:                             ;   in Loop: Header=BB6_128 Depth=2
	v_and_b32_e32 v19, 0x7f, v107
	v_mov_b32_e32 v18, 0x7f800001
	s_mov_b32 s41, exec_lo
	s_delay_alu instid0(VALU_DEP_2)
	v_cmpx_ne_u32_e32 0x7f, v19
	s_cbranch_execz .LBB6_2636
; %bb.2635:                             ;   in Loop: Header=BB6_128 Depth=2
	v_and_b32_e32 v18, 7, v107
	v_cmp_gt_u32_e32 vcc_lo, 8, v19
	s_delay_alu instid0(VALU_DEP_2) | instskip(NEXT) | instid1(VALU_DEP_1)
	v_clz_i32_u32_e32 v18, v18
	v_min_u32_e32 v18, 32, v18
	v_lshrrev_b32_e32 v20, 3, v19
	s_delay_alu instid0(VALU_DEP_2) | instskip(SKIP_1) | instid1(VALU_DEP_1)
	v_subrev_nc_u32_e32 v19, 28, v18
	v_sub_nc_u32_e32 v18, 29, v18
	v_dual_cndmask_b32 v20, v20, v18, vcc_lo :: v_dual_cndmask_b32 v18, 0, v19, vcc_lo
	s_delay_alu instid0(VALU_DEP_1) | instskip(NEXT) | instid1(VALU_DEP_2)
	v_lshl_add_u32 v20, v20, 23, 0x3c000000
	v_lshlrev_b64_e32 v[18:19], v18, v[54:55]
	v_lshlrev_b32_e32 v19, 24, v54
	s_delay_alu instid0(VALU_DEP_1) | instskip(NEXT) | instid1(VALU_DEP_3)
	v_and_b32_e32 v19, 0x80000000, v19
	v_lshlrev_b32_e32 v18, 20, v18
	s_delay_alu instid0(VALU_DEP_1) | instskip(NEXT) | instid1(VALU_DEP_1)
	v_and_b32_e32 v18, 0x700000, v18
	v_or3_b32 v18, v18, v19, v20
.LBB6_2636:                             ;   in Loop: Header=BB6_128 Depth=2
	s_or_b32 exec_lo, exec_lo, s41
.LBB6_2637:                             ;   in Loop: Header=BB6_128 Depth=2
	s_delay_alu instid0(SALU_CYCLE_1)
	s_or_b32 exec_lo, exec_lo, s40
.LBB6_2638:                             ;   in Loop: Header=BB6_128 Depth=2
	s_delay_alu instid0(SALU_CYCLE_1) | instskip(SKIP_3) | instid1(VALU_DEP_1)
	s_or_b32 exec_lo, exec_lo, s10
	s_wait_loadcnt 0x1
	v_and_b32_e32 v19, 0xff, v14
	s_mov_b32 s10, exec_lo
	v_cmpx_ne_u16_e32 0, v19
	s_cbranch_execz .LBB6_2644
; %bb.2639:                             ;   in Loop: Header=BB6_128 Depth=2
	v_bfrev_b32_e32 v8, 1
	s_mov_b32 s40, exec_lo
	v_cmpx_ne_u16_e32 0x80, v19
	s_cbranch_execz .LBB6_2643
; %bb.2640:                             ;   in Loop: Header=BB6_128 Depth=2
	v_and_b32_e32 v19, 0x7f, v14
	v_mov_b32_e32 v8, 0x7f800001
	s_mov_b32 s41, exec_lo
	s_delay_alu instid0(VALU_DEP_2)
	v_cmpx_ne_u32_e32 0x7f, v19
	s_cbranch_execz .LBB6_2642
; %bb.2641:                             ;   in Loop: Header=BB6_128 Depth=2
	v_dual_lshrrev_b32 v20, 3, v19 :: v_dual_bitop2_b32 v8, 7, v14 bitop3:0x40
	v_cmp_gt_u32_e32 vcc_lo, 8, v19
	s_delay_alu instid0(VALU_DEP_2) | instskip(NEXT) | instid1(VALU_DEP_1)
	v_clz_i32_u32_e32 v8, v8
	v_min_u32_e32 v8, 32, v8
	s_delay_alu instid0(VALU_DEP_1) | instskip(NEXT) | instid1(VALU_DEP_1)
	v_subrev_nc_u32_e32 v19, 28, v8
	v_dual_cndmask_b32 v19, 0, v19 :: v_dual_sub_nc_u32 v8, 29, v8
	s_delay_alu instid0(VALU_DEP_1) | instskip(NEXT) | instid1(VALU_DEP_2)
	v_cndmask_b32_e32 v8, v20, v8, vcc_lo
	v_lshlrev_b64_e32 v[20:21], v19, v[14:15]
	s_delay_alu instid0(VALU_DEP_1) | instskip(NEXT) | instid1(VALU_DEP_3)
	v_dual_lshlrev_b32 v19, 20, v20 :: v_dual_lshlrev_b32 v20, 24, v14
	v_lshl_add_u32 v8, v8, 23, 0x3c000000
	s_delay_alu instid0(VALU_DEP_2) | instskip(NEXT) | instid1(VALU_DEP_3)
	v_and_b32_e32 v19, 0x700000, v19
	v_and_b32_e32 v20, 0x80000000, v20
	s_delay_alu instid0(VALU_DEP_1)
	v_or3_b32 v8, v19, v20, v8
.LBB6_2642:                             ;   in Loop: Header=BB6_128 Depth=2
	s_or_b32 exec_lo, exec_lo, s41
.LBB6_2643:                             ;   in Loop: Header=BB6_128 Depth=2
	s_delay_alu instid0(SALU_CYCLE_1)
	s_or_b32 exec_lo, exec_lo, s40
.LBB6_2644:                             ;   in Loop: Header=BB6_128 Depth=2
	s_delay_alu instid0(SALU_CYCLE_1) | instskip(NEXT) | instid1(VALU_DEP_1)
	s_or_b32 exec_lo, exec_lo, s10
	v_dual_add_f32 v18, v18, v8 :: v_dual_mov_b32 v21, v55
                                        ; implicit-def: $vgpr8
	s_mov_b32 s10, exec_lo
	s_delay_alu instid0(VALU_DEP_1) | instskip(SKIP_1) | instid1(VALU_DEP_2)
	v_and_b32_e32 v20, 0x7f800000, v18
	v_lshrrev_b32_e32 v19, 24, v18
	v_cmpx_ne_u64_e32 0x7f800000, v[20:21]
	s_xor_b32 s40, exec_lo, s10
	s_cbranch_execz .LBB6_2658
; %bb.2645:                             ;   in Loop: Header=BB6_128 Depth=2
	v_and_b32_e32 v20, 0x7fffffff, v18
	v_mov_b32_e32 v21, v55
	v_and_b32_e32 v22, 0x80, v19
                                        ; implicit-def: $vgpr8
	s_mov_b32 s10, exec_lo
	s_delay_alu instid0(VALU_DEP_2)
	v_cmpx_gt_u64_e32 0x43e00001, v[20:21]
	s_xor_b32 s41, exec_lo, s10
	s_cbranch_execz .LBB6_2655
; %bb.2646:                             ;   in Loop: Header=BB6_128 Depth=2
	v_mov_b32_e32 v8, 0
	s_mov_b32 s42, exec_lo
	v_cmpx_ne_u32_e32 0, v18
	s_cbranch_execz .LBB6_2654
; %bb.2647:                             ;   in Loop: Header=BB6_128 Depth=2
	v_bfe_u32 v8, v18, 23, 8
	v_and_b32_e32 v19, 0x7fffff, v18
	s_delay_alu instid0(VALU_DEP_2) | instskip(SKIP_2) | instid1(VALU_DEP_4)
	v_cmp_gt_u32_e64 s10, 0x7a, v8
	v_sub_nc_u32_e32 v18, 0x79, v8
	v_cmp_eq_u32_e32 vcc_lo, 0, v8
	v_or_b32_e32 v20, 0x800000, v19
	s_delay_alu instid0(VALU_DEP_3) | instskip(NEXT) | instid1(VALU_DEP_1)
	v_cndmask_b32_e64 v18, 0, v18, s10
	v_cndmask_b32_e64 v23, v18, 0x78, vcc_lo
	s_delay_alu instid0(VALU_DEP_3) | instskip(NEXT) | instid1(VALU_DEP_2)
	v_dual_cndmask_b32 v18, v20, v19 :: v_dual_mov_b32 v19, v55
	v_dual_add_nc_u32 v20, 20, v23 :: v_dual_add_nc_u32 v30, 19, v23
	s_delay_alu instid0(VALU_DEP_1) | instskip(NEXT) | instid1(VALU_DEP_2)
	v_lshlrev_b64_e64 v[20:21], v20, -1
	v_lshlrev_b64_e64 v[30:31], v30, 1
	s_delay_alu instid0(VALU_DEP_2) | instskip(SKIP_1) | instid1(VALU_DEP_4)
	v_bfi_b32 v20, v20, 0, v18
	v_lshrrev_b64 v[18:19], v23, v[18:19]
	v_bfi_b32 v21, v21, 0, 0
	s_delay_alu instid0(VALU_DEP_1) | instskip(NEXT) | instid1(VALU_DEP_3)
	v_cmp_eq_u64_e64 s10, v[20:21], v[30:31]
	v_mov_b64_e32 v[20:21], v[18:19]
	s_and_saveexec_b32 s43, s10
; %bb.2648:                             ;   in Loop: Header=BB6_128 Depth=2
	v_bfe_u32 v20, v18, 20, 1
	v_mov_b32_e32 v21, v55
	s_delay_alu instid0(VALU_DEP_1) | instskip(NEXT) | instid1(VALU_DEP_1)
	v_add_nc_u64_e32 v[20:21], v[18:19], v[20:21]
	v_add_nc_u64_e32 v[20:21], -1, v[20:21]
; %bb.2649:                             ;   in Loop: Header=BB6_128 Depth=2
	s_or_b32 exec_lo, exec_lo, s43
	v_add_nc_u32_e32 v8, 0xffffff81, v8
	v_lshrrev_b32_e32 v19, 23, v18
	s_mov_b32 s10, exec_lo
	s_delay_alu instid0(VALU_DEP_2) | instskip(NEXT) | instid1(VALU_DEP_1)
	v_cndmask_b32_e64 v8, v8, 0xffffff82, vcc_lo
	v_add3_u32 v21, v23, v8, v19
	v_and_b32_e32 v8, 0xfffff, v20
	s_delay_alu instid0(VALU_DEP_2) | instskip(NEXT) | instid1(VALU_DEP_2)
	v_dual_mov_b32 v19, v55 :: v_dual_add_nc_u32 v20, 6, v21
	v_add_nc_u32_e32 v18, v8, v18
                                        ; implicit-def: $vgpr8
	s_delay_alu instid0(VALU_DEP_2)
	v_cmpx_ne_u32_e32 0, v20
	s_xor_b32 s10, exec_lo, s10
; %bb.2650:                             ;   in Loop: Header=BB6_128 Depth=2
	s_delay_alu instid0(VALU_DEP_2) | instskip(SKIP_1) | instid1(VALU_DEP_1)
	v_cmp_lt_u64_e32 vcc_lo, 0xffffff, v[18:19]
	v_add_nc_u32_e32 v8, 7, v21
	v_cndmask_b32_e32 v8, v20, v8, vcc_lo
	v_cndmask_b32_e64 v20, 0, 1, vcc_lo
	s_delay_alu instid0(VALU_DEP_1)
	v_lshrrev_b64 v[18:19], v20, v[18:19]
; %bb.2651:                             ;   in Loop: Header=BB6_128 Depth=2
	s_and_not1_saveexec_b32 s10, s10
; %bb.2652:                             ;   in Loop: Header=BB6_128 Depth=2
	s_delay_alu instid0(VALU_DEP_1)
	v_bfe_u32 v8, v18, 23, 1
; %bb.2653:                             ;   in Loop: Header=BB6_128 Depth=2
	s_or_b32 exec_lo, exec_lo, s10
	s_delay_alu instid0(VALU_DEP_2) | instskip(NEXT) | instid1(VALU_DEP_2)
	v_lshrrev_b64 v[18:19], 20, v[18:19]
	v_cmp_gt_i32_e32 vcc_lo, 16, v8
	v_min_i32_e32 v20, 15, v8
	v_cmp_eq_u32_e64 s10, 0, v8
	s_delay_alu instid0(VALU_DEP_2) | instskip(SKIP_1) | instid1(VALU_DEP_2)
	v_dual_cndmask_b32 v19, 0, v19 :: v_dual_lshlrev_b32 v20, 3, v20
	v_cndmask_b32_e32 v18, 7, v18, vcc_lo
	v_and_b32_e32 v20, 0xf8, v20
	s_delay_alu instid0(VALU_DEP_2) | instskip(NEXT) | instid1(VALU_DEP_2)
	v_cmp_eq_u64_e32 vcc_lo, 0, v[18:19]
	v_and_or_b32 v8, v18, 7, v20
	s_and_b32 s10, s10, vcc_lo
	s_delay_alu instid0(VALU_DEP_1) | instid1(SALU_CYCLE_1)
	v_cndmask_b32_e64 v8, v8, 0, s10
	s_delay_alu instid0(VALU_DEP_1)
	v_or_b32_e32 v8, v8, v22
.LBB6_2654:                             ;   in Loop: Header=BB6_128 Depth=2
	s_or_b32 exec_lo, exec_lo, s42
                                        ; implicit-def: $vgpr22
.LBB6_2655:                             ;   in Loop: Header=BB6_128 Depth=2
	s_and_not1_saveexec_b32 s10, s41
; %bb.2656:                             ;   in Loop: Header=BB6_128 Depth=2
	v_or_b32_e32 v8, 0x7e, v22
; %bb.2657:                             ;   in Loop: Header=BB6_128 Depth=2
	s_or_b32 exec_lo, exec_lo, s10
                                        ; implicit-def: $vgpr19
.LBB6_2658:                             ;   in Loop: Header=BB6_128 Depth=2
	s_and_not1_saveexec_b32 s10, s40
; %bb.2659:                             ;   in Loop: Header=BB6_128 Depth=2
	v_or_b32_e32 v8, 0x7f, v19
; %bb.2660:                             ;   in Loop: Header=BB6_128 Depth=2
	s_or_b32 exec_lo, exec_lo, s10
	v_lshrrev_b16 v18, 8, v9
	v_dual_mov_b32 v20, 0 :: v_dual_mov_b32 v21, 0
	s_mov_b32 s10, exec_lo
	s_delay_alu instid0(VALU_DEP_2)
	v_cmpx_ne_u16_e32 0, v18
	s_cbranch_execz .LBB6_2668
; %bb.2661:                             ;   in Loop: Header=BB6_128 Depth=2
	v_bfrev_b32_e32 v21, 1
	s_mov_b32 s40, exec_lo
	v_cmpx_ne_u16_e32 0x80, v18
	s_cbranch_execz .LBB6_2667
; %bb.2662:                             ;   in Loop: Header=BB6_128 Depth=2
	v_and_b32_e32 v18, 0xffff, v18
	v_mov_b32_e32 v21, 0x7f800001
	s_mov_b32 s41, exec_lo
	s_delay_alu instid0(VALU_DEP_2) | instskip(NEXT) | instid1(VALU_DEP_1)
	v_and_b32_e32 v22, 0x7f, v18
	v_cmpx_ne_u32_e32 0x7f, v22
	s_cbranch_execz .LBB6_2666
; %bb.2663:                             ;   in Loop: Header=BB6_128 Depth=2
	v_dual_mov_b32 v19, v55 :: v_dual_bitop2_b32 v18, 7, v18 bitop3:0x40
	v_lshrrev_b32_e32 v21, 3, v22
	s_mov_b32 s42, exec_lo
	v_cmpx_gt_u32_e32 8, v22
; %bb.2664:                             ;   in Loop: Header=BB6_128 Depth=2
	s_delay_alu instid0(VALU_DEP_3) | instskip(NEXT) | instid1(VALU_DEP_1)
	v_clz_i32_u32_e32 v21, v18
	v_min_u32_e32 v21, 32, v21
	s_delay_alu instid0(VALU_DEP_1) | instskip(NEXT) | instid1(VALU_DEP_1)
	v_subrev_nc_u32_e32 v22, 28, v21
	v_lshlrev_b64_e32 v[18:19], v22, v[18:19]
	s_delay_alu instid0(VALU_DEP_1)
	v_dual_sub_nc_u32 v21, 29, v21 :: v_dual_bitop2_b32 v18, 7, v18 bitop3:0x40
; %bb.2665:                             ;   in Loop: Header=BB6_128 Depth=2
	s_or_b32 exec_lo, exec_lo, s42
	s_delay_alu instid0(VALU_DEP_1) | instskip(NEXT) | instid1(VALU_DEP_2)
	v_dual_lshlrev_b32 v9, 16, v9 :: v_dual_lshlrev_b32 v18, 20, v18
	v_lshl_add_u32 v19, v21, 23, 0x3c000000
	s_delay_alu instid0(VALU_DEP_2) | instskip(NEXT) | instid1(VALU_DEP_1)
	v_and_b32_e32 v9, 0x80000000, v9
	v_or3_b32 v21, v18, v9, v19
.LBB6_2666:                             ;   in Loop: Header=BB6_128 Depth=2
	s_or_b32 exec_lo, exec_lo, s41
.LBB6_2667:                             ;   in Loop: Header=BB6_128 Depth=2
	s_delay_alu instid0(SALU_CYCLE_1)
	s_or_b32 exec_lo, exec_lo, s40
.LBB6_2668:                             ;   in Loop: Header=BB6_128 Depth=2
	s_delay_alu instid0(SALU_CYCLE_1) | instskip(SKIP_2) | instid1(VALU_DEP_1)
	s_or_b32 exec_lo, exec_lo, s10
	v_lshrrev_b16 v9, 8, v14
	s_mov_b32 s10, exec_lo
	v_cmpx_ne_u16_e32 0, v9
	s_cbranch_execz .LBB6_2676
; %bb.2669:                             ;   in Loop: Header=BB6_128 Depth=2
	v_bfrev_b32_e32 v20, 1
	s_mov_b32 s40, exec_lo
	v_cmpx_ne_u16_e32 0x80, v9
	s_cbranch_execz .LBB6_2675
; %bb.2670:                             ;   in Loop: Header=BB6_128 Depth=2
	v_and_b32_e32 v9, 0xffff, v9
	v_mov_b32_e32 v20, 0x7f800001
	s_mov_b32 s41, exec_lo
	s_delay_alu instid0(VALU_DEP_2) | instskip(NEXT) | instid1(VALU_DEP_1)
	v_and_b32_e32 v22, 0x7f, v9
	v_cmpx_ne_u32_e32 0x7f, v22
	s_cbranch_execz .LBB6_2674
; %bb.2671:                             ;   in Loop: Header=BB6_128 Depth=2
	v_dual_mov_b32 v19, v55 :: v_dual_bitop2_b32 v18, 7, v9 bitop3:0x40
	v_lshrrev_b32_e32 v9, 3, v22
	s_mov_b32 s42, exec_lo
	v_cmpx_gt_u32_e32 8, v22
; %bb.2672:                             ;   in Loop: Header=BB6_128 Depth=2
	s_delay_alu instid0(VALU_DEP_3) | instskip(NEXT) | instid1(VALU_DEP_1)
	v_clz_i32_u32_e32 v9, v18
	v_min_u32_e32 v9, 32, v9
	s_delay_alu instid0(VALU_DEP_1) | instskip(NEXT) | instid1(VALU_DEP_1)
	v_subrev_nc_u32_e32 v20, 28, v9
	v_lshlrev_b64_e32 v[18:19], v20, v[18:19]
	s_delay_alu instid0(VALU_DEP_1)
	v_dual_sub_nc_u32 v9, 29, v9 :: v_dual_bitop2_b32 v18, 7, v18 bitop3:0x40
; %bb.2673:                             ;   in Loop: Header=BB6_128 Depth=2
	s_or_b32 exec_lo, exec_lo, s42
	v_lshlrev_b32_e32 v19, 16, v14
	s_delay_alu instid0(VALU_DEP_2) | instskip(NEXT) | instid1(VALU_DEP_3)
	v_lshlrev_b32_e32 v18, 20, v18
	v_lshl_add_u32 v9, v9, 23, 0x3c000000
	s_delay_alu instid0(VALU_DEP_3) | instskip(NEXT) | instid1(VALU_DEP_1)
	v_and_b32_e32 v19, 0x80000000, v19
	v_or3_b32 v20, v18, v19, v9
.LBB6_2674:                             ;   in Loop: Header=BB6_128 Depth=2
	s_or_b32 exec_lo, exec_lo, s41
.LBB6_2675:                             ;   in Loop: Header=BB6_128 Depth=2
	s_delay_alu instid0(SALU_CYCLE_1)
	s_or_b32 exec_lo, exec_lo, s40
.LBB6_2676:                             ;   in Loop: Header=BB6_128 Depth=2
	s_delay_alu instid0(SALU_CYCLE_1) | instskip(NEXT) | instid1(VALU_DEP_1)
	s_or_b32 exec_lo, exec_lo, s10
	v_dual_add_f32 v18, v21, v20 :: v_dual_mov_b32 v21, v55
                                        ; implicit-def: $vgpr9
	s_mov_b32 s10, exec_lo
	s_delay_alu instid0(VALU_DEP_1) | instskip(SKIP_1) | instid1(VALU_DEP_2)
	v_and_b32_e32 v20, 0x7f800000, v18
	v_lshrrev_b32_e32 v19, 24, v18
	v_cmpx_ne_u64_e32 0x7f800000, v[20:21]
	s_xor_b32 s40, exec_lo, s10
	s_cbranch_execz .LBB6_2690
; %bb.2677:                             ;   in Loop: Header=BB6_128 Depth=2
	v_and_b32_e32 v20, 0x7fffffff, v18
	v_mov_b32_e32 v21, v55
	v_and_b32_e32 v22, 0x80, v19
                                        ; implicit-def: $vgpr9
	s_mov_b32 s10, exec_lo
	s_delay_alu instid0(VALU_DEP_2)
	v_cmpx_gt_u64_e32 0x43e00001, v[20:21]
	s_xor_b32 s41, exec_lo, s10
	s_cbranch_execz .LBB6_2687
; %bb.2678:                             ;   in Loop: Header=BB6_128 Depth=2
	v_mov_b32_e32 v9, 0
	s_mov_b32 s42, exec_lo
	v_cmpx_ne_u32_e32 0, v18
	s_cbranch_execz .LBB6_2686
; %bb.2679:                             ;   in Loop: Header=BB6_128 Depth=2
	v_bfe_u32 v9, v18, 23, 8
	v_and_b32_e32 v19, 0x7fffff, v18
	s_delay_alu instid0(VALU_DEP_2) | instskip(SKIP_2) | instid1(VALU_DEP_4)
	v_cmp_gt_u32_e64 s10, 0x7a, v9
	v_sub_nc_u32_e32 v18, 0x79, v9
	v_cmp_eq_u32_e32 vcc_lo, 0, v9
	v_or_b32_e32 v20, 0x800000, v19
	s_delay_alu instid0(VALU_DEP_3) | instskip(NEXT) | instid1(VALU_DEP_1)
	v_cndmask_b32_e64 v18, 0, v18, s10
	v_cndmask_b32_e64 v23, v18, 0x78, vcc_lo
	s_delay_alu instid0(VALU_DEP_3) | instskip(NEXT) | instid1(VALU_DEP_2)
	v_dual_cndmask_b32 v18, v20, v19 :: v_dual_mov_b32 v19, v55
	v_dual_add_nc_u32 v20, 20, v23 :: v_dual_add_nc_u32 v30, 19, v23
	s_delay_alu instid0(VALU_DEP_1) | instskip(NEXT) | instid1(VALU_DEP_2)
	v_lshlrev_b64_e64 v[20:21], v20, -1
	v_lshlrev_b64_e64 v[30:31], v30, 1
	s_delay_alu instid0(VALU_DEP_2) | instskip(SKIP_1) | instid1(VALU_DEP_4)
	v_bfi_b32 v20, v20, 0, v18
	v_lshrrev_b64 v[18:19], v23, v[18:19]
	v_bfi_b32 v21, v21, 0, 0
	s_delay_alu instid0(VALU_DEP_1) | instskip(NEXT) | instid1(VALU_DEP_3)
	v_cmp_eq_u64_e64 s10, v[20:21], v[30:31]
	v_mov_b64_e32 v[20:21], v[18:19]
	s_and_saveexec_b32 s43, s10
; %bb.2680:                             ;   in Loop: Header=BB6_128 Depth=2
	v_bfe_u32 v20, v18, 20, 1
	v_mov_b32_e32 v21, v55
	s_delay_alu instid0(VALU_DEP_1) | instskip(NEXT) | instid1(VALU_DEP_1)
	v_add_nc_u64_e32 v[20:21], v[18:19], v[20:21]
	v_add_nc_u64_e32 v[20:21], -1, v[20:21]
; %bb.2681:                             ;   in Loop: Header=BB6_128 Depth=2
	s_or_b32 exec_lo, exec_lo, s43
	v_add_nc_u32_e32 v9, 0xffffff81, v9
	v_lshrrev_b32_e32 v19, 23, v18
	s_mov_b32 s10, exec_lo
	s_delay_alu instid0(VALU_DEP_2) | instskip(NEXT) | instid1(VALU_DEP_1)
	v_cndmask_b32_e64 v9, v9, 0xffffff82, vcc_lo
	v_add3_u32 v21, v23, v9, v19
	v_and_b32_e32 v9, 0xfffff, v20
	s_delay_alu instid0(VALU_DEP_2) | instskip(NEXT) | instid1(VALU_DEP_2)
	v_dual_mov_b32 v19, v55 :: v_dual_add_nc_u32 v20, 6, v21
	v_add_nc_u32_e32 v18, v9, v18
                                        ; implicit-def: $vgpr9
	s_delay_alu instid0(VALU_DEP_2)
	v_cmpx_ne_u32_e32 0, v20
	s_xor_b32 s10, exec_lo, s10
; %bb.2682:                             ;   in Loop: Header=BB6_128 Depth=2
	s_delay_alu instid0(VALU_DEP_2) | instskip(SKIP_1) | instid1(VALU_DEP_1)
	v_cmp_lt_u64_e32 vcc_lo, 0xffffff, v[18:19]
	v_add_nc_u32_e32 v9, 7, v21
	v_cndmask_b32_e32 v9, v20, v9, vcc_lo
	v_cndmask_b32_e64 v20, 0, 1, vcc_lo
	s_delay_alu instid0(VALU_DEP_1)
	v_lshrrev_b64 v[18:19], v20, v[18:19]
; %bb.2683:                             ;   in Loop: Header=BB6_128 Depth=2
	s_and_not1_saveexec_b32 s10, s10
; %bb.2684:                             ;   in Loop: Header=BB6_128 Depth=2
	s_delay_alu instid0(VALU_DEP_1)
	v_bfe_u32 v9, v18, 23, 1
; %bb.2685:                             ;   in Loop: Header=BB6_128 Depth=2
	s_or_b32 exec_lo, exec_lo, s10
	s_delay_alu instid0(VALU_DEP_2) | instskip(NEXT) | instid1(VALU_DEP_2)
	v_lshrrev_b64 v[18:19], 20, v[18:19]
	v_cmp_gt_i32_e32 vcc_lo, 16, v9
	v_min_i32_e32 v20, 15, v9
	v_cmp_eq_u32_e64 s10, 0, v9
	s_delay_alu instid0(VALU_DEP_2) | instskip(SKIP_1) | instid1(VALU_DEP_2)
	v_dual_cndmask_b32 v19, 0, v19 :: v_dual_lshlrev_b32 v20, 3, v20
	v_cndmask_b32_e32 v18, 7, v18, vcc_lo
	v_and_b32_e32 v20, 0xf8, v20
	s_delay_alu instid0(VALU_DEP_2) | instskip(NEXT) | instid1(VALU_DEP_2)
	v_cmp_eq_u64_e32 vcc_lo, 0, v[18:19]
	v_and_or_b32 v9, v18, 7, v20
	s_and_b32 s10, s10, vcc_lo
	s_delay_alu instid0(VALU_DEP_1) | instid1(SALU_CYCLE_1)
	v_cndmask_b32_e64 v9, v9, 0, s10
	s_delay_alu instid0(VALU_DEP_1)
	v_or_b32_e32 v9, v9, v22
.LBB6_2686:                             ;   in Loop: Header=BB6_128 Depth=2
	s_or_b32 exec_lo, exec_lo, s42
                                        ; implicit-def: $vgpr22
.LBB6_2687:                             ;   in Loop: Header=BB6_128 Depth=2
	s_and_not1_saveexec_b32 s10, s41
; %bb.2688:                             ;   in Loop: Header=BB6_128 Depth=2
	v_or_b32_e32 v9, 0x7e, v22
; %bb.2689:                             ;   in Loop: Header=BB6_128 Depth=2
	s_or_b32 exec_lo, exec_lo, s10
                                        ; implicit-def: $vgpr19
.LBB6_2690:                             ;   in Loop: Header=BB6_128 Depth=2
	s_and_not1_saveexec_b32 s10, s40
; %bb.2691:                             ;   in Loop: Header=BB6_128 Depth=2
	v_or_b32_e32 v9, 0x7f, v19
; %bb.2692:                             ;   in Loop: Header=BB6_128 Depth=2
	s_or_b32 exec_lo, exec_lo, s10
	v_dual_lshrrev_b32 v22, 16, v54 :: v_dual_mov_b32 v20, 0
	v_mov_b32_e32 v21, 0
	s_mov_b32 s10, exec_lo
	s_delay_alu instid0(VALU_DEP_2) | instskip(NEXT) | instid1(VALU_DEP_1)
	v_and_b32_e32 v18, 0xff, v22
	v_cmpx_ne_u16_e32 0, v18
	s_cbranch_execz .LBB6_2700
; %bb.2693:                             ;   in Loop: Header=BB6_128 Depth=2
	v_bfrev_b32_e32 v21, 1
	s_mov_b32 s40, exec_lo
	v_cmpx_ne_u16_e32 0x80, v18
	s_cbranch_execz .LBB6_2699
; %bb.2694:                             ;   in Loop: Header=BB6_128 Depth=2
	v_bfe_u32 v23, v54, 16, 7
	v_mov_b32_e32 v21, 0x7f800001
	s_mov_b32 s41, exec_lo
	s_delay_alu instid0(VALU_DEP_2)
	v_cmpx_ne_u32_e32 0x7f, v23
	s_cbranch_execz .LBB6_2698
; %bb.2695:                             ;   in Loop: Header=BB6_128 Depth=2
	v_dual_mov_b32 v19, v55 :: v_dual_bitop2_b32 v18, 7, v22 bitop3:0x40
	v_lshrrev_b32_e32 v21, 3, v23
	s_mov_b32 s42, exec_lo
	v_cmpx_gt_u32_e32 8, v23
; %bb.2696:                             ;   in Loop: Header=BB6_128 Depth=2
	s_delay_alu instid0(VALU_DEP_3) | instskip(NEXT) | instid1(VALU_DEP_1)
	v_clz_i32_u32_e32 v21, v18
	v_min_u32_e32 v21, 32, v21
	s_delay_alu instid0(VALU_DEP_1) | instskip(NEXT) | instid1(VALU_DEP_1)
	v_subrev_nc_u32_e32 v23, 28, v21
	v_lshlrev_b64_e32 v[18:19], v23, v[18:19]
	s_delay_alu instid0(VALU_DEP_1)
	v_dual_sub_nc_u32 v21, 29, v21 :: v_dual_bitop2_b32 v18, 7, v18 bitop3:0x40
; %bb.2697:                             ;   in Loop: Header=BB6_128 Depth=2
	s_or_b32 exec_lo, exec_lo, s42
	v_lshlrev_b32_e32 v19, 24, v22
	s_delay_alu instid0(VALU_DEP_2) | instskip(NEXT) | instid1(VALU_DEP_3)
	v_lshlrev_b32_e32 v18, 20, v18
	v_lshl_add_u32 v21, v21, 23, 0x3c000000
	s_delay_alu instid0(VALU_DEP_3) | instskip(NEXT) | instid1(VALU_DEP_1)
	v_and_b32_e32 v19, 0x80000000, v19
	v_or3_b32 v21, v18, v19, v21
.LBB6_2698:                             ;   in Loop: Header=BB6_128 Depth=2
	s_or_b32 exec_lo, exec_lo, s41
.LBB6_2699:                             ;   in Loop: Header=BB6_128 Depth=2
	s_delay_alu instid0(SALU_CYCLE_1)
	s_or_b32 exec_lo, exec_lo, s40
.LBB6_2700:                             ;   in Loop: Header=BB6_128 Depth=2
	s_delay_alu instid0(SALU_CYCLE_1) | instskip(SKIP_2) | instid1(VALU_DEP_1)
	s_or_b32 exec_lo, exec_lo, s10
	v_lshrrev_b32_e32 v18, 16, v14
	s_mov_b32 s10, exec_lo
	v_and_b32_e32 v19, 0xff, v18
	s_delay_alu instid0(VALU_DEP_1)
	v_cmpx_ne_u16_e32 0, v19
	s_cbranch_execz .LBB6_2708
; %bb.2701:                             ;   in Loop: Header=BB6_128 Depth=2
	v_bfrev_b32_e32 v20, 1
	s_mov_b32 s40, exec_lo
	v_cmpx_ne_u16_e32 0x80, v19
	s_cbranch_execz .LBB6_2707
; %bb.2702:                             ;   in Loop: Header=BB6_128 Depth=2
	v_bfe_u32 v22, v14, 16, 7
	v_mov_b32_e32 v20, 0x7f800001
	s_mov_b32 s41, exec_lo
	s_delay_alu instid0(VALU_DEP_2)
	v_cmpx_ne_u32_e32 0x7f, v22
	s_cbranch_execz .LBB6_2706
; %bb.2703:                             ;   in Loop: Header=BB6_128 Depth=2
	v_dual_mov_b32 v19, v55 :: v_dual_bitop2_b32 v18, 7, v18 bitop3:0x40
	v_lshrrev_b32_e32 v20, 3, v22
	s_mov_b32 s42, exec_lo
	v_cmpx_gt_u32_e32 8, v22
; %bb.2704:                             ;   in Loop: Header=BB6_128 Depth=2
	s_delay_alu instid0(VALU_DEP_3) | instskip(NEXT) | instid1(VALU_DEP_1)
	v_clz_i32_u32_e32 v20, v18
	v_min_u32_e32 v20, 32, v20
	s_delay_alu instid0(VALU_DEP_1) | instskip(NEXT) | instid1(VALU_DEP_1)
	v_subrev_nc_u32_e32 v22, 28, v20
	v_lshlrev_b64_e32 v[18:19], v22, v[18:19]
	s_delay_alu instid0(VALU_DEP_1)
	v_dual_sub_nc_u32 v20, 29, v20 :: v_dual_bitop2_b32 v18, 7, v18 bitop3:0x40
; %bb.2705:                             ;   in Loop: Header=BB6_128 Depth=2
	s_or_b32 exec_lo, exec_lo, s42
	v_lshlrev_b32_e32 v19, 8, v14
	s_delay_alu instid0(VALU_DEP_2) | instskip(NEXT) | instid1(VALU_DEP_3)
	v_lshlrev_b32_e32 v18, 20, v18
	v_lshl_add_u32 v20, v20, 23, 0x3c000000
	s_delay_alu instid0(VALU_DEP_3) | instskip(NEXT) | instid1(VALU_DEP_1)
	v_and_b32_e32 v19, 0x80000000, v19
	v_or3_b32 v20, v18, v19, v20
.LBB6_2706:                             ;   in Loop: Header=BB6_128 Depth=2
	s_or_b32 exec_lo, exec_lo, s41
.LBB6_2707:                             ;   in Loop: Header=BB6_128 Depth=2
	s_delay_alu instid0(SALU_CYCLE_1)
	s_or_b32 exec_lo, exec_lo, s40
.LBB6_2708:                             ;   in Loop: Header=BB6_128 Depth=2
	s_delay_alu instid0(SALU_CYCLE_1) | instskip(NEXT) | instid1(VALU_DEP_1)
	s_or_b32 exec_lo, exec_lo, s10
	v_dual_add_f32 v18, v21, v20 :: v_dual_mov_b32 v21, v55
                                        ; implicit-def: $vgpr22
	s_mov_b32 s10, exec_lo
	s_delay_alu instid0(VALU_DEP_1) | instskip(SKIP_1) | instid1(VALU_DEP_2)
	v_and_b32_e32 v20, 0x7f800000, v18
	v_lshrrev_b32_e32 v19, 24, v18
	v_cmpx_ne_u64_e32 0x7f800000, v[20:21]
	s_xor_b32 s40, exec_lo, s10
	s_cbranch_execz .LBB6_2722
; %bb.2709:                             ;   in Loop: Header=BB6_128 Depth=2
	v_and_b32_e32 v20, 0x7fffffff, v18
	v_mov_b32_e32 v21, v55
	v_and_b32_e32 v23, 0x80, v19
                                        ; implicit-def: $vgpr22
	s_mov_b32 s10, exec_lo
	s_delay_alu instid0(VALU_DEP_2)
	v_cmpx_gt_u64_e32 0x43e00001, v[20:21]
	s_xor_b32 s41, exec_lo, s10
	s_cbranch_execz .LBB6_2719
; %bb.2710:                             ;   in Loop: Header=BB6_128 Depth=2
	v_mov_b32_e32 v22, 0
	s_mov_b32 s42, exec_lo
	v_cmpx_ne_u32_e32 0, v18
	s_cbranch_execz .LBB6_2718
; %bb.2711:                             ;   in Loop: Header=BB6_128 Depth=2
	v_bfe_u32 v22, v18, 23, 8
	v_and_b32_e32 v19, 0x7fffff, v18
	s_delay_alu instid0(VALU_DEP_2) | instskip(SKIP_2) | instid1(VALU_DEP_4)
	v_cmp_gt_u32_e64 s10, 0x7a, v22
	v_sub_nc_u32_e32 v18, 0x79, v22
	v_cmp_eq_u32_e32 vcc_lo, 0, v22
	v_or_b32_e32 v20, 0x800000, v19
	s_delay_alu instid0(VALU_DEP_3) | instskip(NEXT) | instid1(VALU_DEP_1)
	v_cndmask_b32_e64 v18, 0, v18, s10
	v_cndmask_b32_e64 v30, v18, 0x78, vcc_lo
	s_delay_alu instid0(VALU_DEP_3) | instskip(NEXT) | instid1(VALU_DEP_2)
	v_dual_cndmask_b32 v18, v20, v19 :: v_dual_mov_b32 v19, v55
	v_dual_add_nc_u32 v20, 20, v30 :: v_dual_add_nc_u32 v31, 19, v30
	s_delay_alu instid0(VALU_DEP_1) | instskip(NEXT) | instid1(VALU_DEP_2)
	v_lshlrev_b64_e64 v[20:21], v20, -1
	v_lshlrev_b64_e64 v[50:51], v31, 1
	s_delay_alu instid0(VALU_DEP_2) | instskip(SKIP_1) | instid1(VALU_DEP_4)
	v_bfi_b32 v20, v20, 0, v18
	v_lshrrev_b64 v[18:19], v30, v[18:19]
	v_bfi_b32 v21, v21, 0, 0
	s_delay_alu instid0(VALU_DEP_1) | instskip(NEXT) | instid1(VALU_DEP_3)
	v_cmp_eq_u64_e64 s10, v[20:21], v[50:51]
	v_mov_b64_e32 v[20:21], v[18:19]
	s_and_saveexec_b32 s43, s10
; %bb.2712:                             ;   in Loop: Header=BB6_128 Depth=2
	v_bfe_u32 v20, v18, 20, 1
	v_mov_b32_e32 v21, v55
	s_delay_alu instid0(VALU_DEP_1) | instskip(NEXT) | instid1(VALU_DEP_1)
	v_add_nc_u64_e32 v[20:21], v[18:19], v[20:21]
	v_add_nc_u64_e32 v[20:21], -1, v[20:21]
; %bb.2713:                             ;   in Loop: Header=BB6_128 Depth=2
	s_or_b32 exec_lo, exec_lo, s43
	v_add_nc_u32_e32 v19, 0xffffff81, v22
	v_lshrrev_b32_e32 v21, 23, v18
	s_mov_b32 s10, exec_lo
	s_delay_alu instid0(VALU_DEP_2) | instskip(NEXT) | instid1(VALU_DEP_1)
	v_cndmask_b32_e64 v19, v19, 0xffffff82, vcc_lo
	v_add3_u32 v22, v30, v19, v21
	v_and_b32_e32 v19, 0xfffff, v20
                                        ; implicit-def: $vgpr20
	s_delay_alu instid0(VALU_DEP_2) | instskip(NEXT) | instid1(VALU_DEP_2)
	v_add_nc_u32_e32 v21, 6, v22
	v_add_nc_u32_e32 v18, v19, v18
	v_mov_b32_e32 v19, v55
	s_delay_alu instid0(VALU_DEP_3)
	v_cmpx_ne_u32_e32 0, v21
	s_xor_b32 s10, exec_lo, s10
; %bb.2714:                             ;   in Loop: Header=BB6_128 Depth=2
	s_delay_alu instid0(VALU_DEP_2) | instskip(SKIP_1) | instid1(VALU_DEP_1)
	v_cmp_lt_u64_e32 vcc_lo, 0xffffff, v[18:19]
	v_add_nc_u32_e32 v20, 7, v22
	v_cndmask_b32_e32 v20, v21, v20, vcc_lo
	v_cndmask_b32_e64 v21, 0, 1, vcc_lo
	s_delay_alu instid0(VALU_DEP_1)
	v_lshrrev_b64 v[18:19], v21, v[18:19]
; %bb.2715:                             ;   in Loop: Header=BB6_128 Depth=2
	s_and_not1_saveexec_b32 s10, s10
; %bb.2716:                             ;   in Loop: Header=BB6_128 Depth=2
	s_delay_alu instid0(VALU_DEP_1)
	v_bfe_u32 v20, v18, 23, 1
; %bb.2717:                             ;   in Loop: Header=BB6_128 Depth=2
	s_or_b32 exec_lo, exec_lo, s10
	s_delay_alu instid0(VALU_DEP_2) | instskip(NEXT) | instid1(VALU_DEP_2)
	v_lshrrev_b64 v[18:19], 20, v[18:19]
	v_cmp_gt_i32_e32 vcc_lo, 16, v20
	v_min_i32_e32 v21, 15, v20
	v_cmp_eq_u32_e64 s10, 0, v20
	s_delay_alu instid0(VALU_DEP_2) | instskip(SKIP_1) | instid1(VALU_DEP_2)
	v_dual_cndmask_b32 v19, 0, v19, vcc_lo :: v_dual_lshlrev_b32 v21, 3, v21
	v_cndmask_b32_e32 v18, 7, v18, vcc_lo
	v_and_b32_e32 v21, 0xf8, v21
	s_delay_alu instid0(VALU_DEP_2) | instskip(NEXT) | instid1(VALU_DEP_2)
	v_cmp_eq_u64_e32 vcc_lo, 0, v[18:19]
	v_and_or_b32 v18, v18, 7, v21
	s_and_b32 s10, s10, vcc_lo
	s_delay_alu instid0(VALU_DEP_1) | instid1(SALU_CYCLE_1)
	v_cndmask_b32_e64 v18, v18, 0, s10
	s_delay_alu instid0(VALU_DEP_1)
	v_or_b32_e32 v22, v18, v23
.LBB6_2718:                             ;   in Loop: Header=BB6_128 Depth=2
	s_or_b32 exec_lo, exec_lo, s42
                                        ; implicit-def: $vgpr23
.LBB6_2719:                             ;   in Loop: Header=BB6_128 Depth=2
	s_and_not1_saveexec_b32 s10, s41
; %bb.2720:                             ;   in Loop: Header=BB6_128 Depth=2
	v_or_b32_e32 v22, 0x7e, v23
; %bb.2721:                             ;   in Loop: Header=BB6_128 Depth=2
	s_or_b32 exec_lo, exec_lo, s10
                                        ; implicit-def: $vgpr19
.LBB6_2722:                             ;   in Loop: Header=BB6_128 Depth=2
	s_and_not1_saveexec_b32 s10, s40
; %bb.2723:                             ;   in Loop: Header=BB6_128 Depth=2
	v_or_b32_e32 v22, 0x7f, v19
; %bb.2724:                             ;   in Loop: Header=BB6_128 Depth=2
	s_or_b32 exec_lo, exec_lo, s10
	v_dual_mov_b32 v20, 0 :: v_dual_mov_b32 v21, 0
	s_mov_b32 s10, exec_lo
	v_cmpx_lt_u32_e32 0xffffff, v54
	s_cbranch_execz .LBB6_2732
; %bb.2725:                             ;   in Loop: Header=BB6_128 Depth=2
	v_lshrrev_b32_e32 v23, 24, v54
	v_bfrev_b32_e32 v21, 1
	s_mov_b32 s40, exec_lo
	s_delay_alu instid0(VALU_DEP_2)
	v_cmpx_ne_u32_e32 0x80, v23
	s_cbranch_execz .LBB6_2731
; %bb.2726:                             ;   in Loop: Header=BB6_128 Depth=2
	v_bfe_u32 v18, v54, 24, 7
	v_mov_b32_e32 v21, 0x7f800001
	s_mov_b32 s41, exec_lo
	s_delay_alu instid0(VALU_DEP_2)
	v_cmpx_ne_u32_e32 0x7f, v18
	s_cbranch_execz .LBB6_2730
; %bb.2727:                             ;   in Loop: Header=BB6_128 Depth=2
	v_dual_lshrrev_b32 v21, 3, v18 :: v_dual_bitop2_b32 v54, 7, v23 bitop3:0x40
	v_cmp_gt_u32_e32 vcc_lo, 8, v18
	s_delay_alu instid0(VALU_DEP_2)
	v_mov_b64_e32 v[18:19], v[54:55]
	s_and_saveexec_b32 s42, vcc_lo
; %bb.2728:                             ;   in Loop: Header=BB6_128 Depth=2
	v_clz_i32_u32_e32 v18, v54
	s_delay_alu instid0(VALU_DEP_1) | instskip(NEXT) | instid1(VALU_DEP_1)
	v_min_u32_e32 v21, 32, v18
	v_subrev_nc_u32_e32 v18, 28, v21
	s_delay_alu instid0(VALU_DEP_1) | instskip(NEXT) | instid1(VALU_DEP_1)
	v_lshlrev_b64_e32 v[18:19], v18, v[54:55]
	v_dual_sub_nc_u32 v21, 29, v21 :: v_dual_bitop2_b32 v18, 7, v18 bitop3:0x40
; %bb.2729:                             ;   in Loop: Header=BB6_128 Depth=2
	s_or_b32 exec_lo, exec_lo, s42
	s_delay_alu instid0(VALU_DEP_1) | instskip(NEXT) | instid1(VALU_DEP_2)
	v_dual_lshlrev_b32 v19, 24, v23 :: v_dual_lshlrev_b32 v18, 20, v18
	v_lshl_add_u32 v21, v21, 23, 0x3c000000
	s_delay_alu instid0(VALU_DEP_2) | instskip(NEXT) | instid1(VALU_DEP_1)
	v_and_b32_e32 v19, 0x80000000, v19
	v_or3_b32 v21, v18, v19, v21
.LBB6_2730:                             ;   in Loop: Header=BB6_128 Depth=2
	s_or_b32 exec_lo, exec_lo, s41
.LBB6_2731:                             ;   in Loop: Header=BB6_128 Depth=2
	s_delay_alu instid0(SALU_CYCLE_1)
	s_or_b32 exec_lo, exec_lo, s40
.LBB6_2732:                             ;   in Loop: Header=BB6_128 Depth=2
	s_delay_alu instid0(SALU_CYCLE_1) | instskip(NEXT) | instid1(SALU_CYCLE_1)
	s_or_b32 exec_lo, exec_lo, s10
	s_mov_b32 s10, exec_lo
	v_cmpx_lt_u32_e32 0xffffff, v14
	s_cbranch_execz .LBB6_2740
; %bb.2733:                             ;   in Loop: Header=BB6_128 Depth=2
	v_lshrrev_b32_e32 v23, 24, v14
	v_bfrev_b32_e32 v20, 1
	s_mov_b32 s40, exec_lo
	s_delay_alu instid0(VALU_DEP_2)
	v_cmpx_ne_u32_e32 0x80, v23
	s_cbranch_execz .LBB6_2739
; %bb.2734:                             ;   in Loop: Header=BB6_128 Depth=2
	v_bfe_u32 v18, v14, 24, 7
	v_mov_b32_e32 v20, 0x7f800001
	s_mov_b32 s41, exec_lo
	s_delay_alu instid0(VALU_DEP_2)
	v_cmpx_ne_u32_e32 0x7f, v18
	s_cbranch_execz .LBB6_2738
; %bb.2735:                             ;   in Loop: Header=BB6_128 Depth=2
	v_dual_lshrrev_b32 v20, 3, v18 :: v_dual_bitop2_b32 v54, 7, v23 bitop3:0x40
	v_cmp_gt_u32_e32 vcc_lo, 8, v18
	s_delay_alu instid0(VALU_DEP_2)
	v_mov_b64_e32 v[18:19], v[54:55]
	s_and_saveexec_b32 s42, vcc_lo
; %bb.2736:                             ;   in Loop: Header=BB6_128 Depth=2
	v_clz_i32_u32_e32 v18, v54
	s_delay_alu instid0(VALU_DEP_1) | instskip(NEXT) | instid1(VALU_DEP_1)
	v_min_u32_e32 v20, 32, v18
	v_subrev_nc_u32_e32 v18, 28, v20
	s_delay_alu instid0(VALU_DEP_1) | instskip(NEXT) | instid1(VALU_DEP_1)
	v_lshlrev_b64_e32 v[18:19], v18, v[54:55]
	v_dual_sub_nc_u32 v20, 29, v20 :: v_dual_bitop2_b32 v18, 7, v18 bitop3:0x40
; %bb.2737:                             ;   in Loop: Header=BB6_128 Depth=2
	s_or_b32 exec_lo, exec_lo, s42
	s_delay_alu instid0(VALU_DEP_1) | instskip(NEXT) | instid1(VALU_DEP_2)
	v_dual_lshlrev_b32 v19, 24, v23 :: v_dual_lshlrev_b32 v18, 20, v18
	v_lshl_add_u32 v20, v20, 23, 0x3c000000
	s_delay_alu instid0(VALU_DEP_2) | instskip(NEXT) | instid1(VALU_DEP_1)
	v_and_b32_e32 v19, 0x80000000, v19
	v_or3_b32 v20, v18, v19, v20
.LBB6_2738:                             ;   in Loop: Header=BB6_128 Depth=2
	s_or_b32 exec_lo, exec_lo, s41
.LBB6_2739:                             ;   in Loop: Header=BB6_128 Depth=2
	s_delay_alu instid0(SALU_CYCLE_1)
	s_or_b32 exec_lo, exec_lo, s40
.LBB6_2740:                             ;   in Loop: Header=BB6_128 Depth=2
	s_delay_alu instid0(SALU_CYCLE_1) | instskip(NEXT) | instid1(VALU_DEP_1)
	s_or_b32 exec_lo, exec_lo, s10
	v_add_f32_e32 v18, v21, v20
                                        ; implicit-def: $vgpr23
	s_mov_b32 s10, exec_lo
	s_delay_alu instid0(VALU_DEP_1) | instskip(SKIP_1) | instid1(VALU_DEP_2)
	v_and_b32_e32 v54, 0x7f800000, v18
	v_lshrrev_b32_e32 v19, 24, v18
	v_cmpx_ne_u64_e32 0x7f800000, v[54:55]
	s_xor_b32 s40, exec_lo, s10
	s_cbranch_execz .LBB6_2754
; %bb.2741:                             ;   in Loop: Header=BB6_128 Depth=2
	v_and_b32_e32 v54, 0x7fffffff, v18
	v_and_b32_e32 v30, 0x80, v19
                                        ; implicit-def: $vgpr23
	s_mov_b32 s10, exec_lo
	s_delay_alu instid0(VALU_DEP_2)
	v_cmpx_gt_u64_e32 0x43e00001, v[54:55]
	s_xor_b32 s41, exec_lo, s10
	s_cbranch_execz .LBB6_2751
; %bb.2742:                             ;   in Loop: Header=BB6_128 Depth=2
	v_mov_b32_e32 v23, 0
	s_mov_b32 s42, exec_lo
	v_cmpx_ne_u32_e32 0, v18
	s_cbranch_execz .LBB6_2750
; %bb.2743:                             ;   in Loop: Header=BB6_128 Depth=2
	v_bfe_u32 v23, v18, 23, 8
	v_and_b32_e32 v19, 0x7fffff, v18
	s_delay_alu instid0(VALU_DEP_2) | instskip(SKIP_2) | instid1(VALU_DEP_4)
	v_cmp_gt_u32_e64 s10, 0x7a, v23
	v_sub_nc_u32_e32 v18, 0x79, v23
	v_cmp_eq_u32_e32 vcc_lo, 0, v23
	v_or_b32_e32 v20, 0x800000, v19
	s_delay_alu instid0(VALU_DEP_1) | instskip(NEXT) | instid1(VALU_DEP_1)
	v_dual_cndmask_b32 v18, 0, v18, s10 :: v_dual_cndmask_b32 v54, v20, v19, vcc_lo
	v_cndmask_b32_e64 v31, v18, 0x78, vcc_lo
	s_delay_alu instid0(VALU_DEP_1) | instskip(NEXT) | instid1(VALU_DEP_1)
	v_dual_add_nc_u32 v18, 20, v31 :: v_dual_add_nc_u32 v20, 19, v31
	v_lshlrev_b64_e64 v[18:19], v18, -1
	s_delay_alu instid0(VALU_DEP_2) | instskip(NEXT) | instid1(VALU_DEP_2)
	v_lshlrev_b64_e64 v[20:21], v20, 1
	v_bfi_b32 v19, v19, 0, 0
	s_delay_alu instid0(VALU_DEP_3) | instskip(NEXT) | instid1(VALU_DEP_1)
	v_bfi_b32 v18, v18, 0, v54
	v_cmp_eq_u64_e64 s10, v[18:19], v[20:21]
	v_lshrrev_b64 v[18:19], v31, v[54:55]
	s_delay_alu instid0(VALU_DEP_1)
	v_mov_b64_e32 v[20:21], v[18:19]
	s_and_saveexec_b32 s43, s10
; %bb.2744:                             ;   in Loop: Header=BB6_128 Depth=2
	v_bfe_u32 v54, v18, 20, 1
	s_delay_alu instid0(VALU_DEP_1) | instskip(NEXT) | instid1(VALU_DEP_1)
	v_add_nc_u64_e32 v[20:21], v[18:19], v[54:55]
	v_add_nc_u64_e32 v[20:21], -1, v[20:21]
; %bb.2745:                             ;   in Loop: Header=BB6_128 Depth=2
	s_or_b32 exec_lo, exec_lo, s43
	v_add_nc_u32_e32 v19, 0xffffff81, v23
	v_lshrrev_b32_e32 v21, 23, v18
	s_mov_b32 s10, exec_lo
	s_delay_alu instid0(VALU_DEP_2) | instskip(NEXT) | instid1(VALU_DEP_1)
	v_cndmask_b32_e64 v19, v19, 0xffffff82, vcc_lo
	v_add3_u32 v23, v31, v19, v21
	v_and_b32_e32 v19, 0xfffff, v20
                                        ; implicit-def: $vgpr20
	s_delay_alu instid0(VALU_DEP_1) | instskip(NEXT) | instid1(VALU_DEP_1)
	v_dual_add_nc_u32 v21, 6, v23 :: v_dual_add_nc_u32 v54, v19, v18
                                        ; implicit-def: $vgpr18_vgpr19
	v_cmpx_ne_u32_e32 0, v21
	s_xor_b32 s10, exec_lo, s10
; %bb.2746:                             ;   in Loop: Header=BB6_128 Depth=2
	s_delay_alu instid0(VALU_DEP_2) | instskip(SKIP_1) | instid1(VALU_DEP_1)
	v_cmp_lt_u64_e32 vcc_lo, 0xffffff, v[54:55]
	v_add_nc_u32_e32 v18, 7, v23
	v_cndmask_b32_e32 v20, v21, v18, vcc_lo
	v_cndmask_b32_e64 v18, 0, 1, vcc_lo
	s_delay_alu instid0(VALU_DEP_1)
	v_lshrrev_b64 v[18:19], v18, v[54:55]
; %bb.2747:                             ;   in Loop: Header=BB6_128 Depth=2
	s_and_not1_saveexec_b32 s10, s10
; %bb.2748:                             ;   in Loop: Header=BB6_128 Depth=2
	v_mov_b64_e32 v[18:19], v[54:55]
	v_bfe_u32 v20, v54, 23, 1
; %bb.2749:                             ;   in Loop: Header=BB6_128 Depth=2
	s_or_b32 exec_lo, exec_lo, s10
	s_delay_alu instid0(VALU_DEP_2) | instskip(NEXT) | instid1(VALU_DEP_2)
	v_lshrrev_b64 v[18:19], 20, v[18:19]
	v_cmp_gt_i32_e32 vcc_lo, 16, v20
	v_min_i32_e32 v21, 15, v20
	v_cmp_eq_u32_e64 s10, 0, v20
	s_delay_alu instid0(VALU_DEP_2) | instskip(SKIP_1) | instid1(VALU_DEP_2)
	v_dual_cndmask_b32 v19, 0, v19, vcc_lo :: v_dual_lshlrev_b32 v21, 3, v21
	v_cndmask_b32_e32 v18, 7, v18, vcc_lo
	v_and_b32_e32 v21, 0xf8, v21
	s_delay_alu instid0(VALU_DEP_2) | instskip(NEXT) | instid1(VALU_DEP_2)
	v_cmp_eq_u64_e32 vcc_lo, 0, v[18:19]
	v_and_or_b32 v18, v18, 7, v21
	s_and_b32 s10, s10, vcc_lo
	s_delay_alu instid0(VALU_DEP_1) | instid1(SALU_CYCLE_1)
	v_cndmask_b32_e64 v18, v18, 0, s10
	s_delay_alu instid0(VALU_DEP_1)
	v_or_b32_e32 v23, v18, v30
.LBB6_2750:                             ;   in Loop: Header=BB6_128 Depth=2
	s_or_b32 exec_lo, exec_lo, s42
                                        ; implicit-def: $vgpr30
.LBB6_2751:                             ;   in Loop: Header=BB6_128 Depth=2
	s_and_not1_saveexec_b32 s10, s41
; %bb.2752:                             ;   in Loop: Header=BB6_128 Depth=2
	v_or_b32_e32 v23, 0x7e, v30
; %bb.2753:                             ;   in Loop: Header=BB6_128 Depth=2
	s_or_b32 exec_lo, exec_lo, s10
                                        ; implicit-def: $vgpr19
.LBB6_2754:                             ;   in Loop: Header=BB6_128 Depth=2
	s_and_not1_saveexec_b32 s10, s40
; %bb.2755:                             ;   in Loop: Header=BB6_128 Depth=2
	v_or_b32_e32 v23, 0x7f, v19
; %bb.2756:                             ;   in Loop: Header=BB6_128 Depth=2
	s_or_b32 exec_lo, exec_lo, s10
	v_lshl_or_b32 v30, v28, 8, v104
	v_dual_lshlrev_b32 v18, 16, v106 :: v_dual_lshlrev_b32 v19, 24, v109
	s_mov_b32 s10, exec_lo
	s_delay_alu instid0(VALU_DEP_1)
	v_or3_b32 v54, v18, v19, v30
	v_dual_mov_b32 v18, 0 :: v_dual_mov_b32 v19, 0
	v_cmpx_ne_u32_e32 0, v104
	s_cbranch_execz .LBB6_2762
; %bb.2757:                             ;   in Loop: Header=BB6_128 Depth=2
	v_bfrev_b32_e32 v19, 1
	s_mov_b32 s40, exec_lo
	v_cmpx_ne_u32_e32 0x80, v104
	s_cbranch_execz .LBB6_2761
; %bb.2758:                             ;   in Loop: Header=BB6_128 Depth=2
	v_and_b32_e32 v20, 0x7f, v104
	v_mov_b32_e32 v19, 0x7f800001
	s_mov_b32 s41, exec_lo
	s_delay_alu instid0(VALU_DEP_2)
	v_cmpx_ne_u32_e32 0x7f, v20
	s_cbranch_execz .LBB6_2760
; %bb.2759:                             ;   in Loop: Header=BB6_128 Depth=2
	v_and_b32_e32 v19, 7, v104
	v_cmp_gt_u32_e32 vcc_lo, 8, v20
	s_delay_alu instid0(VALU_DEP_2) | instskip(NEXT) | instid1(VALU_DEP_1)
	v_clz_i32_u32_e32 v19, v19
	v_min_u32_e32 v19, 32, v19
	v_lshrrev_b32_e32 v21, 3, v20
	s_delay_alu instid0(VALU_DEP_2) | instskip(NEXT) | instid1(VALU_DEP_1)
	v_subrev_nc_u32_e32 v20, 28, v19
	v_dual_cndmask_b32 v20, 0, v20 :: v_dual_sub_nc_u32 v19, 29, v19
	s_delay_alu instid0(VALU_DEP_1) | instskip(NEXT) | instid1(VALU_DEP_2)
	v_cndmask_b32_e32 v19, v21, v19, vcc_lo
	v_lshlrev_b64_e32 v[20:21], v20, v[54:55]
	v_lshlrev_b32_e32 v21, 24, v54
	s_delay_alu instid0(VALU_DEP_3) | instskip(NEXT) | instid1(VALU_DEP_2)
	v_lshl_add_u32 v19, v19, 23, 0x3c000000
	v_and_b32_e32 v21, 0x80000000, v21
	s_delay_alu instid0(VALU_DEP_4) | instskip(NEXT) | instid1(VALU_DEP_1)
	v_lshlrev_b32_e32 v20, 20, v20
	v_and_b32_e32 v20, 0x700000, v20
	s_delay_alu instid0(VALU_DEP_1)
	v_or3_b32 v19, v20, v21, v19
.LBB6_2760:                             ;   in Loop: Header=BB6_128 Depth=2
	s_or_b32 exec_lo, exec_lo, s41
.LBB6_2761:                             ;   in Loop: Header=BB6_128 Depth=2
	s_delay_alu instid0(SALU_CYCLE_1)
	s_or_b32 exec_lo, exec_lo, s40
.LBB6_2762:                             ;   in Loop: Header=BB6_128 Depth=2
	s_delay_alu instid0(SALU_CYCLE_1) | instskip(SKIP_2) | instid1(VALU_DEP_1)
	s_or_b32 exec_lo, exec_lo, s10
	v_and_b32_e32 v20, 0xff, v15
	s_mov_b32 s10, exec_lo
	v_cmpx_ne_u16_e32 0, v20
	s_cbranch_execz .LBB6_2768
; %bb.2763:                             ;   in Loop: Header=BB6_128 Depth=2
	v_bfrev_b32_e32 v18, 1
	s_mov_b32 s40, exec_lo
	v_cmpx_ne_u16_e32 0x80, v20
	s_cbranch_execz .LBB6_2767
; %bb.2764:                             ;   in Loop: Header=BB6_128 Depth=2
	v_and_b32_e32 v20, 0x7f, v15
	v_mov_b32_e32 v18, 0x7f800001
	s_mov_b32 s41, exec_lo
	s_delay_alu instid0(VALU_DEP_2)
	v_cmpx_ne_u32_e32 0x7f, v20
	s_cbranch_execz .LBB6_2766
; %bb.2765:                             ;   in Loop: Header=BB6_128 Depth=2
	v_dual_lshrrev_b32 v28, 3, v20 :: v_dual_bitop2_b32 v18, 7, v15 bitop3:0x40
	v_cmp_gt_u32_e32 vcc_lo, 8, v20
	v_mov_b32_e32 v20, v15
	s_delay_alu instid0(VALU_DEP_3) | instskip(NEXT) | instid1(VALU_DEP_1)
	v_clz_i32_u32_e32 v18, v18
	v_min_u32_e32 v18, 32, v18
	s_delay_alu instid0(VALU_DEP_1) | instskip(SKIP_1) | instid1(VALU_DEP_2)
	v_sub_nc_u32_e32 v31, 29, v18
	v_subrev_nc_u32_e32 v18, 28, v18
	v_dual_mov_b32 v21, v55 :: v_dual_cndmask_b32 v28, v28, v31
	s_delay_alu instid0(VALU_DEP_2) | instskip(NEXT) | instid1(VALU_DEP_1)
	v_cndmask_b32_e32 v18, 0, v18, vcc_lo
	v_lshlrev_b64_e32 v[50:51], v18, v[20:21]
	v_lshlrev_b32_e32 v18, 24, v20
	s_delay_alu instid0(VALU_DEP_4) | instskip(NEXT) | instid1(VALU_DEP_3)
	v_lshl_add_u32 v21, v28, 23, 0x3c000000
	v_lshlrev_b32_e32 v20, 20, v50
	s_delay_alu instid0(VALU_DEP_3) | instskip(NEXT) | instid1(VALU_DEP_2)
	v_and_b32_e32 v18, 0x80000000, v18
	v_and_b32_e32 v20, 0x700000, v20
	s_delay_alu instid0(VALU_DEP_1)
	v_or3_b32 v18, v20, v18, v21
.LBB6_2766:                             ;   in Loop: Header=BB6_128 Depth=2
	s_or_b32 exec_lo, exec_lo, s41
.LBB6_2767:                             ;   in Loop: Header=BB6_128 Depth=2
	s_delay_alu instid0(SALU_CYCLE_1)
	s_or_b32 exec_lo, exec_lo, s40
.LBB6_2768:                             ;   in Loop: Header=BB6_128 Depth=2
	s_delay_alu instid0(SALU_CYCLE_1) | instskip(NEXT) | instid1(VALU_DEP_1)
	s_or_b32 exec_lo, exec_lo, s10
	v_add_f32_e32 v18, v19, v18
	v_mov_b32_e32 v21, v55
                                        ; implicit-def: $vgpr28
	s_mov_b32 s10, exec_lo
	s_delay_alu instid0(VALU_DEP_2) | instskip(SKIP_1) | instid1(VALU_DEP_2)
	v_and_b32_e32 v20, 0x7f800000, v18
	v_lshrrev_b32_e32 v19, 24, v18
	v_cmpx_ne_u64_e32 0x7f800000, v[20:21]
	s_xor_b32 s40, exec_lo, s10
	s_cbranch_execz .LBB6_2782
; %bb.2769:                             ;   in Loop: Header=BB6_128 Depth=2
	v_and_b32_e32 v20, 0x7fffffff, v18
	v_mov_b32_e32 v21, v55
	v_and_b32_e32 v31, 0x80, v19
                                        ; implicit-def: $vgpr28
	s_mov_b32 s10, exec_lo
	s_delay_alu instid0(VALU_DEP_2)
	v_cmpx_gt_u64_e32 0x43e00001, v[20:21]
	s_xor_b32 s41, exec_lo, s10
	s_cbranch_execz .LBB6_2779
; %bb.2770:                             ;   in Loop: Header=BB6_128 Depth=2
	v_mov_b32_e32 v28, 0
	s_mov_b32 s42, exec_lo
	v_cmpx_ne_u32_e32 0, v18
	s_cbranch_execz .LBB6_2778
; %bb.2771:                             ;   in Loop: Header=BB6_128 Depth=2
	v_bfe_u32 v28, v18, 23, 8
	v_and_b32_e32 v19, 0x7fffff, v18
	s_delay_alu instid0(VALU_DEP_2) | instskip(SKIP_2) | instid1(VALU_DEP_4)
	v_cmp_gt_u32_e64 s10, 0x7a, v28
	v_sub_nc_u32_e32 v18, 0x79, v28
	v_cmp_eq_u32_e32 vcc_lo, 0, v28
	v_or_b32_e32 v20, 0x800000, v19
	s_delay_alu instid0(VALU_DEP_3) | instskip(NEXT) | instid1(VALU_DEP_1)
	v_cndmask_b32_e64 v18, 0, v18, s10
	v_cndmask_b32_e64 v39, v18, 0x78, vcc_lo
	s_delay_alu instid0(VALU_DEP_3) | instskip(NEXT) | instid1(VALU_DEP_2)
	v_dual_cndmask_b32 v18, v20, v19 :: v_dual_mov_b32 v19, v55
	v_dual_add_nc_u32 v20, 20, v39 :: v_dual_add_nc_u32 v50, 19, v39
	s_delay_alu instid0(VALU_DEP_1) | instskip(NEXT) | instid1(VALU_DEP_2)
	v_lshlrev_b64_e64 v[20:21], v20, -1
	v_lshlrev_b64_e64 v[50:51], v50, 1
	s_delay_alu instid0(VALU_DEP_2) | instskip(SKIP_1) | instid1(VALU_DEP_4)
	v_bfi_b32 v20, v20, 0, v18
	v_lshrrev_b64 v[18:19], v39, v[18:19]
	v_bfi_b32 v21, v21, 0, 0
	s_delay_alu instid0(VALU_DEP_1) | instskip(NEXT) | instid1(VALU_DEP_3)
	v_cmp_eq_u64_e64 s10, v[20:21], v[50:51]
	v_mov_b64_e32 v[20:21], v[18:19]
	s_and_saveexec_b32 s43, s10
; %bb.2772:                             ;   in Loop: Header=BB6_128 Depth=2
	v_bfe_u32 v20, v18, 20, 1
	v_mov_b32_e32 v21, v55
	s_delay_alu instid0(VALU_DEP_1) | instskip(NEXT) | instid1(VALU_DEP_1)
	v_add_nc_u64_e32 v[20:21], v[18:19], v[20:21]
	v_add_nc_u64_e32 v[20:21], -1, v[20:21]
; %bb.2773:                             ;   in Loop: Header=BB6_128 Depth=2
	s_or_b32 exec_lo, exec_lo, s43
	v_add_nc_u32_e32 v19, 0xffffff81, v28
	v_lshrrev_b32_e32 v21, 23, v18
	s_mov_b32 s10, exec_lo
	s_delay_alu instid0(VALU_DEP_2) | instskip(NEXT) | instid1(VALU_DEP_1)
	v_cndmask_b32_e64 v19, v19, 0xffffff82, vcc_lo
	v_add3_u32 v28, v39, v19, v21
	v_and_b32_e32 v19, 0xfffff, v20
                                        ; implicit-def: $vgpr20
	s_delay_alu instid0(VALU_DEP_1) | instskip(SKIP_1) | instid1(VALU_DEP_2)
	v_dual_add_nc_u32 v21, 6, v28 :: v_dual_add_nc_u32 v18, v19, v18
	v_mov_b32_e32 v19, v55
	v_cmpx_ne_u32_e32 0, v21
	s_xor_b32 s10, exec_lo, s10
; %bb.2774:                             ;   in Loop: Header=BB6_128 Depth=2
	s_delay_alu instid0(VALU_DEP_2) | instskip(SKIP_1) | instid1(VALU_DEP_1)
	v_cmp_lt_u64_e32 vcc_lo, 0xffffff, v[18:19]
	v_add_nc_u32_e32 v20, 7, v28
	v_cndmask_b32_e32 v20, v21, v20, vcc_lo
	v_cndmask_b32_e64 v21, 0, 1, vcc_lo
	s_delay_alu instid0(VALU_DEP_1)
	v_lshrrev_b64 v[18:19], v21, v[18:19]
; %bb.2775:                             ;   in Loop: Header=BB6_128 Depth=2
	s_and_not1_saveexec_b32 s10, s10
; %bb.2776:                             ;   in Loop: Header=BB6_128 Depth=2
	s_delay_alu instid0(VALU_DEP_1)
	v_bfe_u32 v20, v18, 23, 1
; %bb.2777:                             ;   in Loop: Header=BB6_128 Depth=2
	s_or_b32 exec_lo, exec_lo, s10
	s_delay_alu instid0(VALU_DEP_2) | instskip(NEXT) | instid1(VALU_DEP_2)
	v_lshrrev_b64 v[18:19], 20, v[18:19]
	v_cmp_gt_i32_e32 vcc_lo, 16, v20
	v_min_i32_e32 v21, 15, v20
	v_cmp_eq_u32_e64 s10, 0, v20
	s_delay_alu instid0(VALU_DEP_2) | instskip(SKIP_1) | instid1(VALU_DEP_2)
	v_dual_cndmask_b32 v19, 0, v19, vcc_lo :: v_dual_lshlrev_b32 v21, 3, v21
	v_cndmask_b32_e32 v18, 7, v18, vcc_lo
	v_and_b32_e32 v21, 0xf8, v21
	s_delay_alu instid0(VALU_DEP_2) | instskip(NEXT) | instid1(VALU_DEP_2)
	v_cmp_eq_u64_e32 vcc_lo, 0, v[18:19]
	v_and_or_b32 v18, v18, 7, v21
	s_and_b32 s10, s10, vcc_lo
	s_delay_alu instid0(VALU_DEP_1) | instid1(SALU_CYCLE_1)
	v_cndmask_b32_e64 v18, v18, 0, s10
	s_delay_alu instid0(VALU_DEP_1)
	v_or_b32_e32 v28, v18, v31
.LBB6_2778:                             ;   in Loop: Header=BB6_128 Depth=2
	s_or_b32 exec_lo, exec_lo, s42
                                        ; implicit-def: $vgpr31
.LBB6_2779:                             ;   in Loop: Header=BB6_128 Depth=2
	s_and_not1_saveexec_b32 s10, s41
; %bb.2780:                             ;   in Loop: Header=BB6_128 Depth=2
	v_or_b32_e32 v28, 0x7e, v31
; %bb.2781:                             ;   in Loop: Header=BB6_128 Depth=2
	s_or_b32 exec_lo, exec_lo, s10
                                        ; implicit-def: $vgpr19
.LBB6_2782:                             ;   in Loop: Header=BB6_128 Depth=2
	s_and_not1_saveexec_b32 s10, s40
; %bb.2783:                             ;   in Loop: Header=BB6_128 Depth=2
	v_or_b32_e32 v28, 0x7f, v19
; %bb.2784:                             ;   in Loop: Header=BB6_128 Depth=2
	s_or_b32 exec_lo, exec_lo, s10
	v_lshrrev_b16 v18, 8, v30
	v_dual_mov_b32 v20, 0 :: v_dual_mov_b32 v21, 0
	s_mov_b32 s10, exec_lo
	s_delay_alu instid0(VALU_DEP_2)
	v_cmpx_ne_u16_e32 0, v18
	s_cbranch_execz .LBB6_2792
; %bb.2785:                             ;   in Loop: Header=BB6_128 Depth=2
	v_bfrev_b32_e32 v21, 1
	s_mov_b32 s40, exec_lo
	v_cmpx_ne_u16_e32 0x80, v18
	s_cbranch_execz .LBB6_2791
; %bb.2786:                             ;   in Loop: Header=BB6_128 Depth=2
	v_and_b32_e32 v18, 0xffff, v18
	v_mov_b32_e32 v21, 0x7f800001
	s_mov_b32 s41, exec_lo
	s_delay_alu instid0(VALU_DEP_2) | instskip(NEXT) | instid1(VALU_DEP_1)
	v_and_b32_e32 v31, 0x7f, v18
	v_cmpx_ne_u32_e32 0x7f, v31
	s_cbranch_execz .LBB6_2790
; %bb.2787:                             ;   in Loop: Header=BB6_128 Depth=2
	v_dual_mov_b32 v19, v55 :: v_dual_bitop2_b32 v18, 7, v18 bitop3:0x40
	v_lshrrev_b32_e32 v21, 3, v31
	s_mov_b32 s42, exec_lo
	v_cmpx_gt_u32_e32 8, v31
; %bb.2788:                             ;   in Loop: Header=BB6_128 Depth=2
	s_delay_alu instid0(VALU_DEP_3) | instskip(NEXT) | instid1(VALU_DEP_1)
	v_clz_i32_u32_e32 v21, v18
	v_min_u32_e32 v21, 32, v21
	s_delay_alu instid0(VALU_DEP_1) | instskip(NEXT) | instid1(VALU_DEP_1)
	v_subrev_nc_u32_e32 v31, 28, v21
	v_lshlrev_b64_e32 v[18:19], v31, v[18:19]
	s_delay_alu instid0(VALU_DEP_1)
	v_dual_sub_nc_u32 v21, 29, v21 :: v_dual_bitop2_b32 v18, 7, v18 bitop3:0x40
; %bb.2789:                             ;   in Loop: Header=BB6_128 Depth=2
	s_or_b32 exec_lo, exec_lo, s42
	v_lshlrev_b32_e32 v19, 16, v30
	s_delay_alu instid0(VALU_DEP_2) | instskip(NEXT) | instid1(VALU_DEP_3)
	v_lshlrev_b32_e32 v18, 20, v18
	v_lshl_add_u32 v21, v21, 23, 0x3c000000
	s_delay_alu instid0(VALU_DEP_3) | instskip(NEXT) | instid1(VALU_DEP_1)
	v_and_b32_e32 v19, 0x80000000, v19
	v_or3_b32 v21, v18, v19, v21
.LBB6_2790:                             ;   in Loop: Header=BB6_128 Depth=2
	s_or_b32 exec_lo, exec_lo, s41
.LBB6_2791:                             ;   in Loop: Header=BB6_128 Depth=2
	s_delay_alu instid0(SALU_CYCLE_1)
	s_or_b32 exec_lo, exec_lo, s40
.LBB6_2792:                             ;   in Loop: Header=BB6_128 Depth=2
	s_delay_alu instid0(SALU_CYCLE_1) | instskip(SKIP_2) | instid1(VALU_DEP_1)
	s_or_b32 exec_lo, exec_lo, s10
	v_lshrrev_b16 v18, 8, v15
	s_mov_b32 s10, exec_lo
	v_cmpx_ne_u16_e32 0, v18
	s_cbranch_execz .LBB6_2800
; %bb.2793:                             ;   in Loop: Header=BB6_128 Depth=2
	v_bfrev_b32_e32 v20, 1
	s_mov_b32 s40, exec_lo
	v_cmpx_ne_u16_e32 0x80, v18
	s_cbranch_execz .LBB6_2799
; %bb.2794:                             ;   in Loop: Header=BB6_128 Depth=2
	v_and_b32_e32 v18, 0xffff, v18
	v_mov_b32_e32 v20, 0x7f800001
	s_mov_b32 s41, exec_lo
	s_delay_alu instid0(VALU_DEP_2) | instskip(NEXT) | instid1(VALU_DEP_1)
	v_and_b32_e32 v30, 0x7f, v18
	v_cmpx_ne_u32_e32 0x7f, v30
	s_cbranch_execz .LBB6_2798
; %bb.2795:                             ;   in Loop: Header=BB6_128 Depth=2
	v_dual_mov_b32 v19, v55 :: v_dual_bitop2_b32 v18, 7, v18 bitop3:0x40
	v_lshrrev_b32_e32 v20, 3, v30
	s_mov_b32 s42, exec_lo
	v_cmpx_gt_u32_e32 8, v30
; %bb.2796:                             ;   in Loop: Header=BB6_128 Depth=2
	s_delay_alu instid0(VALU_DEP_3) | instskip(NEXT) | instid1(VALU_DEP_1)
	v_clz_i32_u32_e32 v20, v18
	v_min_u32_e32 v20, 32, v20
	s_delay_alu instid0(VALU_DEP_1) | instskip(NEXT) | instid1(VALU_DEP_1)
	v_subrev_nc_u32_e32 v30, 28, v20
	v_lshlrev_b64_e32 v[18:19], v30, v[18:19]
	s_delay_alu instid0(VALU_DEP_1)
	v_dual_sub_nc_u32 v20, 29, v20 :: v_dual_bitop2_b32 v18, 7, v18 bitop3:0x40
; %bb.2797:                             ;   in Loop: Header=BB6_128 Depth=2
	s_or_b32 exec_lo, exec_lo, s42
	s_delay_alu instid0(VALU_DEP_1) | instskip(NEXT) | instid1(VALU_DEP_2)
	v_dual_lshlrev_b32 v19, 16, v15 :: v_dual_lshlrev_b32 v18, 20, v18
	v_lshl_add_u32 v20, v20, 23, 0x3c000000
	s_delay_alu instid0(VALU_DEP_2) | instskip(NEXT) | instid1(VALU_DEP_1)
	v_and_b32_e32 v19, 0x80000000, v19
	v_or3_b32 v20, v18, v19, v20
.LBB6_2798:                             ;   in Loop: Header=BB6_128 Depth=2
	s_or_b32 exec_lo, exec_lo, s41
.LBB6_2799:                             ;   in Loop: Header=BB6_128 Depth=2
	s_delay_alu instid0(SALU_CYCLE_1)
	s_or_b32 exec_lo, exec_lo, s40
.LBB6_2800:                             ;   in Loop: Header=BB6_128 Depth=2
	s_delay_alu instid0(SALU_CYCLE_1) | instskip(NEXT) | instid1(VALU_DEP_1)
	s_or_b32 exec_lo, exec_lo, s10
	v_dual_add_f32 v18, v21, v20 :: v_dual_mov_b32 v21, v55
                                        ; implicit-def: $vgpr30
	s_mov_b32 s10, exec_lo
	s_delay_alu instid0(VALU_DEP_1) | instskip(SKIP_1) | instid1(VALU_DEP_2)
	v_and_b32_e32 v20, 0x7f800000, v18
	v_lshrrev_b32_e32 v19, 24, v18
	v_cmpx_ne_u64_e32 0x7f800000, v[20:21]
	s_xor_b32 s40, exec_lo, s10
	s_cbranch_execz .LBB6_2814
; %bb.2801:                             ;   in Loop: Header=BB6_128 Depth=2
	v_and_b32_e32 v20, 0x7fffffff, v18
	v_mov_b32_e32 v21, v55
	v_and_b32_e32 v31, 0x80, v19
                                        ; implicit-def: $vgpr30
	s_mov_b32 s10, exec_lo
	s_delay_alu instid0(VALU_DEP_2)
	v_cmpx_gt_u64_e32 0x43e00001, v[20:21]
	s_xor_b32 s41, exec_lo, s10
	s_cbranch_execz .LBB6_2811
; %bb.2802:                             ;   in Loop: Header=BB6_128 Depth=2
	v_mov_b32_e32 v30, 0
	s_mov_b32 s42, exec_lo
	v_cmpx_ne_u32_e32 0, v18
	s_cbranch_execz .LBB6_2810
; %bb.2803:                             ;   in Loop: Header=BB6_128 Depth=2
	v_bfe_u32 v30, v18, 23, 8
	v_and_b32_e32 v19, 0x7fffff, v18
	s_delay_alu instid0(VALU_DEP_2) | instskip(SKIP_2) | instid1(VALU_DEP_4)
	v_cmp_gt_u32_e64 s10, 0x7a, v30
	v_sub_nc_u32_e32 v18, 0x79, v30
	v_cmp_eq_u32_e32 vcc_lo, 0, v30
	v_or_b32_e32 v20, 0x800000, v19
	s_delay_alu instid0(VALU_DEP_3) | instskip(NEXT) | instid1(VALU_DEP_1)
	v_cndmask_b32_e64 v18, 0, v18, s10
	v_cndmask_b32_e64 v39, v18, 0x78, vcc_lo
	s_delay_alu instid0(VALU_DEP_3) | instskip(NEXT) | instid1(VALU_DEP_2)
	v_dual_cndmask_b32 v18, v20, v19 :: v_dual_mov_b32 v19, v55
	v_dual_add_nc_u32 v20, 20, v39 :: v_dual_add_nc_u32 v50, 19, v39
	s_delay_alu instid0(VALU_DEP_1) | instskip(NEXT) | instid1(VALU_DEP_2)
	v_lshlrev_b64_e64 v[20:21], v20, -1
	v_lshlrev_b64_e64 v[50:51], v50, 1
	s_delay_alu instid0(VALU_DEP_2) | instskip(SKIP_1) | instid1(VALU_DEP_4)
	v_bfi_b32 v20, v20, 0, v18
	v_lshrrev_b64 v[18:19], v39, v[18:19]
	v_bfi_b32 v21, v21, 0, 0
	s_delay_alu instid0(VALU_DEP_1) | instskip(NEXT) | instid1(VALU_DEP_3)
	v_cmp_eq_u64_e64 s10, v[20:21], v[50:51]
	v_mov_b64_e32 v[20:21], v[18:19]
	s_and_saveexec_b32 s43, s10
; %bb.2804:                             ;   in Loop: Header=BB6_128 Depth=2
	v_bfe_u32 v20, v18, 20, 1
	v_mov_b32_e32 v21, v55
	s_delay_alu instid0(VALU_DEP_1) | instskip(NEXT) | instid1(VALU_DEP_1)
	v_add_nc_u64_e32 v[20:21], v[18:19], v[20:21]
	v_add_nc_u64_e32 v[20:21], -1, v[20:21]
; %bb.2805:                             ;   in Loop: Header=BB6_128 Depth=2
	s_or_b32 exec_lo, exec_lo, s43
	v_add_nc_u32_e32 v19, 0xffffff81, v30
	v_lshrrev_b32_e32 v21, 23, v18
	s_mov_b32 s10, exec_lo
	s_delay_alu instid0(VALU_DEP_2) | instskip(NEXT) | instid1(VALU_DEP_1)
	v_cndmask_b32_e64 v19, v19, 0xffffff82, vcc_lo
	v_add3_u32 v30, v39, v19, v21
	v_and_b32_e32 v19, 0xfffff, v20
                                        ; implicit-def: $vgpr20
	s_delay_alu instid0(VALU_DEP_2) | instskip(NEXT) | instid1(VALU_DEP_2)
	v_add_nc_u32_e32 v21, 6, v30
	v_add_nc_u32_e32 v18, v19, v18
	v_mov_b32_e32 v19, v55
	s_delay_alu instid0(VALU_DEP_3)
	v_cmpx_ne_u32_e32 0, v21
	s_xor_b32 s10, exec_lo, s10
; %bb.2806:                             ;   in Loop: Header=BB6_128 Depth=2
	s_delay_alu instid0(VALU_DEP_2) | instskip(SKIP_1) | instid1(VALU_DEP_1)
	v_cmp_lt_u64_e32 vcc_lo, 0xffffff, v[18:19]
	v_add_nc_u32_e32 v20, 7, v30
	v_cndmask_b32_e32 v20, v21, v20, vcc_lo
	v_cndmask_b32_e64 v21, 0, 1, vcc_lo
	s_delay_alu instid0(VALU_DEP_1)
	v_lshrrev_b64 v[18:19], v21, v[18:19]
; %bb.2807:                             ;   in Loop: Header=BB6_128 Depth=2
	s_and_not1_saveexec_b32 s10, s10
; %bb.2808:                             ;   in Loop: Header=BB6_128 Depth=2
	s_delay_alu instid0(VALU_DEP_1)
	v_bfe_u32 v20, v18, 23, 1
; %bb.2809:                             ;   in Loop: Header=BB6_128 Depth=2
	s_or_b32 exec_lo, exec_lo, s10
	s_delay_alu instid0(VALU_DEP_2) | instskip(NEXT) | instid1(VALU_DEP_2)
	v_lshrrev_b64 v[18:19], 20, v[18:19]
	v_cmp_gt_i32_e32 vcc_lo, 16, v20
	v_min_i32_e32 v21, 15, v20
	v_cmp_eq_u32_e64 s10, 0, v20
	s_delay_alu instid0(VALU_DEP_2) | instskip(SKIP_1) | instid1(VALU_DEP_2)
	v_dual_cndmask_b32 v19, 0, v19, vcc_lo :: v_dual_lshlrev_b32 v21, 3, v21
	v_cndmask_b32_e32 v18, 7, v18, vcc_lo
	v_and_b32_e32 v21, 0xf8, v21
	s_delay_alu instid0(VALU_DEP_2) | instskip(NEXT) | instid1(VALU_DEP_2)
	v_cmp_eq_u64_e32 vcc_lo, 0, v[18:19]
	v_and_or_b32 v18, v18, 7, v21
	s_and_b32 s10, s10, vcc_lo
	s_delay_alu instid0(VALU_DEP_1) | instid1(SALU_CYCLE_1)
	v_cndmask_b32_e64 v18, v18, 0, s10
	s_delay_alu instid0(VALU_DEP_1)
	v_or_b32_e32 v30, v18, v31
.LBB6_2810:                             ;   in Loop: Header=BB6_128 Depth=2
	s_or_b32 exec_lo, exec_lo, s42
                                        ; implicit-def: $vgpr31
.LBB6_2811:                             ;   in Loop: Header=BB6_128 Depth=2
	s_and_not1_saveexec_b32 s10, s41
; %bb.2812:                             ;   in Loop: Header=BB6_128 Depth=2
	v_or_b32_e32 v30, 0x7e, v31
; %bb.2813:                             ;   in Loop: Header=BB6_128 Depth=2
	s_or_b32 exec_lo, exec_lo, s10
                                        ; implicit-def: $vgpr19
.LBB6_2814:                             ;   in Loop: Header=BB6_128 Depth=2
	s_and_not1_saveexec_b32 s10, s40
; %bb.2815:                             ;   in Loop: Header=BB6_128 Depth=2
	v_or_b32_e32 v30, 0x7f, v19
; %bb.2816:                             ;   in Loop: Header=BB6_128 Depth=2
	s_or_b32 exec_lo, exec_lo, s10
	v_dual_mov_b32 v20, 0 :: v_dual_lshrrev_b32 v31, 16, v54
	v_mov_b32_e32 v21, 0
	s_mov_b32 s10, exec_lo
	s_delay_alu instid0(VALU_DEP_2) | instskip(NEXT) | instid1(VALU_DEP_1)
	v_and_b32_e32 v18, 0xff, v31
	v_cmpx_ne_u16_e32 0, v18
	s_cbranch_execz .LBB6_2824
; %bb.2817:                             ;   in Loop: Header=BB6_128 Depth=2
	v_bfrev_b32_e32 v21, 1
	s_mov_b32 s40, exec_lo
	v_cmpx_ne_u16_e32 0x80, v18
	s_cbranch_execz .LBB6_2823
; %bb.2818:                             ;   in Loop: Header=BB6_128 Depth=2
	v_bfe_u32 v39, v54, 16, 7
	v_mov_b32_e32 v21, 0x7f800001
	s_mov_b32 s41, exec_lo
	s_delay_alu instid0(VALU_DEP_2)
	v_cmpx_ne_u32_e32 0x7f, v39
	s_cbranch_execz .LBB6_2822
; %bb.2819:                             ;   in Loop: Header=BB6_128 Depth=2
	v_dual_mov_b32 v19, v55 :: v_dual_bitop2_b32 v18, 7, v31 bitop3:0x40
	v_lshrrev_b32_e32 v21, 3, v39
	s_mov_b32 s42, exec_lo
	v_cmpx_gt_u32_e32 8, v39
; %bb.2820:                             ;   in Loop: Header=BB6_128 Depth=2
	s_delay_alu instid0(VALU_DEP_3) | instskip(NEXT) | instid1(VALU_DEP_1)
	v_clz_i32_u32_e32 v21, v18
	v_min_u32_e32 v21, 32, v21
	s_delay_alu instid0(VALU_DEP_1) | instskip(NEXT) | instid1(VALU_DEP_1)
	v_subrev_nc_u32_e32 v39, 28, v21
	v_lshlrev_b64_e32 v[18:19], v39, v[18:19]
	s_delay_alu instid0(VALU_DEP_1)
	v_dual_sub_nc_u32 v21, 29, v21 :: v_dual_bitop2_b32 v18, 7, v18 bitop3:0x40
; %bb.2821:                             ;   in Loop: Header=BB6_128 Depth=2
	s_or_b32 exec_lo, exec_lo, s42
	s_delay_alu instid0(VALU_DEP_1) | instskip(NEXT) | instid1(VALU_DEP_2)
	v_dual_lshlrev_b32 v19, 24, v31 :: v_dual_lshlrev_b32 v18, 20, v18
	v_lshl_add_u32 v21, v21, 23, 0x3c000000
	s_delay_alu instid0(VALU_DEP_2) | instskip(NEXT) | instid1(VALU_DEP_1)
	v_and_b32_e32 v19, 0x80000000, v19
	v_or3_b32 v21, v18, v19, v21
.LBB6_2822:                             ;   in Loop: Header=BB6_128 Depth=2
	s_or_b32 exec_lo, exec_lo, s41
.LBB6_2823:                             ;   in Loop: Header=BB6_128 Depth=2
	s_delay_alu instid0(SALU_CYCLE_1)
	s_or_b32 exec_lo, exec_lo, s40
.LBB6_2824:                             ;   in Loop: Header=BB6_128 Depth=2
	s_delay_alu instid0(SALU_CYCLE_1) | instskip(SKIP_2) | instid1(VALU_DEP_1)
	s_or_b32 exec_lo, exec_lo, s10
	v_lshrrev_b32_e32 v18, 16, v15
	s_mov_b32 s10, exec_lo
	v_and_b32_e32 v19, 0xff, v18
	s_delay_alu instid0(VALU_DEP_1)
	v_cmpx_ne_u16_e32 0, v19
	s_cbranch_execz .LBB6_2832
; %bb.2825:                             ;   in Loop: Header=BB6_128 Depth=2
	v_bfrev_b32_e32 v20, 1
	s_mov_b32 s40, exec_lo
	v_cmpx_ne_u16_e32 0x80, v19
	s_cbranch_execz .LBB6_2831
; %bb.2826:                             ;   in Loop: Header=BB6_128 Depth=2
	v_bfe_u32 v31, v15, 16, 7
	v_mov_b32_e32 v20, 0x7f800001
	s_mov_b32 s41, exec_lo
	s_delay_alu instid0(VALU_DEP_2)
	v_cmpx_ne_u32_e32 0x7f, v31
	s_cbranch_execz .LBB6_2830
; %bb.2827:                             ;   in Loop: Header=BB6_128 Depth=2
	v_dual_mov_b32 v19, v55 :: v_dual_bitop2_b32 v18, 7, v18 bitop3:0x40
	v_lshrrev_b32_e32 v20, 3, v31
	s_mov_b32 s42, exec_lo
	v_cmpx_gt_u32_e32 8, v31
; %bb.2828:                             ;   in Loop: Header=BB6_128 Depth=2
	s_delay_alu instid0(VALU_DEP_3) | instskip(NEXT) | instid1(VALU_DEP_1)
	v_clz_i32_u32_e32 v20, v18
	v_min_u32_e32 v20, 32, v20
	s_delay_alu instid0(VALU_DEP_1) | instskip(NEXT) | instid1(VALU_DEP_1)
	v_subrev_nc_u32_e32 v31, 28, v20
	v_lshlrev_b64_e32 v[18:19], v31, v[18:19]
	s_delay_alu instid0(VALU_DEP_1)
	v_dual_sub_nc_u32 v20, 29, v20 :: v_dual_bitop2_b32 v18, 7, v18 bitop3:0x40
; %bb.2829:                             ;   in Loop: Header=BB6_128 Depth=2
	s_or_b32 exec_lo, exec_lo, s42
	s_delay_alu instid0(VALU_DEP_1) | instskip(NEXT) | instid1(VALU_DEP_2)
	v_dual_lshlrev_b32 v19, 8, v15 :: v_dual_lshlrev_b32 v18, 20, v18
	v_lshl_add_u32 v20, v20, 23, 0x3c000000
	s_delay_alu instid0(VALU_DEP_2) | instskip(NEXT) | instid1(VALU_DEP_1)
	v_and_b32_e32 v19, 0x80000000, v19
	v_or3_b32 v20, v18, v19, v20
.LBB6_2830:                             ;   in Loop: Header=BB6_128 Depth=2
	s_or_b32 exec_lo, exec_lo, s41
.LBB6_2831:                             ;   in Loop: Header=BB6_128 Depth=2
	s_delay_alu instid0(SALU_CYCLE_1)
	s_or_b32 exec_lo, exec_lo, s40
.LBB6_2832:                             ;   in Loop: Header=BB6_128 Depth=2
	s_delay_alu instid0(SALU_CYCLE_1) | instskip(NEXT) | instid1(VALU_DEP_1)
	s_or_b32 exec_lo, exec_lo, s10
	v_dual_add_f32 v18, v21, v20 :: v_dual_mov_b32 v21, v55
	s_delay_alu instid0(VALU_DEP_1) | instskip(SKIP_1) | instid1(VALU_DEP_2)
	v_and_b32_e32 v20, 0x7f800000, v18
	v_lshrrev_b32_e32 v19, 24, v18
	v_cmp_ne_u64_e32 vcc_lo, 0x7f800000, v[20:21]
                                        ; implicit-def: $vgpr20
	s_and_saveexec_b32 s10, vcc_lo
	s_delay_alu instid0(SALU_CYCLE_1)
	s_xor_b32 s40, exec_lo, s10
	s_cbranch_execz .LBB6_2846
; %bb.2833:                             ;   in Loop: Header=BB6_128 Depth=2
	v_and_b32_e32 v20, 0x7fffffff, v18
	v_mov_b32_e32 v21, v55
	v_and_b32_e32 v31, 0x80, v19
	s_delay_alu instid0(VALU_DEP_2) | instskip(SKIP_1) | instid1(SALU_CYCLE_1)
	v_cmp_gt_u64_e32 vcc_lo, 0x43e00001, v[20:21]
                                        ; implicit-def: $vgpr20
	s_and_saveexec_b32 s10, vcc_lo
	s_xor_b32 s41, exec_lo, s10
	s_cbranch_execz .LBB6_2843
; %bb.2834:                             ;   in Loop: Header=BB6_128 Depth=2
	v_mov_b32_e32 v20, 0
	s_mov_b32 s42, exec_lo
	v_cmpx_ne_u32_e32 0, v18
	s_cbranch_execz .LBB6_2842
; %bb.2835:                             ;   in Loop: Header=BB6_128 Depth=2
	v_bfe_u32 v39, v18, 23, 8
	v_and_b32_e32 v19, 0x7fffff, v18
	s_delay_alu instid0(VALU_DEP_2) | instskip(SKIP_2) | instid1(VALU_DEP_4)
	v_cmp_gt_u32_e64 s10, 0x7a, v39
	v_sub_nc_u32_e32 v18, 0x79, v39
	v_cmp_eq_u32_e32 vcc_lo, 0, v39
	v_or_b32_e32 v20, 0x800000, v19
	s_delay_alu instid0(VALU_DEP_3) | instskip(NEXT) | instid1(VALU_DEP_1)
	v_cndmask_b32_e64 v18, 0, v18, s10
	v_cndmask_b32_e64 v50, v18, 0x78, vcc_lo
	s_delay_alu instid0(VALU_DEP_3) | instskip(NEXT) | instid1(VALU_DEP_2)
	v_dual_cndmask_b32 v18, v20, v19 :: v_dual_mov_b32 v19, v55
	v_dual_add_nc_u32 v20, 20, v50 :: v_dual_add_nc_u32 v51, 19, v50
	s_delay_alu instid0(VALU_DEP_1) | instskip(NEXT) | instid1(VALU_DEP_2)
	v_lshlrev_b64_e64 v[20:21], v20, -1
	v_lshlrev_b64_e64 v[100:101], v51, 1
	s_delay_alu instid0(VALU_DEP_2) | instskip(SKIP_1) | instid1(VALU_DEP_4)
	v_bfi_b32 v20, v20, 0, v18
	v_lshrrev_b64 v[18:19], v50, v[18:19]
	v_bfi_b32 v21, v21, 0, 0
	s_delay_alu instid0(VALU_DEP_1) | instskip(NEXT) | instid1(VALU_DEP_3)
	v_cmp_eq_u64_e64 s10, v[20:21], v[100:101]
	v_mov_b64_e32 v[20:21], v[18:19]
	s_and_saveexec_b32 s43, s10
; %bb.2836:                             ;   in Loop: Header=BB6_128 Depth=2
	v_bfe_u32 v20, v18, 20, 1
	v_mov_b32_e32 v21, v55
	s_delay_alu instid0(VALU_DEP_1) | instskip(NEXT) | instid1(VALU_DEP_1)
	v_add_nc_u64_e32 v[20:21], v[18:19], v[20:21]
	v_add_nc_u64_e32 v[20:21], -1, v[20:21]
; %bb.2837:                             ;   in Loop: Header=BB6_128 Depth=2
	s_or_b32 exec_lo, exec_lo, s43
	v_add_nc_u32_e32 v19, 0xffffff81, v39
	v_lshrrev_b32_e32 v21, 23, v18
	s_mov_b32 s10, exec_lo
	s_delay_alu instid0(VALU_DEP_2) | instskip(NEXT) | instid1(VALU_DEP_1)
	v_cndmask_b32_e64 v19, v19, 0xffffff82, vcc_lo
	v_add3_u32 v39, v50, v19, v21
	v_and_b32_e32 v19, 0xfffff, v20
                                        ; implicit-def: $vgpr20
	s_delay_alu instid0(VALU_DEP_1) | instskip(SKIP_1) | instid1(VALU_DEP_2)
	v_dual_add_nc_u32 v21, 6, v39 :: v_dual_add_nc_u32 v18, v19, v18
	v_mov_b32_e32 v19, v55
	v_cmpx_ne_u32_e32 0, v21
	s_xor_b32 s10, exec_lo, s10
; %bb.2838:                             ;   in Loop: Header=BB6_128 Depth=2
	s_delay_alu instid0(VALU_DEP_2) | instskip(SKIP_1) | instid1(VALU_DEP_1)
	v_cmp_lt_u64_e32 vcc_lo, 0xffffff, v[18:19]
	v_add_nc_u32_e32 v20, 7, v39
	v_cndmask_b32_e32 v20, v21, v20, vcc_lo
	v_cndmask_b32_e64 v21, 0, 1, vcc_lo
	s_delay_alu instid0(VALU_DEP_1)
	v_lshrrev_b64 v[18:19], v21, v[18:19]
; %bb.2839:                             ;   in Loop: Header=BB6_128 Depth=2
	s_and_not1_saveexec_b32 s10, s10
; %bb.2840:                             ;   in Loop: Header=BB6_128 Depth=2
	s_delay_alu instid0(VALU_DEP_1)
	v_bfe_u32 v20, v18, 23, 1
; %bb.2841:                             ;   in Loop: Header=BB6_128 Depth=2
	s_or_b32 exec_lo, exec_lo, s10
	s_delay_alu instid0(VALU_DEP_2) | instskip(NEXT) | instid1(VALU_DEP_2)
	v_lshrrev_b64 v[18:19], 20, v[18:19]
	v_cmp_gt_i32_e32 vcc_lo, 16, v20
	v_min_i32_e32 v21, 15, v20
	v_cmp_eq_u32_e64 s10, 0, v20
	s_delay_alu instid0(VALU_DEP_2) | instskip(SKIP_1) | instid1(VALU_DEP_2)
	v_dual_cndmask_b32 v19, 0, v19, vcc_lo :: v_dual_lshlrev_b32 v21, 3, v21
	v_cndmask_b32_e32 v18, 7, v18, vcc_lo
	v_and_b32_e32 v21, 0xf8, v21
	s_delay_alu instid0(VALU_DEP_2) | instskip(NEXT) | instid1(VALU_DEP_2)
	v_cmp_eq_u64_e32 vcc_lo, 0, v[18:19]
	v_and_or_b32 v18, v18, 7, v21
	s_and_b32 s10, s10, vcc_lo
	s_delay_alu instid0(VALU_DEP_1) | instid1(SALU_CYCLE_1)
	v_cndmask_b32_e64 v18, v18, 0, s10
	s_delay_alu instid0(VALU_DEP_1)
	v_or_b32_e32 v20, v18, v31
.LBB6_2842:                             ;   in Loop: Header=BB6_128 Depth=2
	s_or_b32 exec_lo, exec_lo, s42
                                        ; implicit-def: $vgpr31
.LBB6_2843:                             ;   in Loop: Header=BB6_128 Depth=2
	s_and_not1_saveexec_b32 s10, s41
; %bb.2844:                             ;   in Loop: Header=BB6_128 Depth=2
	v_or_b32_e32 v20, 0x7e, v31
; %bb.2845:                             ;   in Loop: Header=BB6_128 Depth=2
	s_or_b32 exec_lo, exec_lo, s10
                                        ; implicit-def: $vgpr19
.LBB6_2846:                             ;   in Loop: Header=BB6_128 Depth=2
	s_and_not1_saveexec_b32 s10, s40
; %bb.2847:                             ;   in Loop: Header=BB6_128 Depth=2
	v_or_b32_e32 v20, 0x7f, v19
; %bb.2848:                             ;   in Loop: Header=BB6_128 Depth=2
	s_or_b32 exec_lo, exec_lo, s10
	v_dual_mov_b32 v21, 0 :: v_dual_mov_b32 v18, 0
	s_mov_b32 s10, exec_lo
	v_cmpx_lt_u32_e32 0xffffff, v54
	s_cbranch_execz .LBB6_2856
; %bb.2849:                             ;   in Loop: Header=BB6_128 Depth=2
	v_lshrrev_b32_e32 v31, 24, v54
	v_bfrev_b32_e32 v18, 1
	s_mov_b32 s40, exec_lo
	s_delay_alu instid0(VALU_DEP_2)
	v_cmpx_ne_u32_e32 0x80, v31
	s_cbranch_execz .LBB6_2855
; %bb.2850:                             ;   in Loop: Header=BB6_128 Depth=2
	v_bfe_u32 v19, v54, 24, 7
	v_mov_b32_e32 v18, 0x7f800001
	s_mov_b32 s41, exec_lo
	s_delay_alu instid0(VALU_DEP_2)
	v_cmpx_ne_u32_e32 0x7f, v19
	s_cbranch_execz .LBB6_2854
; %bb.2851:                             ;   in Loop: Header=BB6_128 Depth=2
	v_and_b32_e32 v54, 7, v31
	v_lshrrev_b32_e32 v39, 3, v19
	v_cmp_gt_u32_e32 vcc_lo, 8, v19
	s_delay_alu instid0(VALU_DEP_3)
	v_mov_b64_e32 v[18:19], v[54:55]
	s_and_saveexec_b32 s42, vcc_lo
; %bb.2852:                             ;   in Loop: Header=BB6_128 Depth=2
	v_clz_i32_u32_e32 v18, v54
	s_delay_alu instid0(VALU_DEP_1) | instskip(NEXT) | instid1(VALU_DEP_1)
	v_min_u32_e32 v39, 32, v18
	v_subrev_nc_u32_e32 v18, 28, v39
	s_delay_alu instid0(VALU_DEP_1) | instskip(NEXT) | instid1(VALU_DEP_1)
	v_lshlrev_b64_e32 v[18:19], v18, v[54:55]
	v_dual_sub_nc_u32 v39, 29, v39 :: v_dual_bitop2_b32 v18, 7, v18 bitop3:0x40
; %bb.2853:                             ;   in Loop: Header=BB6_128 Depth=2
	s_or_b32 exec_lo, exec_lo, s42
	s_delay_alu instid0(VALU_DEP_1) | instskip(NEXT) | instid1(VALU_DEP_2)
	v_dual_lshlrev_b32 v19, 24, v31 :: v_dual_lshlrev_b32 v18, 20, v18
	v_lshl_add_u32 v31, v39, 23, 0x3c000000
	s_delay_alu instid0(VALU_DEP_2) | instskip(NEXT) | instid1(VALU_DEP_1)
	v_and_b32_e32 v19, 0x80000000, v19
	v_or3_b32 v18, v18, v19, v31
.LBB6_2854:                             ;   in Loop: Header=BB6_128 Depth=2
	s_or_b32 exec_lo, exec_lo, s41
.LBB6_2855:                             ;   in Loop: Header=BB6_128 Depth=2
	s_delay_alu instid0(SALU_CYCLE_1)
	s_or_b32 exec_lo, exec_lo, s40
.LBB6_2856:                             ;   in Loop: Header=BB6_128 Depth=2
	s_delay_alu instid0(SALU_CYCLE_1) | instskip(NEXT) | instid1(SALU_CYCLE_1)
	s_or_b32 exec_lo, exec_lo, s10
	s_mov_b32 s10, exec_lo
	v_cmpx_lt_u64_e64 s[14:15], v[14:15]
	s_cbranch_execz .LBB6_2864
; %bb.2857:                             ;   in Loop: Header=BB6_128 Depth=2
	v_lshrrev_b32_e32 v19, 24, v15
	v_bfrev_b32_e32 v21, 1
	s_mov_b32 s40, exec_lo
	s_delay_alu instid0(VALU_DEP_2)
	v_cmpx_ne_u32_e32 0x80, v19
	s_cbranch_execz .LBB6_2863
; %bb.2858:                             ;   in Loop: Header=BB6_128 Depth=2
	v_bfe_u32 v14, v15, 24, 7
	v_mov_b32_e32 v21, 0x7f800001
	s_mov_b32 s41, exec_lo
	s_delay_alu instid0(VALU_DEP_2)
	v_cmpx_ne_u32_e32 0x7f, v14
	s_cbranch_execz .LBB6_2862
; %bb.2859:                             ;   in Loop: Header=BB6_128 Depth=2
	v_dual_lshrrev_b32 v21, 3, v14 :: v_dual_bitop2_b32 v54, 7, v19 bitop3:0x40
	v_cmp_gt_u32_e32 vcc_lo, 8, v14
	s_delay_alu instid0(VALU_DEP_2)
	v_mov_b64_e32 v[14:15], v[54:55]
	s_and_saveexec_b32 s42, vcc_lo
; %bb.2860:                             ;   in Loop: Header=BB6_128 Depth=2
	v_clz_i32_u32_e32 v14, v54
	s_delay_alu instid0(VALU_DEP_1) | instskip(NEXT) | instid1(VALU_DEP_1)
	v_min_u32_e32 v21, 32, v14
	v_subrev_nc_u32_e32 v14, 28, v21
	s_delay_alu instid0(VALU_DEP_1) | instskip(NEXT) | instid1(VALU_DEP_1)
	v_lshlrev_b64_e32 v[14:15], v14, v[54:55]
	v_dual_sub_nc_u32 v21, 29, v21 :: v_dual_bitop2_b32 v14, 7, v14 bitop3:0x40
; %bb.2861:                             ;   in Loop: Header=BB6_128 Depth=2
	s_or_b32 exec_lo, exec_lo, s42
	s_delay_alu instid0(VALU_DEP_1) | instskip(NEXT) | instid1(VALU_DEP_2)
	v_dual_lshlrev_b32 v15, 24, v19 :: v_dual_lshlrev_b32 v14, 20, v14
	v_lshl_add_u32 v19, v21, 23, 0x3c000000
	s_delay_alu instid0(VALU_DEP_2) | instskip(NEXT) | instid1(VALU_DEP_1)
	v_and_b32_e32 v15, 0x80000000, v15
	v_or3_b32 v21, v14, v15, v19
.LBB6_2862:                             ;   in Loop: Header=BB6_128 Depth=2
	s_or_b32 exec_lo, exec_lo, s41
.LBB6_2863:                             ;   in Loop: Header=BB6_128 Depth=2
	s_delay_alu instid0(SALU_CYCLE_1)
	s_or_b32 exec_lo, exec_lo, s40
.LBB6_2864:                             ;   in Loop: Header=BB6_128 Depth=2
	s_delay_alu instid0(SALU_CYCLE_1) | instskip(NEXT) | instid1(VALU_DEP_1)
	s_or_b32 exec_lo, exec_lo, s10
	v_add_f32_e32 v14, v18, v21
                                        ; implicit-def: $vgpr21
	s_mov_b32 s10, exec_lo
	s_delay_alu instid0(VALU_DEP_1) | instskip(SKIP_1) | instid1(VALU_DEP_2)
	v_and_b32_e32 v54, 0x7f800000, v14
	v_lshrrev_b32_e32 v15, 24, v14
	v_cmpx_ne_u64_e32 0x7f800000, v[54:55]
	s_xor_b32 s40, exec_lo, s10
	s_cbranch_execz .LBB6_2878
; %bb.2865:                             ;   in Loop: Header=BB6_128 Depth=2
	v_and_b32_e32 v54, 0x7fffffff, v14
	v_and_b32_e32 v31, 0x80, v15
                                        ; implicit-def: $vgpr21
	s_mov_b32 s10, exec_lo
	s_delay_alu instid0(VALU_DEP_2)
	v_cmpx_gt_u64_e32 0x43e00001, v[54:55]
	s_xor_b32 s41, exec_lo, s10
	s_cbranch_execz .LBB6_2875
; %bb.2866:                             ;   in Loop: Header=BB6_128 Depth=2
	v_mov_b32_e32 v21, 0
	s_mov_b32 s42, exec_lo
	v_cmpx_ne_u32_e32 0, v14
	s_cbranch_execz .LBB6_2874
; %bb.2867:                             ;   in Loop: Header=BB6_128 Depth=2
	v_bfe_u32 v21, v14, 23, 8
	v_and_b32_e32 v15, 0x7fffff, v14
	s_delay_alu instid0(VALU_DEP_2) | instskip(SKIP_2) | instid1(VALU_DEP_4)
	v_cmp_gt_u32_e64 s10, 0x7a, v21
	v_sub_nc_u32_e32 v14, 0x79, v21
	v_cmp_eq_u32_e32 vcc_lo, 0, v21
	v_or_b32_e32 v18, 0x800000, v15
	s_delay_alu instid0(VALU_DEP_1) | instskip(NEXT) | instid1(VALU_DEP_1)
	v_dual_cndmask_b32 v14, 0, v14, s10 :: v_dual_cndmask_b32 v54, v18, v15, vcc_lo
	v_cndmask_b32_e64 v39, v14, 0x78, vcc_lo
	s_delay_alu instid0(VALU_DEP_1) | instskip(NEXT) | instid1(VALU_DEP_1)
	v_dual_add_nc_u32 v14, 20, v39 :: v_dual_add_nc_u32 v18, 19, v39
	v_lshlrev_b64_e64 v[14:15], v14, -1
	s_delay_alu instid0(VALU_DEP_2) | instskip(NEXT) | instid1(VALU_DEP_2)
	v_lshlrev_b64_e64 v[18:19], v18, 1
	v_bfi_b32 v15, v15, 0, 0
	s_delay_alu instid0(VALU_DEP_3) | instskip(NEXT) | instid1(VALU_DEP_1)
	v_bfi_b32 v14, v14, 0, v54
	v_cmp_eq_u64_e64 s10, v[14:15], v[18:19]
	v_lshrrev_b64 v[14:15], v39, v[54:55]
	s_delay_alu instid0(VALU_DEP_1)
	v_mov_b64_e32 v[18:19], v[14:15]
	s_and_saveexec_b32 s43, s10
; %bb.2868:                             ;   in Loop: Header=BB6_128 Depth=2
	v_bfe_u32 v54, v14, 20, 1
	s_delay_alu instid0(VALU_DEP_1) | instskip(NEXT) | instid1(VALU_DEP_1)
	v_add_nc_u64_e32 v[18:19], v[14:15], v[54:55]
	v_add_nc_u64_e32 v[18:19], -1, v[18:19]
; %bb.2869:                             ;   in Loop: Header=BB6_128 Depth=2
	s_or_b32 exec_lo, exec_lo, s43
	v_add_nc_u32_e32 v15, 0xffffff81, v21
	v_lshrrev_b32_e32 v19, 23, v14
	s_mov_b32 s10, exec_lo
	s_delay_alu instid0(VALU_DEP_2) | instskip(NEXT) | instid1(VALU_DEP_1)
	v_cndmask_b32_e64 v15, v15, 0xffffff82, vcc_lo
	v_add3_u32 v21, v39, v15, v19
	v_and_b32_e32 v15, 0xfffff, v18
                                        ; implicit-def: $vgpr18
	s_delay_alu instid0(VALU_DEP_1) | instskip(NEXT) | instid1(VALU_DEP_1)
	v_dual_add_nc_u32 v19, 6, v21 :: v_dual_add_nc_u32 v54, v15, v14
                                        ; implicit-def: $vgpr14_vgpr15
	v_cmpx_ne_u32_e32 0, v19
	s_xor_b32 s10, exec_lo, s10
; %bb.2870:                             ;   in Loop: Header=BB6_128 Depth=2
	s_delay_alu instid0(VALU_DEP_2) | instskip(SKIP_1) | instid1(VALU_DEP_1)
	v_cmp_lt_u64_e32 vcc_lo, 0xffffff, v[54:55]
	v_add_nc_u32_e32 v14, 7, v21
	v_cndmask_b32_e32 v18, v19, v14, vcc_lo
	v_cndmask_b32_e64 v14, 0, 1, vcc_lo
	s_delay_alu instid0(VALU_DEP_1)
	v_lshrrev_b64 v[14:15], v14, v[54:55]
; %bb.2871:                             ;   in Loop: Header=BB6_128 Depth=2
	s_and_not1_saveexec_b32 s10, s10
; %bb.2872:                             ;   in Loop: Header=BB6_128 Depth=2
	v_mov_b64_e32 v[14:15], v[54:55]
	v_bfe_u32 v18, v54, 23, 1
; %bb.2873:                             ;   in Loop: Header=BB6_128 Depth=2
	s_or_b32 exec_lo, exec_lo, s10
	s_delay_alu instid0(VALU_DEP_2) | instskip(NEXT) | instid1(VALU_DEP_2)
	v_lshrrev_b64 v[14:15], 20, v[14:15]
	v_cmp_gt_i32_e32 vcc_lo, 16, v18
	v_min_i32_e32 v19, 15, v18
	v_cmp_eq_u32_e64 s10, 0, v18
	s_delay_alu instid0(VALU_DEP_4) | instskip(NEXT) | instid1(VALU_DEP_3)
	v_cndmask_b32_e32 v15, 0, v15, vcc_lo
	v_dual_cndmask_b32 v14, 7, v14 :: v_dual_lshlrev_b32 v19, 3, v19
	s_delay_alu instid0(VALU_DEP_1) | instskip(NEXT) | instid1(VALU_DEP_2)
	v_and_b32_e32 v19, 0xf8, v19
	v_cmp_eq_u64_e32 vcc_lo, 0, v[14:15]
	s_delay_alu instid0(VALU_DEP_2)
	v_and_or_b32 v14, v14, 7, v19
	s_and_b32 s10, s10, vcc_lo
	s_delay_alu instid0(VALU_DEP_1) | instid1(SALU_CYCLE_1)
	v_cndmask_b32_e64 v14, v14, 0, s10
	s_delay_alu instid0(VALU_DEP_1)
	v_or_b32_e32 v21, v14, v31
.LBB6_2874:                             ;   in Loop: Header=BB6_128 Depth=2
	s_or_b32 exec_lo, exec_lo, s42
                                        ; implicit-def: $vgpr31
.LBB6_2875:                             ;   in Loop: Header=BB6_128 Depth=2
	s_and_not1_saveexec_b32 s10, s41
; %bb.2876:                             ;   in Loop: Header=BB6_128 Depth=2
	v_or_b32_e32 v21, 0x7e, v31
; %bb.2877:                             ;   in Loop: Header=BB6_128 Depth=2
	s_or_b32 exec_lo, exec_lo, s10
                                        ; implicit-def: $vgpr15
.LBB6_2878:                             ;   in Loop: Header=BB6_128 Depth=2
	s_and_not1_saveexec_b32 s10, s40
; %bb.2879:                             ;   in Loop: Header=BB6_128 Depth=2
	v_or_b32_e32 v21, 0x7f, v15
; %bb.2880:                             ;   in Loop: Header=BB6_128 Depth=2
	s_or_b32 exec_lo, exec_lo, s10
	v_lshl_or_b32 v39, v94, 8, v92
	v_dual_lshlrev_b32 v14, 16, v95 :: v_dual_lshlrev_b32 v15, 24, v105
	s_mov_b32 s10, exec_lo
	s_delay_alu instid0(VALU_DEP_1)
	v_or3_b32 v54, v14, v15, v39
	v_dual_mov_b32 v14, 0 :: v_dual_mov_b32 v15, 0
	v_cmpx_ne_u32_e32 0, v92
	s_cbranch_execz .LBB6_2886
; %bb.2881:                             ;   in Loop: Header=BB6_128 Depth=2
	v_bfrev_b32_e32 v15, 1
	s_mov_b32 s40, exec_lo
	v_cmpx_ne_u32_e32 0x80, v92
	s_cbranch_execz .LBB6_2885
; %bb.2882:                             ;   in Loop: Header=BB6_128 Depth=2
	v_and_b32_e32 v18, 0x7f, v92
	v_mov_b32_e32 v15, 0x7f800001
	s_mov_b32 s41, exec_lo
	s_delay_alu instid0(VALU_DEP_2)
	v_cmpx_ne_u32_e32 0x7f, v18
	s_cbranch_execz .LBB6_2884
; %bb.2883:                             ;   in Loop: Header=BB6_128 Depth=2
	v_dual_lshrrev_b32 v19, 3, v18 :: v_dual_bitop2_b32 v15, 7, v92 bitop3:0x40
	v_cmp_gt_u32_e32 vcc_lo, 8, v18
	s_delay_alu instid0(VALU_DEP_2) | instskip(NEXT) | instid1(VALU_DEP_1)
	v_clz_i32_u32_e32 v15, v15
	v_min_u32_e32 v15, 32, v15
	s_delay_alu instid0(VALU_DEP_1) | instskip(NEXT) | instid1(VALU_DEP_1)
	v_subrev_nc_u32_e32 v18, 28, v15
	v_dual_cndmask_b32 v18, 0, v18 :: v_dual_sub_nc_u32 v15, 29, v15
	s_delay_alu instid0(VALU_DEP_1) | instskip(NEXT) | instid1(VALU_DEP_2)
	v_cndmask_b32_e32 v15, v19, v15, vcc_lo
	v_lshlrev_b64_e32 v[18:19], v18, v[54:55]
	v_lshlrev_b32_e32 v19, 24, v54
	s_delay_alu instid0(VALU_DEP_1) | instskip(NEXT) | instid1(VALU_DEP_3)
	v_and_b32_e32 v19, 0x80000000, v19
	v_lshlrev_b32_e32 v18, 20, v18
	v_lshl_add_u32 v15, v15, 23, 0x3c000000
	s_delay_alu instid0(VALU_DEP_2) | instskip(NEXT) | instid1(VALU_DEP_1)
	v_and_b32_e32 v18, 0x700000, v18
	v_or3_b32 v15, v18, v19, v15
.LBB6_2884:                             ;   in Loop: Header=BB6_128 Depth=2
	s_or_b32 exec_lo, exec_lo, s41
.LBB6_2885:                             ;   in Loop: Header=BB6_128 Depth=2
	s_delay_alu instid0(SALU_CYCLE_1)
	s_or_b32 exec_lo, exec_lo, s40
.LBB6_2886:                             ;   in Loop: Header=BB6_128 Depth=2
	s_delay_alu instid0(SALU_CYCLE_1) | instskip(SKIP_2) | instid1(VALU_DEP_1)
	s_or_b32 exec_lo, exec_lo, s10
	v_and_b32_e32 v18, 0xff, v16
	s_mov_b32 s10, exec_lo
	v_cmpx_ne_u16_e32 0, v18
	s_cbranch_execz .LBB6_2892
; %bb.2887:                             ;   in Loop: Header=BB6_128 Depth=2
	v_bfrev_b32_e32 v14, 1
	s_mov_b32 s40, exec_lo
	v_cmpx_ne_u16_e32 0x80, v18
	s_cbranch_execz .LBB6_2891
; %bb.2888:                             ;   in Loop: Header=BB6_128 Depth=2
	v_and_b32_e32 v18, 0x7f, v16
	v_mov_b32_e32 v14, 0x7f800001
	s_mov_b32 s41, exec_lo
	s_delay_alu instid0(VALU_DEP_2)
	v_cmpx_ne_u32_e32 0x7f, v18
	s_cbranch_execz .LBB6_2890
; %bb.2889:                             ;   in Loop: Header=BB6_128 Depth=2
	v_dual_lshrrev_b32 v19, 3, v18 :: v_dual_bitop2_b32 v14, 7, v16 bitop3:0x40
	v_cmp_gt_u32_e32 vcc_lo, 8, v18
	s_delay_alu instid0(VALU_DEP_2) | instskip(NEXT) | instid1(VALU_DEP_1)
	v_clz_i32_u32_e32 v14, v14
	v_min_u32_e32 v14, 32, v14
	s_delay_alu instid0(VALU_DEP_1) | instskip(SKIP_1) | instid1(VALU_DEP_2)
	v_subrev_nc_u32_e32 v18, 28, v14
	v_sub_nc_u32_e32 v14, 29, v14
	v_cndmask_b32_e32 v18, 0, v18, vcc_lo
	s_delay_alu instid0(VALU_DEP_2) | instskip(NEXT) | instid1(VALU_DEP_2)
	v_cndmask_b32_e32 v14, v19, v14, vcc_lo
	v_lshlrev_b64_e32 v[18:19], v18, v[16:17]
	v_lshlrev_b32_e32 v19, 24, v16
	s_delay_alu instid0(VALU_DEP_3) | instskip(NEXT) | instid1(VALU_DEP_2)
	v_lshl_add_u32 v14, v14, 23, 0x3c000000
	v_and_b32_e32 v19, 0x80000000, v19
	s_delay_alu instid0(VALU_DEP_4) | instskip(NEXT) | instid1(VALU_DEP_1)
	v_lshlrev_b32_e32 v18, 20, v18
	v_and_b32_e32 v18, 0x700000, v18
	s_delay_alu instid0(VALU_DEP_1)
	v_or3_b32 v14, v18, v19, v14
.LBB6_2890:                             ;   in Loop: Header=BB6_128 Depth=2
	s_or_b32 exec_lo, exec_lo, s41
.LBB6_2891:                             ;   in Loop: Header=BB6_128 Depth=2
	s_delay_alu instid0(SALU_CYCLE_1)
	s_or_b32 exec_lo, exec_lo, s40
.LBB6_2892:                             ;   in Loop: Header=BB6_128 Depth=2
	s_delay_alu instid0(SALU_CYCLE_1) | instskip(NEXT) | instid1(VALU_DEP_1)
	s_or_b32 exec_lo, exec_lo, s10
	v_add_f32_e32 v14, v15, v14
	v_mov_b32_e32 v19, v55
                                        ; implicit-def: $vgpr31
	s_mov_b32 s10, exec_lo
	s_delay_alu instid0(VALU_DEP_2) | instskip(SKIP_1) | instid1(VALU_DEP_2)
	v_and_b32_e32 v18, 0x7f800000, v14
	v_lshrrev_b32_e32 v15, 24, v14
	v_cmpx_ne_u64_e32 0x7f800000, v[18:19]
	s_xor_b32 s40, exec_lo, s10
	s_cbranch_execz .LBB6_2906
; %bb.2893:                             ;   in Loop: Header=BB6_128 Depth=2
	v_and_b32_e32 v18, 0x7fffffff, v14
	v_mov_b32_e32 v19, v55
	v_and_b32_e32 v50, 0x80, v15
                                        ; implicit-def: $vgpr31
	s_mov_b32 s10, exec_lo
	s_delay_alu instid0(VALU_DEP_2)
	v_cmpx_gt_u64_e32 0x43e00001, v[18:19]
	s_xor_b32 s41, exec_lo, s10
	s_cbranch_execz .LBB6_2903
; %bb.2894:                             ;   in Loop: Header=BB6_128 Depth=2
	v_mov_b32_e32 v31, 0
	s_mov_b32 s42, exec_lo
	v_cmpx_ne_u32_e32 0, v14
	s_cbranch_execz .LBB6_2902
; %bb.2895:                             ;   in Loop: Header=BB6_128 Depth=2
	v_bfe_u32 v31, v14, 23, 8
	v_and_b32_e32 v15, 0x7fffff, v14
	s_delay_alu instid0(VALU_DEP_2) | instskip(SKIP_2) | instid1(VALU_DEP_4)
	v_cmp_gt_u32_e64 s10, 0x7a, v31
	v_sub_nc_u32_e32 v14, 0x79, v31
	v_cmp_eq_u32_e32 vcc_lo, 0, v31
	v_or_b32_e32 v18, 0x800000, v15
	s_delay_alu instid0(VALU_DEP_3) | instskip(NEXT) | instid1(VALU_DEP_1)
	v_cndmask_b32_e64 v14, 0, v14, s10
	v_cndmask_b32_e64 v51, v14, 0x78, vcc_lo
	s_delay_alu instid0(VALU_DEP_3) | instskip(NEXT) | instid1(VALU_DEP_2)
	v_dual_cndmask_b32 v14, v18, v15 :: v_dual_mov_b32 v15, v55
	v_dual_add_nc_u32 v18, 20, v51 :: v_dual_add_nc_u32 v53, 19, v51
	s_delay_alu instid0(VALU_DEP_1) | instskip(NEXT) | instid1(VALU_DEP_2)
	v_lshlrev_b64_e64 v[18:19], v18, -1
	v_lshlrev_b64_e64 v[100:101], v53, 1
	s_delay_alu instid0(VALU_DEP_2) | instskip(SKIP_1) | instid1(VALU_DEP_4)
	v_bfi_b32 v18, v18, 0, v14
	v_lshrrev_b64 v[14:15], v51, v[14:15]
	v_bfi_b32 v19, v19, 0, 0
	s_delay_alu instid0(VALU_DEP_1) | instskip(NEXT) | instid1(VALU_DEP_3)
	v_cmp_eq_u64_e64 s10, v[18:19], v[100:101]
	v_mov_b64_e32 v[18:19], v[14:15]
	s_and_saveexec_b32 s43, s10
; %bb.2896:                             ;   in Loop: Header=BB6_128 Depth=2
	v_bfe_u32 v18, v14, 20, 1
	v_mov_b32_e32 v19, v55
	s_delay_alu instid0(VALU_DEP_1) | instskip(NEXT) | instid1(VALU_DEP_1)
	v_add_nc_u64_e32 v[18:19], v[14:15], v[18:19]
	v_add_nc_u64_e32 v[18:19], -1, v[18:19]
; %bb.2897:                             ;   in Loop: Header=BB6_128 Depth=2
	s_or_b32 exec_lo, exec_lo, s43
	v_add_nc_u32_e32 v15, 0xffffff81, v31
	v_lshrrev_b32_e32 v19, 23, v14
	s_mov_b32 s10, exec_lo
	s_delay_alu instid0(VALU_DEP_2) | instskip(NEXT) | instid1(VALU_DEP_1)
	v_cndmask_b32_e64 v15, v15, 0xffffff82, vcc_lo
	v_add3_u32 v31, v51, v15, v19
	v_and_b32_e32 v15, 0xfffff, v18
                                        ; implicit-def: $vgpr18
	s_delay_alu instid0(VALU_DEP_1) | instskip(SKIP_1) | instid1(VALU_DEP_2)
	v_dual_add_nc_u32 v19, 6, v31 :: v_dual_add_nc_u32 v14, v15, v14
	v_mov_b32_e32 v15, v55
	v_cmpx_ne_u32_e32 0, v19
	s_xor_b32 s10, exec_lo, s10
; %bb.2898:                             ;   in Loop: Header=BB6_128 Depth=2
	s_delay_alu instid0(VALU_DEP_2) | instskip(SKIP_1) | instid1(VALU_DEP_1)
	v_cmp_lt_u64_e32 vcc_lo, 0xffffff, v[14:15]
	v_add_nc_u32_e32 v18, 7, v31
	v_cndmask_b32_e32 v18, v19, v18, vcc_lo
	v_cndmask_b32_e64 v19, 0, 1, vcc_lo
	s_delay_alu instid0(VALU_DEP_1)
	v_lshrrev_b64 v[14:15], v19, v[14:15]
; %bb.2899:                             ;   in Loop: Header=BB6_128 Depth=2
	s_and_not1_saveexec_b32 s10, s10
; %bb.2900:                             ;   in Loop: Header=BB6_128 Depth=2
	s_delay_alu instid0(VALU_DEP_1)
	v_bfe_u32 v18, v14, 23, 1
; %bb.2901:                             ;   in Loop: Header=BB6_128 Depth=2
	s_or_b32 exec_lo, exec_lo, s10
	s_delay_alu instid0(VALU_DEP_2) | instskip(NEXT) | instid1(VALU_DEP_2)
	v_lshrrev_b64 v[14:15], 20, v[14:15]
	v_cmp_gt_i32_e32 vcc_lo, 16, v18
	v_min_i32_e32 v19, 15, v18
	v_cmp_eq_u32_e64 s10, 0, v18
	s_delay_alu instid0(VALU_DEP_4) | instskip(NEXT) | instid1(VALU_DEP_3)
	v_cndmask_b32_e32 v15, 0, v15, vcc_lo
	v_dual_cndmask_b32 v14, 7, v14 :: v_dual_lshlrev_b32 v19, 3, v19
	s_delay_alu instid0(VALU_DEP_1) | instskip(NEXT) | instid1(VALU_DEP_2)
	v_and_b32_e32 v19, 0xf8, v19
	v_cmp_eq_u64_e32 vcc_lo, 0, v[14:15]
	s_delay_alu instid0(VALU_DEP_2)
	v_and_or_b32 v14, v14, 7, v19
	s_and_b32 s10, s10, vcc_lo
	s_delay_alu instid0(VALU_DEP_1) | instid1(SALU_CYCLE_1)
	v_cndmask_b32_e64 v14, v14, 0, s10
	s_delay_alu instid0(VALU_DEP_1)
	v_or_b32_e32 v31, v14, v50
.LBB6_2902:                             ;   in Loop: Header=BB6_128 Depth=2
	s_or_b32 exec_lo, exec_lo, s42
                                        ; implicit-def: $vgpr50
.LBB6_2903:                             ;   in Loop: Header=BB6_128 Depth=2
	s_and_not1_saveexec_b32 s10, s41
; %bb.2904:                             ;   in Loop: Header=BB6_128 Depth=2
	v_or_b32_e32 v31, 0x7e, v50
; %bb.2905:                             ;   in Loop: Header=BB6_128 Depth=2
	s_or_b32 exec_lo, exec_lo, s10
                                        ; implicit-def: $vgpr15
.LBB6_2906:                             ;   in Loop: Header=BB6_128 Depth=2
	s_and_not1_saveexec_b32 s10, s40
; %bb.2907:                             ;   in Loop: Header=BB6_128 Depth=2
	v_or_b32_e32 v31, 0x7f, v15
; %bb.2908:                             ;   in Loop: Header=BB6_128 Depth=2
	s_or_b32 exec_lo, exec_lo, s10
	v_lshrrev_b16 v14, 8, v39
	v_dual_mov_b32 v18, 0 :: v_dual_mov_b32 v19, 0
	s_mov_b32 s10, exec_lo
	s_delay_alu instid0(VALU_DEP_2)
	v_cmpx_ne_u16_e32 0, v14
	s_cbranch_execz .LBB6_2916
; %bb.2909:                             ;   in Loop: Header=BB6_128 Depth=2
	v_bfrev_b32_e32 v19, 1
	s_mov_b32 s40, exec_lo
	v_cmpx_ne_u16_e32 0x80, v14
	s_cbranch_execz .LBB6_2915
; %bb.2910:                             ;   in Loop: Header=BB6_128 Depth=2
	v_and_b32_e32 v14, 0xffff, v14
	v_mov_b32_e32 v19, 0x7f800001
	s_mov_b32 s41, exec_lo
	s_delay_alu instid0(VALU_DEP_2) | instskip(NEXT) | instid1(VALU_DEP_1)
	v_and_b32_e32 v50, 0x7f, v14
	v_cmpx_ne_u32_e32 0x7f, v50
	s_cbranch_execz .LBB6_2914
; %bb.2911:                             ;   in Loop: Header=BB6_128 Depth=2
	v_dual_mov_b32 v15, v55 :: v_dual_bitop2_b32 v14, 7, v14 bitop3:0x40
	v_lshrrev_b32_e32 v19, 3, v50
	s_mov_b32 s42, exec_lo
	v_cmpx_gt_u32_e32 8, v50
; %bb.2912:                             ;   in Loop: Header=BB6_128 Depth=2
	s_delay_alu instid0(VALU_DEP_3) | instskip(NEXT) | instid1(VALU_DEP_1)
	v_clz_i32_u32_e32 v19, v14
	v_min_u32_e32 v19, 32, v19
	s_delay_alu instid0(VALU_DEP_1) | instskip(NEXT) | instid1(VALU_DEP_1)
	v_subrev_nc_u32_e32 v50, 28, v19
	v_lshlrev_b64_e32 v[14:15], v50, v[14:15]
	s_delay_alu instid0(VALU_DEP_1)
	v_dual_sub_nc_u32 v19, 29, v19 :: v_dual_bitop2_b32 v14, 7, v14 bitop3:0x40
; %bb.2913:                             ;   in Loop: Header=BB6_128 Depth=2
	s_or_b32 exec_lo, exec_lo, s42
	s_delay_alu instid0(VALU_DEP_1) | instskip(NEXT) | instid1(VALU_DEP_2)
	v_dual_lshlrev_b32 v15, 16, v39 :: v_dual_lshlrev_b32 v14, 20, v14
	v_lshl_add_u32 v19, v19, 23, 0x3c000000
	s_delay_alu instid0(VALU_DEP_2) | instskip(NEXT) | instid1(VALU_DEP_1)
	v_and_b32_e32 v15, 0x80000000, v15
	v_or3_b32 v19, v14, v15, v19
.LBB6_2914:                             ;   in Loop: Header=BB6_128 Depth=2
	s_or_b32 exec_lo, exec_lo, s41
.LBB6_2915:                             ;   in Loop: Header=BB6_128 Depth=2
	s_delay_alu instid0(SALU_CYCLE_1)
	s_or_b32 exec_lo, exec_lo, s40
.LBB6_2916:                             ;   in Loop: Header=BB6_128 Depth=2
	s_delay_alu instid0(SALU_CYCLE_1) | instskip(SKIP_2) | instid1(VALU_DEP_1)
	s_or_b32 exec_lo, exec_lo, s10
	v_lshrrev_b16 v14, 8, v16
	s_mov_b32 s10, exec_lo
	v_cmpx_ne_u16_e32 0, v14
	s_cbranch_execz .LBB6_2924
; %bb.2917:                             ;   in Loop: Header=BB6_128 Depth=2
	v_bfrev_b32_e32 v18, 1
	s_mov_b32 s40, exec_lo
	v_cmpx_ne_u16_e32 0x80, v14
	s_cbranch_execz .LBB6_2923
; %bb.2918:                             ;   in Loop: Header=BB6_128 Depth=2
	v_and_b32_e32 v14, 0xffff, v14
	v_mov_b32_e32 v18, 0x7f800001
	s_mov_b32 s41, exec_lo
	s_delay_alu instid0(VALU_DEP_2) | instskip(NEXT) | instid1(VALU_DEP_1)
	v_and_b32_e32 v39, 0x7f, v14
	v_cmpx_ne_u32_e32 0x7f, v39
	s_cbranch_execz .LBB6_2922
; %bb.2919:                             ;   in Loop: Header=BB6_128 Depth=2
	v_dual_mov_b32 v15, v55 :: v_dual_bitop2_b32 v14, 7, v14 bitop3:0x40
	v_lshrrev_b32_e32 v18, 3, v39
	s_mov_b32 s42, exec_lo
	v_cmpx_gt_u32_e32 8, v39
; %bb.2920:                             ;   in Loop: Header=BB6_128 Depth=2
	s_delay_alu instid0(VALU_DEP_3) | instskip(NEXT) | instid1(VALU_DEP_1)
	v_clz_i32_u32_e32 v18, v14
	v_min_u32_e32 v18, 32, v18
	s_delay_alu instid0(VALU_DEP_1) | instskip(SKIP_1) | instid1(VALU_DEP_2)
	v_subrev_nc_u32_e32 v39, 28, v18
	v_sub_nc_u32_e32 v18, 29, v18
	v_lshlrev_b64_e32 v[14:15], v39, v[14:15]
	s_delay_alu instid0(VALU_DEP_1)
	v_and_b32_e32 v14, 7, v14
; %bb.2921:                             ;   in Loop: Header=BB6_128 Depth=2
	s_or_b32 exec_lo, exec_lo, s42
	s_delay_alu instid0(VALU_DEP_1) | instskip(SKIP_1) | instid1(VALU_DEP_2)
	v_dual_lshlrev_b32 v15, 16, v16 :: v_dual_lshlrev_b32 v14, 20, v14
	v_lshl_add_u32 v18, v18, 23, 0x3c000000
	v_and_b32_e32 v15, 0x80000000, v15
	s_delay_alu instid0(VALU_DEP_1)
	v_or3_b32 v18, v14, v15, v18
.LBB6_2922:                             ;   in Loop: Header=BB6_128 Depth=2
	s_or_b32 exec_lo, exec_lo, s41
.LBB6_2923:                             ;   in Loop: Header=BB6_128 Depth=2
	s_delay_alu instid0(SALU_CYCLE_1)
	s_or_b32 exec_lo, exec_lo, s40
.LBB6_2924:                             ;   in Loop: Header=BB6_128 Depth=2
	s_delay_alu instid0(SALU_CYCLE_1) | instskip(NEXT) | instid1(VALU_DEP_1)
	s_or_b32 exec_lo, exec_lo, s10
	v_add_f32_e32 v14, v19, v18
	v_mov_b32_e32 v19, v55
                                        ; implicit-def: $vgpr39
	s_mov_b32 s10, exec_lo
	s_delay_alu instid0(VALU_DEP_2) | instskip(SKIP_1) | instid1(VALU_DEP_2)
	v_and_b32_e32 v18, 0x7f800000, v14
	v_lshrrev_b32_e32 v15, 24, v14
	v_cmpx_ne_u64_e32 0x7f800000, v[18:19]
	s_xor_b32 s40, exec_lo, s10
	s_cbranch_execz .LBB6_2938
; %bb.2925:                             ;   in Loop: Header=BB6_128 Depth=2
	v_and_b32_e32 v18, 0x7fffffff, v14
	v_mov_b32_e32 v19, v55
	v_and_b32_e32 v50, 0x80, v15
                                        ; implicit-def: $vgpr39
	s_mov_b32 s10, exec_lo
	s_delay_alu instid0(VALU_DEP_2)
	v_cmpx_gt_u64_e32 0x43e00001, v[18:19]
	s_xor_b32 s41, exec_lo, s10
	s_cbranch_execz .LBB6_2935
; %bb.2926:                             ;   in Loop: Header=BB6_128 Depth=2
	v_mov_b32_e32 v39, 0
	s_mov_b32 s42, exec_lo
	v_cmpx_ne_u32_e32 0, v14
	s_cbranch_execz .LBB6_2934
; %bb.2927:                             ;   in Loop: Header=BB6_128 Depth=2
	v_bfe_u32 v39, v14, 23, 8
	v_and_b32_e32 v15, 0x7fffff, v14
	s_delay_alu instid0(VALU_DEP_2) | instskip(SKIP_2) | instid1(VALU_DEP_4)
	v_cmp_gt_u32_e64 s10, 0x7a, v39
	v_sub_nc_u32_e32 v14, 0x79, v39
	v_cmp_eq_u32_e32 vcc_lo, 0, v39
	v_or_b32_e32 v18, 0x800000, v15
	s_delay_alu instid0(VALU_DEP_3) | instskip(NEXT) | instid1(VALU_DEP_1)
	v_cndmask_b32_e64 v14, 0, v14, s10
	v_cndmask_b32_e64 v51, v14, 0x78, vcc_lo
	s_delay_alu instid0(VALU_DEP_3) | instskip(NEXT) | instid1(VALU_DEP_2)
	v_dual_cndmask_b32 v14, v18, v15 :: v_dual_mov_b32 v15, v55
	v_dual_add_nc_u32 v18, 20, v51 :: v_dual_add_nc_u32 v53, 19, v51
	s_delay_alu instid0(VALU_DEP_1) | instskip(NEXT) | instid1(VALU_DEP_2)
	v_lshlrev_b64_e64 v[18:19], v18, -1
	v_lshlrev_b64_e64 v[100:101], v53, 1
	s_delay_alu instid0(VALU_DEP_2) | instskip(SKIP_1) | instid1(VALU_DEP_4)
	v_bfi_b32 v18, v18, 0, v14
	v_lshrrev_b64 v[14:15], v51, v[14:15]
	v_bfi_b32 v19, v19, 0, 0
	s_delay_alu instid0(VALU_DEP_1) | instskip(NEXT) | instid1(VALU_DEP_3)
	v_cmp_eq_u64_e64 s10, v[18:19], v[100:101]
	v_mov_b64_e32 v[18:19], v[14:15]
	s_and_saveexec_b32 s43, s10
; %bb.2928:                             ;   in Loop: Header=BB6_128 Depth=2
	v_bfe_u32 v18, v14, 20, 1
	v_mov_b32_e32 v19, v55
	s_delay_alu instid0(VALU_DEP_1) | instskip(NEXT) | instid1(VALU_DEP_1)
	v_add_nc_u64_e32 v[18:19], v[14:15], v[18:19]
	v_add_nc_u64_e32 v[18:19], -1, v[18:19]
; %bb.2929:                             ;   in Loop: Header=BB6_128 Depth=2
	s_or_b32 exec_lo, exec_lo, s43
	v_add_nc_u32_e32 v15, 0xffffff81, v39
	v_lshrrev_b32_e32 v19, 23, v14
	s_mov_b32 s10, exec_lo
	s_delay_alu instid0(VALU_DEP_2) | instskip(NEXT) | instid1(VALU_DEP_1)
	v_cndmask_b32_e64 v15, v15, 0xffffff82, vcc_lo
	v_add3_u32 v39, v51, v15, v19
	v_and_b32_e32 v15, 0xfffff, v18
                                        ; implicit-def: $vgpr18
	s_delay_alu instid0(VALU_DEP_1) | instskip(SKIP_1) | instid1(VALU_DEP_2)
	v_dual_add_nc_u32 v19, 6, v39 :: v_dual_add_nc_u32 v14, v15, v14
	v_mov_b32_e32 v15, v55
	v_cmpx_ne_u32_e32 0, v19
	s_xor_b32 s10, exec_lo, s10
; %bb.2930:                             ;   in Loop: Header=BB6_128 Depth=2
	s_delay_alu instid0(VALU_DEP_2) | instskip(SKIP_1) | instid1(VALU_DEP_1)
	v_cmp_lt_u64_e32 vcc_lo, 0xffffff, v[14:15]
	v_add_nc_u32_e32 v18, 7, v39
	v_cndmask_b32_e32 v18, v19, v18, vcc_lo
	v_cndmask_b32_e64 v19, 0, 1, vcc_lo
	s_delay_alu instid0(VALU_DEP_1)
	v_lshrrev_b64 v[14:15], v19, v[14:15]
; %bb.2931:                             ;   in Loop: Header=BB6_128 Depth=2
	s_and_not1_saveexec_b32 s10, s10
; %bb.2932:                             ;   in Loop: Header=BB6_128 Depth=2
	s_delay_alu instid0(VALU_DEP_1)
	v_bfe_u32 v18, v14, 23, 1
; %bb.2933:                             ;   in Loop: Header=BB6_128 Depth=2
	s_or_b32 exec_lo, exec_lo, s10
	s_delay_alu instid0(VALU_DEP_2) | instskip(NEXT) | instid1(VALU_DEP_2)
	v_lshrrev_b64 v[14:15], 20, v[14:15]
	v_cmp_gt_i32_e32 vcc_lo, 16, v18
	v_min_i32_e32 v19, 15, v18
	v_cmp_eq_u32_e64 s10, 0, v18
	s_delay_alu instid0(VALU_DEP_4) | instskip(NEXT) | instid1(VALU_DEP_3)
	v_cndmask_b32_e32 v15, 0, v15, vcc_lo
	v_dual_cndmask_b32 v14, 7, v14 :: v_dual_lshlrev_b32 v19, 3, v19
	s_delay_alu instid0(VALU_DEP_1) | instskip(NEXT) | instid1(VALU_DEP_2)
	v_and_b32_e32 v19, 0xf8, v19
	v_cmp_eq_u64_e32 vcc_lo, 0, v[14:15]
	s_delay_alu instid0(VALU_DEP_2)
	v_and_or_b32 v14, v14, 7, v19
	s_and_b32 s10, s10, vcc_lo
	s_delay_alu instid0(VALU_DEP_1) | instid1(SALU_CYCLE_1)
	v_cndmask_b32_e64 v14, v14, 0, s10
	s_delay_alu instid0(VALU_DEP_1)
	v_or_b32_e32 v39, v14, v50
.LBB6_2934:                             ;   in Loop: Header=BB6_128 Depth=2
	s_or_b32 exec_lo, exec_lo, s42
                                        ; implicit-def: $vgpr50
.LBB6_2935:                             ;   in Loop: Header=BB6_128 Depth=2
	s_and_not1_saveexec_b32 s10, s41
; %bb.2936:                             ;   in Loop: Header=BB6_128 Depth=2
	v_or_b32_e32 v39, 0x7e, v50
; %bb.2937:                             ;   in Loop: Header=BB6_128 Depth=2
	s_or_b32 exec_lo, exec_lo, s10
                                        ; implicit-def: $vgpr15
.LBB6_2938:                             ;   in Loop: Header=BB6_128 Depth=2
	s_and_not1_saveexec_b32 s10, s40
; %bb.2939:                             ;   in Loop: Header=BB6_128 Depth=2
	v_or_b32_e32 v39, 0x7f, v15
; %bb.2940:                             ;   in Loop: Header=BB6_128 Depth=2
	s_or_b32 exec_lo, exec_lo, s10
	v_dual_lshrrev_b32 v50, 16, v54 :: v_dual_mov_b32 v18, 0
	v_mov_b32_e32 v19, 0
	s_mov_b32 s10, exec_lo
	s_delay_alu instid0(VALU_DEP_2) | instskip(NEXT) | instid1(VALU_DEP_1)
	v_and_b32_e32 v14, 0xff, v50
	v_cmpx_ne_u16_e32 0, v14
	s_cbranch_execz .LBB6_2948
; %bb.2941:                             ;   in Loop: Header=BB6_128 Depth=2
	v_bfrev_b32_e32 v19, 1
	s_mov_b32 s40, exec_lo
	v_cmpx_ne_u16_e32 0x80, v14
	s_cbranch_execz .LBB6_2947
; %bb.2942:                             ;   in Loop: Header=BB6_128 Depth=2
	v_bfe_u32 v51, v54, 16, 7
	v_mov_b32_e32 v19, 0x7f800001
	s_mov_b32 s41, exec_lo
	s_delay_alu instid0(VALU_DEP_2)
	v_cmpx_ne_u32_e32 0x7f, v51
	s_cbranch_execz .LBB6_2946
; %bb.2943:                             ;   in Loop: Header=BB6_128 Depth=2
	v_dual_mov_b32 v15, v55 :: v_dual_bitop2_b32 v14, 7, v50 bitop3:0x40
	v_lshrrev_b32_e32 v19, 3, v51
	s_mov_b32 s42, exec_lo
	v_cmpx_gt_u32_e32 8, v51
; %bb.2944:                             ;   in Loop: Header=BB6_128 Depth=2
	s_delay_alu instid0(VALU_DEP_3) | instskip(NEXT) | instid1(VALU_DEP_1)
	v_clz_i32_u32_e32 v19, v14
	v_min_u32_e32 v19, 32, v19
	s_delay_alu instid0(VALU_DEP_1) | instskip(NEXT) | instid1(VALU_DEP_1)
	v_subrev_nc_u32_e32 v51, 28, v19
	v_lshlrev_b64_e32 v[14:15], v51, v[14:15]
	s_delay_alu instid0(VALU_DEP_1)
	v_dual_sub_nc_u32 v19, 29, v19 :: v_dual_bitop2_b32 v14, 7, v14 bitop3:0x40
; %bb.2945:                             ;   in Loop: Header=BB6_128 Depth=2
	s_or_b32 exec_lo, exec_lo, s42
	v_lshlrev_b32_e32 v15, 24, v50
	s_delay_alu instid0(VALU_DEP_2) | instskip(NEXT) | instid1(VALU_DEP_3)
	v_lshlrev_b32_e32 v14, 20, v14
	v_lshl_add_u32 v19, v19, 23, 0x3c000000
	s_delay_alu instid0(VALU_DEP_3) | instskip(NEXT) | instid1(VALU_DEP_1)
	v_and_b32_e32 v15, 0x80000000, v15
	v_or3_b32 v19, v14, v15, v19
.LBB6_2946:                             ;   in Loop: Header=BB6_128 Depth=2
	s_or_b32 exec_lo, exec_lo, s41
.LBB6_2947:                             ;   in Loop: Header=BB6_128 Depth=2
	s_delay_alu instid0(SALU_CYCLE_1)
	s_or_b32 exec_lo, exec_lo, s40
.LBB6_2948:                             ;   in Loop: Header=BB6_128 Depth=2
	s_delay_alu instid0(SALU_CYCLE_1) | instskip(SKIP_2) | instid1(VALU_DEP_1)
	s_or_b32 exec_lo, exec_lo, s10
	v_lshrrev_b32_e32 v14, 16, v16
	s_mov_b32 s10, exec_lo
	v_and_b32_e32 v15, 0xff, v14
	s_delay_alu instid0(VALU_DEP_1)
	v_cmpx_ne_u16_e32 0, v15
	s_cbranch_execz .LBB6_2956
; %bb.2949:                             ;   in Loop: Header=BB6_128 Depth=2
	v_bfrev_b32_e32 v18, 1
	s_mov_b32 s40, exec_lo
	v_cmpx_ne_u16_e32 0x80, v15
	s_cbranch_execz .LBB6_2955
; %bb.2950:                             ;   in Loop: Header=BB6_128 Depth=2
	v_bfe_u32 v50, v16, 16, 7
	v_mov_b32_e32 v18, 0x7f800001
	s_mov_b32 s41, exec_lo
	s_delay_alu instid0(VALU_DEP_2)
	v_cmpx_ne_u32_e32 0x7f, v50
	s_cbranch_execz .LBB6_2954
; %bb.2951:                             ;   in Loop: Header=BB6_128 Depth=2
	v_dual_mov_b32 v15, v55 :: v_dual_bitop2_b32 v14, 7, v14 bitop3:0x40
	v_lshrrev_b32_e32 v18, 3, v50
	s_mov_b32 s42, exec_lo
	v_cmpx_gt_u32_e32 8, v50
; %bb.2952:                             ;   in Loop: Header=BB6_128 Depth=2
	s_delay_alu instid0(VALU_DEP_3) | instskip(NEXT) | instid1(VALU_DEP_1)
	v_clz_i32_u32_e32 v18, v14
	v_min_u32_e32 v18, 32, v18
	s_delay_alu instid0(VALU_DEP_1) | instskip(SKIP_1) | instid1(VALU_DEP_2)
	v_subrev_nc_u32_e32 v50, 28, v18
	v_sub_nc_u32_e32 v18, 29, v18
	v_lshlrev_b64_e32 v[14:15], v50, v[14:15]
	s_delay_alu instid0(VALU_DEP_1)
	v_and_b32_e32 v14, 7, v14
; %bb.2953:                             ;   in Loop: Header=BB6_128 Depth=2
	s_or_b32 exec_lo, exec_lo, s42
	s_delay_alu instid0(VALU_DEP_1) | instskip(SKIP_1) | instid1(VALU_DEP_2)
	v_dual_lshlrev_b32 v15, 8, v16 :: v_dual_lshlrev_b32 v14, 20, v14
	v_lshl_add_u32 v18, v18, 23, 0x3c000000
	v_and_b32_e32 v15, 0x80000000, v15
	s_delay_alu instid0(VALU_DEP_1)
	v_or3_b32 v18, v14, v15, v18
.LBB6_2954:                             ;   in Loop: Header=BB6_128 Depth=2
	s_or_b32 exec_lo, exec_lo, s41
.LBB6_2955:                             ;   in Loop: Header=BB6_128 Depth=2
	s_delay_alu instid0(SALU_CYCLE_1)
	s_or_b32 exec_lo, exec_lo, s40
.LBB6_2956:                             ;   in Loop: Header=BB6_128 Depth=2
	s_delay_alu instid0(SALU_CYCLE_1) | instskip(NEXT) | instid1(VALU_DEP_1)
	s_or_b32 exec_lo, exec_lo, s10
	v_add_f32_e32 v14, v19, v18
	v_mov_b32_e32 v19, v55
                                        ; implicit-def: $vgpr50
	s_mov_b32 s10, exec_lo
	s_delay_alu instid0(VALU_DEP_2) | instskip(SKIP_1) | instid1(VALU_DEP_2)
	v_and_b32_e32 v18, 0x7f800000, v14
	v_lshrrev_b32_e32 v15, 24, v14
	v_cmpx_ne_u64_e32 0x7f800000, v[18:19]
	s_xor_b32 s40, exec_lo, s10
	s_cbranch_execz .LBB6_2970
; %bb.2957:                             ;   in Loop: Header=BB6_128 Depth=2
	v_and_b32_e32 v18, 0x7fffffff, v14
	v_mov_b32_e32 v19, v55
	v_and_b32_e32 v51, 0x80, v15
                                        ; implicit-def: $vgpr50
	s_mov_b32 s10, exec_lo
	s_delay_alu instid0(VALU_DEP_2)
	v_cmpx_gt_u64_e32 0x43e00001, v[18:19]
	s_xor_b32 s41, exec_lo, s10
	s_cbranch_execz .LBB6_2967
; %bb.2958:                             ;   in Loop: Header=BB6_128 Depth=2
	v_mov_b32_e32 v50, 0
	s_mov_b32 s42, exec_lo
	v_cmpx_ne_u32_e32 0, v14
	s_cbranch_execz .LBB6_2966
; %bb.2959:                             ;   in Loop: Header=BB6_128 Depth=2
	v_bfe_u32 v50, v14, 23, 8
	v_and_b32_e32 v15, 0x7fffff, v14
	s_delay_alu instid0(VALU_DEP_2) | instskip(SKIP_2) | instid1(VALU_DEP_4)
	v_cmp_gt_u32_e64 s10, 0x7a, v50
	v_sub_nc_u32_e32 v14, 0x79, v50
	v_cmp_eq_u32_e32 vcc_lo, 0, v50
	v_or_b32_e32 v18, 0x800000, v15
	s_delay_alu instid0(VALU_DEP_3) | instskip(NEXT) | instid1(VALU_DEP_1)
	v_cndmask_b32_e64 v14, 0, v14, s10
	v_cndmask_b32_e64 v53, v14, 0x78, vcc_lo
	s_delay_alu instid0(VALU_DEP_3) | instskip(NEXT) | instid1(VALU_DEP_2)
	v_dual_cndmask_b32 v14, v18, v15 :: v_dual_mov_b32 v15, v55
	v_dual_add_nc_u32 v18, 20, v53 :: v_dual_add_nc_u32 v67, 19, v53
	s_delay_alu instid0(VALU_DEP_1) | instskip(NEXT) | instid1(VALU_DEP_2)
	v_lshlrev_b64_e64 v[18:19], v18, -1
	v_lshlrev_b64_e64 v[100:101], v67, 1
	s_delay_alu instid0(VALU_DEP_2) | instskip(SKIP_1) | instid1(VALU_DEP_4)
	v_bfi_b32 v18, v18, 0, v14
	v_lshrrev_b64 v[14:15], v53, v[14:15]
	v_bfi_b32 v19, v19, 0, 0
	s_delay_alu instid0(VALU_DEP_1) | instskip(NEXT) | instid1(VALU_DEP_3)
	v_cmp_eq_u64_e64 s10, v[18:19], v[100:101]
	v_mov_b64_e32 v[18:19], v[14:15]
	s_and_saveexec_b32 s43, s10
; %bb.2960:                             ;   in Loop: Header=BB6_128 Depth=2
	v_bfe_u32 v18, v14, 20, 1
	v_mov_b32_e32 v19, v55
	s_delay_alu instid0(VALU_DEP_1) | instskip(NEXT) | instid1(VALU_DEP_1)
	v_add_nc_u64_e32 v[18:19], v[14:15], v[18:19]
	v_add_nc_u64_e32 v[18:19], -1, v[18:19]
; %bb.2961:                             ;   in Loop: Header=BB6_128 Depth=2
	s_or_b32 exec_lo, exec_lo, s43
	v_add_nc_u32_e32 v15, 0xffffff81, v50
	v_lshrrev_b32_e32 v19, 23, v14
	s_mov_b32 s10, exec_lo
	s_delay_alu instid0(VALU_DEP_2) | instskip(NEXT) | instid1(VALU_DEP_1)
	v_cndmask_b32_e64 v15, v15, 0xffffff82, vcc_lo
	v_add3_u32 v50, v53, v15, v19
	v_and_b32_e32 v15, 0xfffff, v18
                                        ; implicit-def: $vgpr18
	s_delay_alu instid0(VALU_DEP_2) | instskip(NEXT) | instid1(VALU_DEP_2)
	v_add_nc_u32_e32 v19, 6, v50
	v_add_nc_u32_e32 v14, v15, v14
	v_mov_b32_e32 v15, v55
	s_delay_alu instid0(VALU_DEP_3)
	v_cmpx_ne_u32_e32 0, v19
	s_xor_b32 s10, exec_lo, s10
; %bb.2962:                             ;   in Loop: Header=BB6_128 Depth=2
	s_delay_alu instid0(VALU_DEP_2) | instskip(SKIP_1) | instid1(VALU_DEP_1)
	v_cmp_lt_u64_e32 vcc_lo, 0xffffff, v[14:15]
	v_add_nc_u32_e32 v18, 7, v50
	v_cndmask_b32_e32 v18, v19, v18, vcc_lo
	v_cndmask_b32_e64 v19, 0, 1, vcc_lo
	s_delay_alu instid0(VALU_DEP_1)
	v_lshrrev_b64 v[14:15], v19, v[14:15]
; %bb.2963:                             ;   in Loop: Header=BB6_128 Depth=2
	s_and_not1_saveexec_b32 s10, s10
; %bb.2964:                             ;   in Loop: Header=BB6_128 Depth=2
	s_delay_alu instid0(VALU_DEP_1)
	v_bfe_u32 v18, v14, 23, 1
; %bb.2965:                             ;   in Loop: Header=BB6_128 Depth=2
	s_or_b32 exec_lo, exec_lo, s10
	s_delay_alu instid0(VALU_DEP_2) | instskip(NEXT) | instid1(VALU_DEP_2)
	v_lshrrev_b64 v[14:15], 20, v[14:15]
	v_cmp_gt_i32_e32 vcc_lo, 16, v18
	v_min_i32_e32 v19, 15, v18
	v_cmp_eq_u32_e64 s10, 0, v18
	s_delay_alu instid0(VALU_DEP_4) | instskip(NEXT) | instid1(VALU_DEP_3)
	v_cndmask_b32_e32 v15, 0, v15, vcc_lo
	v_dual_cndmask_b32 v14, 7, v14 :: v_dual_lshlrev_b32 v19, 3, v19
	s_delay_alu instid0(VALU_DEP_1) | instskip(NEXT) | instid1(VALU_DEP_2)
	v_and_b32_e32 v19, 0xf8, v19
	v_cmp_eq_u64_e32 vcc_lo, 0, v[14:15]
	s_delay_alu instid0(VALU_DEP_2)
	v_and_or_b32 v14, v14, 7, v19
	s_and_b32 s10, s10, vcc_lo
	s_delay_alu instid0(VALU_DEP_1) | instid1(SALU_CYCLE_1)
	v_cndmask_b32_e64 v14, v14, 0, s10
	s_delay_alu instid0(VALU_DEP_1)
	v_or_b32_e32 v50, v14, v51
.LBB6_2966:                             ;   in Loop: Header=BB6_128 Depth=2
	s_or_b32 exec_lo, exec_lo, s42
                                        ; implicit-def: $vgpr51
.LBB6_2967:                             ;   in Loop: Header=BB6_128 Depth=2
	s_and_not1_saveexec_b32 s10, s41
; %bb.2968:                             ;   in Loop: Header=BB6_128 Depth=2
	v_or_b32_e32 v50, 0x7e, v51
; %bb.2969:                             ;   in Loop: Header=BB6_128 Depth=2
	s_or_b32 exec_lo, exec_lo, s10
                                        ; implicit-def: $vgpr15
.LBB6_2970:                             ;   in Loop: Header=BB6_128 Depth=2
	s_and_not1_saveexec_b32 s10, s40
; %bb.2971:                             ;   in Loop: Header=BB6_128 Depth=2
	v_or_b32_e32 v50, 0x7f, v15
; %bb.2972:                             ;   in Loop: Header=BB6_128 Depth=2
	s_or_b32 exec_lo, exec_lo, s10
	v_dual_mov_b32 v18, 0 :: v_dual_mov_b32 v19, 0
	s_mov_b32 s10, exec_lo
	v_cmpx_lt_u32_e32 0xffffff, v54
	s_cbranch_execz .LBB6_2980
; %bb.2973:                             ;   in Loop: Header=BB6_128 Depth=2
	v_lshrrev_b32_e32 v51, 24, v54
	v_bfrev_b32_e32 v19, 1
	s_mov_b32 s40, exec_lo
	s_delay_alu instid0(VALU_DEP_2)
	v_cmpx_ne_u32_e32 0x80, v51
	s_cbranch_execz .LBB6_2979
; %bb.2974:                             ;   in Loop: Header=BB6_128 Depth=2
	v_bfe_u32 v14, v54, 24, 7
	v_mov_b32_e32 v19, 0x7f800001
	s_mov_b32 s41, exec_lo
	s_delay_alu instid0(VALU_DEP_2)
	v_cmpx_ne_u32_e32 0x7f, v14
	s_cbranch_execz .LBB6_2978
; %bb.2975:                             ;   in Loop: Header=BB6_128 Depth=2
	v_dual_lshrrev_b32 v19, 3, v14 :: v_dual_bitop2_b32 v54, 7, v51 bitop3:0x40
	v_cmp_gt_u32_e32 vcc_lo, 8, v14
	s_delay_alu instid0(VALU_DEP_2)
	v_mov_b64_e32 v[14:15], v[54:55]
	s_and_saveexec_b32 s42, vcc_lo
; %bb.2976:                             ;   in Loop: Header=BB6_128 Depth=2
	v_clz_i32_u32_e32 v14, v54
	s_delay_alu instid0(VALU_DEP_1) | instskip(NEXT) | instid1(VALU_DEP_1)
	v_min_u32_e32 v19, 32, v14
	v_subrev_nc_u32_e32 v14, 28, v19
	s_delay_alu instid0(VALU_DEP_1) | instskip(NEXT) | instid1(VALU_DEP_1)
	v_lshlrev_b64_e32 v[14:15], v14, v[54:55]
	v_dual_sub_nc_u32 v19, 29, v19 :: v_dual_bitop2_b32 v14, 7, v14 bitop3:0x40
; %bb.2977:                             ;   in Loop: Header=BB6_128 Depth=2
	s_or_b32 exec_lo, exec_lo, s42
	s_delay_alu instid0(VALU_DEP_1) | instskip(NEXT) | instid1(VALU_DEP_2)
	v_dual_lshlrev_b32 v15, 24, v51 :: v_dual_lshlrev_b32 v14, 20, v14
	v_lshl_add_u32 v19, v19, 23, 0x3c000000
	s_delay_alu instid0(VALU_DEP_2) | instskip(NEXT) | instid1(VALU_DEP_1)
	v_and_b32_e32 v15, 0x80000000, v15
	v_or3_b32 v19, v14, v15, v19
.LBB6_2978:                             ;   in Loop: Header=BB6_128 Depth=2
	s_or_b32 exec_lo, exec_lo, s41
.LBB6_2979:                             ;   in Loop: Header=BB6_128 Depth=2
	s_delay_alu instid0(SALU_CYCLE_1)
	s_or_b32 exec_lo, exec_lo, s40
.LBB6_2980:                             ;   in Loop: Header=BB6_128 Depth=2
	s_delay_alu instid0(SALU_CYCLE_1) | instskip(NEXT) | instid1(SALU_CYCLE_1)
	s_or_b32 exec_lo, exec_lo, s10
	s_mov_b32 s10, exec_lo
	v_cmpx_lt_u32_e32 0xffffff, v16
	s_cbranch_execz .LBB6_2988
; %bb.2981:                             ;   in Loop: Header=BB6_128 Depth=2
	v_lshrrev_b32_e32 v51, 24, v16
	v_bfrev_b32_e32 v18, 1
	s_mov_b32 s40, exec_lo
	s_delay_alu instid0(VALU_DEP_2)
	v_cmpx_ne_u32_e32 0x80, v51
	s_cbranch_execz .LBB6_2987
; %bb.2982:                             ;   in Loop: Header=BB6_128 Depth=2
	v_bfe_u32 v14, v16, 24, 7
	v_mov_b32_e32 v18, 0x7f800001
	s_mov_b32 s41, exec_lo
	s_delay_alu instid0(VALU_DEP_2)
	v_cmpx_ne_u32_e32 0x7f, v14
	s_cbranch_execz .LBB6_2986
; %bb.2983:                             ;   in Loop: Header=BB6_128 Depth=2
	v_dual_lshrrev_b32 v18, 3, v14 :: v_dual_bitop2_b32 v54, 7, v51 bitop3:0x40
	v_cmp_gt_u32_e32 vcc_lo, 8, v14
	s_delay_alu instid0(VALU_DEP_2)
	v_mov_b64_e32 v[14:15], v[54:55]
	s_and_saveexec_b32 s42, vcc_lo
; %bb.2984:                             ;   in Loop: Header=BB6_128 Depth=2
	v_clz_i32_u32_e32 v14, v54
	s_delay_alu instid0(VALU_DEP_1) | instskip(NEXT) | instid1(VALU_DEP_1)
	v_min_u32_e32 v18, 32, v14
	v_subrev_nc_u32_e32 v14, 28, v18
	v_sub_nc_u32_e32 v18, 29, v18
	s_delay_alu instid0(VALU_DEP_2) | instskip(NEXT) | instid1(VALU_DEP_1)
	v_lshlrev_b64_e32 v[14:15], v14, v[54:55]
	v_and_b32_e32 v14, 7, v14
; %bb.2985:                             ;   in Loop: Header=BB6_128 Depth=2
	s_or_b32 exec_lo, exec_lo, s42
	s_delay_alu instid0(VALU_DEP_1) | instskip(SKIP_1) | instid1(VALU_DEP_2)
	v_dual_lshlrev_b32 v15, 24, v51 :: v_dual_lshlrev_b32 v14, 20, v14
	v_lshl_add_u32 v18, v18, 23, 0x3c000000
	v_and_b32_e32 v15, 0x80000000, v15
	s_delay_alu instid0(VALU_DEP_1)
	v_or3_b32 v18, v14, v15, v18
.LBB6_2986:                             ;   in Loop: Header=BB6_128 Depth=2
	s_or_b32 exec_lo, exec_lo, s41
.LBB6_2987:                             ;   in Loop: Header=BB6_128 Depth=2
	s_delay_alu instid0(SALU_CYCLE_1)
	s_or_b32 exec_lo, exec_lo, s40
.LBB6_2988:                             ;   in Loop: Header=BB6_128 Depth=2
	s_delay_alu instid0(SALU_CYCLE_1) | instskip(NEXT) | instid1(VALU_DEP_1)
	s_or_b32 exec_lo, exec_lo, s10
	v_add_f32_e32 v14, v19, v18
                                        ; implicit-def: $vgpr51
	s_mov_b32 s10, exec_lo
	s_delay_alu instid0(VALU_DEP_1) | instskip(SKIP_1) | instid1(VALU_DEP_2)
	v_and_b32_e32 v54, 0x7f800000, v14
	v_lshrrev_b32_e32 v15, 24, v14
	v_cmpx_ne_u64_e32 0x7f800000, v[54:55]
	s_xor_b32 s40, exec_lo, s10
	s_cbranch_execz .LBB6_3002
; %bb.2989:                             ;   in Loop: Header=BB6_128 Depth=2
	v_and_b32_e32 v54, 0x7fffffff, v14
	v_and_b32_e32 v53, 0x80, v15
                                        ; implicit-def: $vgpr51
	s_mov_b32 s10, exec_lo
	s_delay_alu instid0(VALU_DEP_2)
	v_cmpx_gt_u64_e32 0x43e00001, v[54:55]
	s_xor_b32 s41, exec_lo, s10
	s_cbranch_execz .LBB6_2999
; %bb.2990:                             ;   in Loop: Header=BB6_128 Depth=2
	v_mov_b32_e32 v51, 0
	s_mov_b32 s42, exec_lo
	v_cmpx_ne_u32_e32 0, v14
	s_cbranch_execz .LBB6_2998
; %bb.2991:                             ;   in Loop: Header=BB6_128 Depth=2
	v_bfe_u32 v51, v14, 23, 8
	v_and_b32_e32 v15, 0x7fffff, v14
	s_delay_alu instid0(VALU_DEP_2) | instskip(SKIP_2) | instid1(VALU_DEP_4)
	v_cmp_gt_u32_e64 s10, 0x7a, v51
	v_sub_nc_u32_e32 v14, 0x79, v51
	v_cmp_eq_u32_e32 vcc_lo, 0, v51
	v_or_b32_e32 v18, 0x800000, v15
	s_delay_alu instid0(VALU_DEP_1) | instskip(NEXT) | instid1(VALU_DEP_1)
	v_dual_cndmask_b32 v14, 0, v14, s10 :: v_dual_cndmask_b32 v54, v18, v15, vcc_lo
	v_cndmask_b32_e64 v67, v14, 0x78, vcc_lo
	s_delay_alu instid0(VALU_DEP_1) | instskip(NEXT) | instid1(VALU_DEP_1)
	v_dual_add_nc_u32 v14, 20, v67 :: v_dual_add_nc_u32 v18, 19, v67
	v_lshlrev_b64_e64 v[14:15], v14, -1
	s_delay_alu instid0(VALU_DEP_2) | instskip(NEXT) | instid1(VALU_DEP_2)
	v_lshlrev_b64_e64 v[18:19], v18, 1
	v_bfi_b32 v15, v15, 0, 0
	s_delay_alu instid0(VALU_DEP_3) | instskip(NEXT) | instid1(VALU_DEP_1)
	v_bfi_b32 v14, v14, 0, v54
	v_cmp_eq_u64_e64 s10, v[14:15], v[18:19]
	v_lshrrev_b64 v[14:15], v67, v[54:55]
	s_delay_alu instid0(VALU_DEP_1)
	v_mov_b64_e32 v[18:19], v[14:15]
	s_and_saveexec_b32 s43, s10
; %bb.2992:                             ;   in Loop: Header=BB6_128 Depth=2
	v_bfe_u32 v54, v14, 20, 1
	s_delay_alu instid0(VALU_DEP_1) | instskip(NEXT) | instid1(VALU_DEP_1)
	v_add_nc_u64_e32 v[18:19], v[14:15], v[54:55]
	v_add_nc_u64_e32 v[18:19], -1, v[18:19]
; %bb.2993:                             ;   in Loop: Header=BB6_128 Depth=2
	s_or_b32 exec_lo, exec_lo, s43
	v_add_nc_u32_e32 v15, 0xffffff81, v51
	v_lshrrev_b32_e32 v19, 23, v14
	s_mov_b32 s10, exec_lo
	s_delay_alu instid0(VALU_DEP_2) | instskip(NEXT) | instid1(VALU_DEP_1)
	v_cndmask_b32_e64 v15, v15, 0xffffff82, vcc_lo
	v_add3_u32 v51, v67, v15, v19
	v_and_b32_e32 v15, 0xfffff, v18
                                        ; implicit-def: $vgpr18
	s_delay_alu instid0(VALU_DEP_1) | instskip(NEXT) | instid1(VALU_DEP_1)
	v_dual_add_nc_u32 v19, 6, v51 :: v_dual_add_nc_u32 v54, v15, v14
                                        ; implicit-def: $vgpr14_vgpr15
	v_cmpx_ne_u32_e32 0, v19
	s_xor_b32 s10, exec_lo, s10
; %bb.2994:                             ;   in Loop: Header=BB6_128 Depth=2
	s_delay_alu instid0(VALU_DEP_2) | instskip(SKIP_1) | instid1(VALU_DEP_1)
	v_cmp_lt_u64_e32 vcc_lo, 0xffffff, v[54:55]
	v_add_nc_u32_e32 v14, 7, v51
	v_cndmask_b32_e32 v18, v19, v14, vcc_lo
	v_cndmask_b32_e64 v14, 0, 1, vcc_lo
	s_delay_alu instid0(VALU_DEP_1)
	v_lshrrev_b64 v[14:15], v14, v[54:55]
; %bb.2995:                             ;   in Loop: Header=BB6_128 Depth=2
	s_and_not1_saveexec_b32 s10, s10
; %bb.2996:                             ;   in Loop: Header=BB6_128 Depth=2
	v_mov_b64_e32 v[14:15], v[54:55]
	v_bfe_u32 v18, v54, 23, 1
; %bb.2997:                             ;   in Loop: Header=BB6_128 Depth=2
	s_or_b32 exec_lo, exec_lo, s10
	s_delay_alu instid0(VALU_DEP_2) | instskip(NEXT) | instid1(VALU_DEP_2)
	v_lshrrev_b64 v[14:15], 20, v[14:15]
	v_cmp_gt_i32_e32 vcc_lo, 16, v18
	v_min_i32_e32 v19, 15, v18
	v_cmp_eq_u32_e64 s10, 0, v18
	s_delay_alu instid0(VALU_DEP_4) | instskip(NEXT) | instid1(VALU_DEP_3)
	v_cndmask_b32_e32 v15, 0, v15, vcc_lo
	v_dual_cndmask_b32 v14, 7, v14 :: v_dual_lshlrev_b32 v19, 3, v19
	s_delay_alu instid0(VALU_DEP_1) | instskip(NEXT) | instid1(VALU_DEP_2)
	v_and_b32_e32 v19, 0xf8, v19
	v_cmp_eq_u64_e32 vcc_lo, 0, v[14:15]
	s_delay_alu instid0(VALU_DEP_2)
	v_and_or_b32 v14, v14, 7, v19
	s_and_b32 s10, s10, vcc_lo
	s_delay_alu instid0(VALU_DEP_1) | instid1(SALU_CYCLE_1)
	v_cndmask_b32_e64 v14, v14, 0, s10
	s_delay_alu instid0(VALU_DEP_1)
	v_or_b32_e32 v51, v14, v53
.LBB6_2998:                             ;   in Loop: Header=BB6_128 Depth=2
	s_or_b32 exec_lo, exec_lo, s42
                                        ; implicit-def: $vgpr53
.LBB6_2999:                             ;   in Loop: Header=BB6_128 Depth=2
	s_and_not1_saveexec_b32 s10, s41
; %bb.3000:                             ;   in Loop: Header=BB6_128 Depth=2
	v_or_b32_e32 v51, 0x7e, v53
; %bb.3001:                             ;   in Loop: Header=BB6_128 Depth=2
	s_or_b32 exec_lo, exec_lo, s10
                                        ; implicit-def: $vgpr15
.LBB6_3002:                             ;   in Loop: Header=BB6_128 Depth=2
	s_and_not1_saveexec_b32 s10, s40
; %bb.3003:                             ;   in Loop: Header=BB6_128 Depth=2
	v_or_b32_e32 v51, 0x7f, v15
; %bb.3004:                             ;   in Loop: Header=BB6_128 Depth=2
	s_or_b32 exec_lo, exec_lo, s10
	v_dual_lshlrev_b32 v14, 24, v93 :: v_dual_lshlrev_b32 v15, 16, v40
	v_lshl_or_b32 v53, v90, 8, v2
	s_mov_b32 s10, exec_lo
	s_delay_alu instid0(VALU_DEP_1)
	v_or3_b32 v54, v15, v14, v53
	v_dual_mov_b32 v14, 0 :: v_dual_mov_b32 v15, 0
	v_cmpx_ne_u32_e32 0, v2
	s_cbranch_execz .LBB6_3010
; %bb.3005:                             ;   in Loop: Header=BB6_128 Depth=2
	v_bfrev_b32_e32 v15, 1
	s_mov_b32 s40, exec_lo
	v_cmpx_ne_u32_e32 0x80, v2
	s_cbranch_execz .LBB6_3009
; %bb.3006:                             ;   in Loop: Header=BB6_128 Depth=2
	v_and_b32_e32 v18, 0x7f, v2
	v_mov_b32_e32 v15, 0x7f800001
	s_mov_b32 s41, exec_lo
	s_delay_alu instid0(VALU_DEP_2)
	v_cmpx_ne_u32_e32 0x7f, v18
	s_cbranch_execz .LBB6_3008
; %bb.3007:                             ;   in Loop: Header=BB6_128 Depth=2
	v_and_b32_e32 v2, 7, v2
	v_lshrrev_b32_e32 v15, 3, v18
	v_cmp_gt_u32_e32 vcc_lo, 8, v18
	s_delay_alu instid0(VALU_DEP_3) | instskip(NEXT) | instid1(VALU_DEP_1)
	v_clz_i32_u32_e32 v2, v2
	v_min_u32_e32 v2, 32, v2
	s_delay_alu instid0(VALU_DEP_1) | instskip(SKIP_1) | instid1(VALU_DEP_1)
	v_subrev_nc_u32_e32 v18, 28, v2
	v_sub_nc_u32_e32 v2, 29, v2
	v_cndmask_b32_e32 v2, v15, v2, vcc_lo
	s_delay_alu instid0(VALU_DEP_3) | instskip(NEXT) | instid1(VALU_DEP_2)
	v_cndmask_b32_e32 v15, 0, v18, vcc_lo
	v_lshl_add_u32 v2, v2, 23, 0x3c000000
	s_delay_alu instid0(VALU_DEP_2) | instskip(NEXT) | instid1(VALU_DEP_1)
	v_lshlrev_b64_e32 v[18:19], v15, v[54:55]
	v_lshlrev_b32_e32 v15, 20, v18
	v_lshlrev_b32_e32 v18, 24, v54
	s_delay_alu instid0(VALU_DEP_2) | instskip(NEXT) | instid1(VALU_DEP_2)
	v_and_b32_e32 v15, 0x700000, v15
	v_and_b32_e32 v18, 0x80000000, v18
	s_delay_alu instid0(VALU_DEP_1)
	v_or3_b32 v15, v15, v18, v2
.LBB6_3008:                             ;   in Loop: Header=BB6_128 Depth=2
	s_or_b32 exec_lo, exec_lo, s41
.LBB6_3009:                             ;   in Loop: Header=BB6_128 Depth=2
	s_delay_alu instid0(SALU_CYCLE_1)
	s_or_b32 exec_lo, exec_lo, s40
.LBB6_3010:                             ;   in Loop: Header=BB6_128 Depth=2
	s_delay_alu instid0(SALU_CYCLE_1) | instskip(SKIP_2) | instid1(VALU_DEP_1)
	s_or_b32 exec_lo, exec_lo, s10
	v_and_b32_e32 v2, 0xff, v17
	s_mov_b32 s10, exec_lo
	v_cmpx_ne_u16_e32 0, v2
	s_cbranch_execz .LBB6_3016
; %bb.3011:                             ;   in Loop: Header=BB6_128 Depth=2
	v_bfrev_b32_e32 v14, 1
	s_mov_b32 s40, exec_lo
	v_cmpx_ne_u16_e32 0x80, v2
	s_cbranch_execz .LBB6_3015
; %bb.3012:                             ;   in Loop: Header=BB6_128 Depth=2
	v_and_b32_e32 v2, 0x7f, v17
	v_mov_b32_e32 v14, 0x7f800001
	s_mov_b32 s41, exec_lo
	s_delay_alu instid0(VALU_DEP_2)
	v_cmpx_ne_u32_e32 0x7f, v2
	s_cbranch_execz .LBB6_3014
; %bb.3013:                             ;   in Loop: Header=BB6_128 Depth=2
	v_dual_lshrrev_b32 v67, 3, v2 :: v_dual_bitop2_b32 v14, 7, v17 bitop3:0x40
	v_cmp_gt_u32_e32 vcc_lo, 8, v2
	v_mov_b32_e32 v18, v17
	s_delay_alu instid0(VALU_DEP_3) | instskip(NEXT) | instid1(VALU_DEP_1)
	v_clz_i32_u32_e32 v14, v14
	v_min_u32_e32 v14, 32, v14
	s_delay_alu instid0(VALU_DEP_1) | instskip(SKIP_1) | instid1(VALU_DEP_1)
	v_subrev_nc_u32_e32 v2, 28, v14
	v_dual_mov_b32 v19, v55 :: v_dual_sub_nc_u32 v100, 29, v14
	v_dual_cndmask_b32 v2, 0, v2, vcc_lo :: v_dual_cndmask_b32 v14, v67, v100, vcc_lo
	s_delay_alu instid0(VALU_DEP_1) | instskip(SKIP_1) | instid1(VALU_DEP_3)
	v_lshlrev_b64_e32 v[100:101], v2, v[18:19]
	v_lshlrev_b32_e32 v2, 24, v18
	v_lshl_add_u32 v14, v14, 23, 0x3c000000
	s_delay_alu instid0(VALU_DEP_2) | instskip(NEXT) | instid1(VALU_DEP_4)
	v_and_b32_e32 v2, 0x80000000, v2
	v_lshlrev_b32_e32 v18, 20, v100
	s_delay_alu instid0(VALU_DEP_1) | instskip(NEXT) | instid1(VALU_DEP_1)
	v_and_b32_e32 v18, 0x700000, v18
	v_or3_b32 v14, v18, v2, v14
.LBB6_3014:                             ;   in Loop: Header=BB6_128 Depth=2
	s_or_b32 exec_lo, exec_lo, s41
.LBB6_3015:                             ;   in Loop: Header=BB6_128 Depth=2
	s_delay_alu instid0(SALU_CYCLE_1)
	s_or_b32 exec_lo, exec_lo, s40
.LBB6_3016:                             ;   in Loop: Header=BB6_128 Depth=2
	s_delay_alu instid0(SALU_CYCLE_1) | instskip(NEXT) | instid1(VALU_DEP_1)
	s_or_b32 exec_lo, exec_lo, s10
	v_add_f32_e32 v14, v15, v14
	v_mov_b32_e32 v19, v55
                                        ; implicit-def: $vgpr2
	s_mov_b32 s10, exec_lo
	s_delay_alu instid0(VALU_DEP_2) | instskip(SKIP_1) | instid1(VALU_DEP_2)
	v_and_b32_e32 v18, 0x7f800000, v14
	v_lshrrev_b32_e32 v15, 24, v14
	v_cmpx_ne_u64_e32 0x7f800000, v[18:19]
	s_xor_b32 s40, exec_lo, s10
	s_cbranch_execz .LBB6_3030
; %bb.3017:                             ;   in Loop: Header=BB6_128 Depth=2
	v_and_b32_e32 v18, 0x7fffffff, v14
	v_mov_b32_e32 v19, v55
	v_and_b32_e32 v67, 0x80, v15
                                        ; implicit-def: $vgpr2
	s_mov_b32 s10, exec_lo
	s_delay_alu instid0(VALU_DEP_2)
	v_cmpx_gt_u64_e32 0x43e00001, v[18:19]
	s_xor_b32 s41, exec_lo, s10
	s_cbranch_execz .LBB6_3027
; %bb.3018:                             ;   in Loop: Header=BB6_128 Depth=2
	v_mov_b32_e32 v2, 0
	s_mov_b32 s42, exec_lo
	v_cmpx_ne_u32_e32 0, v14
	s_cbranch_execz .LBB6_3026
; %bb.3019:                             ;   in Loop: Header=BB6_128 Depth=2
	v_bfe_u32 v2, v14, 23, 8
	v_and_b32_e32 v15, 0x7fffff, v14
	s_delay_alu instid0(VALU_DEP_2) | instskip(SKIP_2) | instid1(VALU_DEP_4)
	v_cmp_gt_u32_e64 s10, 0x7a, v2
	v_sub_nc_u32_e32 v14, 0x79, v2
	v_cmp_eq_u32_e32 vcc_lo, 0, v2
	v_or_b32_e32 v18, 0x800000, v15
	s_delay_alu instid0(VALU_DEP_3) | instskip(NEXT) | instid1(VALU_DEP_1)
	v_cndmask_b32_e64 v14, 0, v14, s10
	v_cndmask_b32_e64 v100, v14, 0x78, vcc_lo
	s_delay_alu instid0(VALU_DEP_3) | instskip(NEXT) | instid1(VALU_DEP_2)
	v_dual_cndmask_b32 v14, v18, v15 :: v_dual_mov_b32 v15, v55
	v_dual_add_nc_u32 v18, 20, v100 :: v_dual_add_nc_u32 v101, 19, v100
	s_delay_alu instid0(VALU_DEP_1) | instskip(NEXT) | instid1(VALU_DEP_2)
	v_lshlrev_b64_e64 v[18:19], v18, -1
	v_lshlrev_b64_e64 v[40:41], v101, 1
	s_delay_alu instid0(VALU_DEP_2) | instskip(SKIP_1) | instid1(VALU_DEP_4)
	v_bfi_b32 v18, v18, 0, v14
	v_lshrrev_b64 v[14:15], v100, v[14:15]
	v_bfi_b32 v19, v19, 0, 0
	s_delay_alu instid0(VALU_DEP_1) | instskip(NEXT) | instid1(VALU_DEP_3)
	v_cmp_eq_u64_e64 s10, v[18:19], v[40:41]
	v_mov_b64_e32 v[18:19], v[14:15]
	s_and_saveexec_b32 s43, s10
; %bb.3020:                             ;   in Loop: Header=BB6_128 Depth=2
	v_bfe_u32 v18, v14, 20, 1
	v_mov_b32_e32 v19, v55
	s_delay_alu instid0(VALU_DEP_1) | instskip(NEXT) | instid1(VALU_DEP_1)
	v_add_nc_u64_e32 v[18:19], v[14:15], v[18:19]
	v_add_nc_u64_e32 v[18:19], -1, v[18:19]
; %bb.3021:                             ;   in Loop: Header=BB6_128 Depth=2
	s_or_b32 exec_lo, exec_lo, s43
	v_add_nc_u32_e32 v2, 0xffffff81, v2
	v_lshrrev_b32_e32 v15, 23, v14
	s_mov_b32 s10, exec_lo
	s_delay_alu instid0(VALU_DEP_2) | instskip(NEXT) | instid1(VALU_DEP_1)
	v_cndmask_b32_e64 v2, v2, 0xffffff82, vcc_lo
	v_add3_u32 v19, v100, v2, v15
	v_and_b32_e32 v2, 0xfffff, v18
	s_delay_alu instid0(VALU_DEP_2) | instskip(NEXT) | instid1(VALU_DEP_2)
	v_dual_mov_b32 v15, v55 :: v_dual_add_nc_u32 v18, 6, v19
	v_add_nc_u32_e32 v14, v2, v14
                                        ; implicit-def: $vgpr2
	s_delay_alu instid0(VALU_DEP_2)
	v_cmpx_ne_u32_e32 0, v18
	s_xor_b32 s10, exec_lo, s10
; %bb.3022:                             ;   in Loop: Header=BB6_128 Depth=2
	s_delay_alu instid0(VALU_DEP_2) | instskip(SKIP_1) | instid1(VALU_DEP_1)
	v_cmp_lt_u64_e32 vcc_lo, 0xffffff, v[14:15]
	v_add_nc_u32_e32 v2, 7, v19
	v_cndmask_b32_e32 v2, v18, v2, vcc_lo
	v_cndmask_b32_e64 v18, 0, 1, vcc_lo
	s_delay_alu instid0(VALU_DEP_1)
	v_lshrrev_b64 v[14:15], v18, v[14:15]
; %bb.3023:                             ;   in Loop: Header=BB6_128 Depth=2
	s_and_not1_saveexec_b32 s10, s10
; %bb.3024:                             ;   in Loop: Header=BB6_128 Depth=2
	s_delay_alu instid0(VALU_DEP_1)
	v_bfe_u32 v2, v14, 23, 1
; %bb.3025:                             ;   in Loop: Header=BB6_128 Depth=2
	s_or_b32 exec_lo, exec_lo, s10
	s_delay_alu instid0(VALU_DEP_2) | instskip(NEXT) | instid1(VALU_DEP_2)
	v_lshrrev_b64 v[14:15], 20, v[14:15]
	v_cmp_gt_i32_e32 vcc_lo, 16, v2
	v_min_i32_e32 v18, 15, v2
	v_cmp_eq_u32_e64 s10, 0, v2
	s_delay_alu instid0(VALU_DEP_2) | instskip(SKIP_1) | instid1(VALU_DEP_2)
	v_dual_cndmask_b32 v15, 0, v15 :: v_dual_lshlrev_b32 v18, 3, v18
	v_cndmask_b32_e32 v14, 7, v14, vcc_lo
	v_and_b32_e32 v18, 0xf8, v18
	s_delay_alu instid0(VALU_DEP_2) | instskip(NEXT) | instid1(VALU_DEP_2)
	v_cmp_eq_u64_e32 vcc_lo, 0, v[14:15]
	v_and_or_b32 v2, v14, 7, v18
	s_and_b32 s10, s10, vcc_lo
	s_delay_alu instid0(VALU_DEP_1) | instid1(SALU_CYCLE_1)
	v_cndmask_b32_e64 v2, v2, 0, s10
	s_delay_alu instid0(VALU_DEP_1)
	v_or_b32_e32 v2, v2, v67
.LBB6_3026:                             ;   in Loop: Header=BB6_128 Depth=2
	s_or_b32 exec_lo, exec_lo, s42
                                        ; implicit-def: $vgpr67
.LBB6_3027:                             ;   in Loop: Header=BB6_128 Depth=2
	s_and_not1_saveexec_b32 s10, s41
; %bb.3028:                             ;   in Loop: Header=BB6_128 Depth=2
	v_or_b32_e32 v2, 0x7e, v67
; %bb.3029:                             ;   in Loop: Header=BB6_128 Depth=2
	s_or_b32 exec_lo, exec_lo, s10
                                        ; implicit-def: $vgpr15
.LBB6_3030:                             ;   in Loop: Header=BB6_128 Depth=2
	s_and_not1_saveexec_b32 s10, s40
; %bb.3031:                             ;   in Loop: Header=BB6_128 Depth=2
	v_or_b32_e32 v2, 0x7f, v15
; %bb.3032:                             ;   in Loop: Header=BB6_128 Depth=2
	s_or_b32 exec_lo, exec_lo, s10
	v_lshrrev_b16 v14, 8, v53
	v_dual_mov_b32 v18, 0 :: v_dual_mov_b32 v19, 0
	s_mov_b32 s10, exec_lo
	s_delay_alu instid0(VALU_DEP_2)
	v_cmpx_ne_u16_e32 0, v14
	s_cbranch_execz .LBB6_3040
; %bb.3033:                             ;   in Loop: Header=BB6_128 Depth=2
	v_bfrev_b32_e32 v19, 1
	s_mov_b32 s40, exec_lo
	v_cmpx_ne_u16_e32 0x80, v14
	s_cbranch_execz .LBB6_3039
; %bb.3034:                             ;   in Loop: Header=BB6_128 Depth=2
	v_and_b32_e32 v14, 0xffff, v14
	v_mov_b32_e32 v19, 0x7f800001
	s_mov_b32 s41, exec_lo
	s_delay_alu instid0(VALU_DEP_2) | instskip(NEXT) | instid1(VALU_DEP_1)
	v_and_b32_e32 v67, 0x7f, v14
	v_cmpx_ne_u32_e32 0x7f, v67
	s_cbranch_execz .LBB6_3038
; %bb.3035:                             ;   in Loop: Header=BB6_128 Depth=2
	v_dual_mov_b32 v15, v55 :: v_dual_bitop2_b32 v14, 7, v14 bitop3:0x40
	v_lshrrev_b32_e32 v19, 3, v67
	s_mov_b32 s42, exec_lo
	v_cmpx_gt_u32_e32 8, v67
; %bb.3036:                             ;   in Loop: Header=BB6_128 Depth=2
	s_delay_alu instid0(VALU_DEP_3) | instskip(NEXT) | instid1(VALU_DEP_1)
	v_clz_i32_u32_e32 v19, v14
	v_min_u32_e32 v19, 32, v19
	s_delay_alu instid0(VALU_DEP_1) | instskip(NEXT) | instid1(VALU_DEP_1)
	v_subrev_nc_u32_e32 v67, 28, v19
	v_lshlrev_b64_e32 v[14:15], v67, v[14:15]
	s_delay_alu instid0(VALU_DEP_1)
	v_dual_sub_nc_u32 v19, 29, v19 :: v_dual_bitop2_b32 v14, 7, v14 bitop3:0x40
; %bb.3037:                             ;   in Loop: Header=BB6_128 Depth=2
	s_or_b32 exec_lo, exec_lo, s42
	s_delay_alu instid0(VALU_DEP_1) | instskip(NEXT) | instid1(VALU_DEP_2)
	v_dual_lshlrev_b32 v15, 16, v53 :: v_dual_lshlrev_b32 v14, 20, v14
	v_lshl_add_u32 v19, v19, 23, 0x3c000000
	s_delay_alu instid0(VALU_DEP_2) | instskip(NEXT) | instid1(VALU_DEP_1)
	v_and_b32_e32 v15, 0x80000000, v15
	v_or3_b32 v19, v14, v15, v19
.LBB6_3038:                             ;   in Loop: Header=BB6_128 Depth=2
	s_or_b32 exec_lo, exec_lo, s41
.LBB6_3039:                             ;   in Loop: Header=BB6_128 Depth=2
	s_delay_alu instid0(SALU_CYCLE_1)
	s_or_b32 exec_lo, exec_lo, s40
.LBB6_3040:                             ;   in Loop: Header=BB6_128 Depth=2
	s_delay_alu instid0(SALU_CYCLE_1) | instskip(SKIP_2) | instid1(VALU_DEP_1)
	s_or_b32 exec_lo, exec_lo, s10
	v_lshrrev_b16 v14, 8, v17
	s_mov_b32 s10, exec_lo
	v_cmpx_ne_u16_e32 0, v14
	s_cbranch_execz .LBB6_3048
; %bb.3041:                             ;   in Loop: Header=BB6_128 Depth=2
	v_bfrev_b32_e32 v18, 1
	s_mov_b32 s40, exec_lo
	v_cmpx_ne_u16_e32 0x80, v14
	s_cbranch_execz .LBB6_3047
; %bb.3042:                             ;   in Loop: Header=BB6_128 Depth=2
	v_and_b32_e32 v14, 0xffff, v14
	v_mov_b32_e32 v18, 0x7f800001
	s_mov_b32 s41, exec_lo
	s_delay_alu instid0(VALU_DEP_2) | instskip(NEXT) | instid1(VALU_DEP_1)
	v_and_b32_e32 v53, 0x7f, v14
	v_cmpx_ne_u32_e32 0x7f, v53
	s_cbranch_execz .LBB6_3046
; %bb.3043:                             ;   in Loop: Header=BB6_128 Depth=2
	v_dual_mov_b32 v15, v55 :: v_dual_bitop2_b32 v14, 7, v14 bitop3:0x40
	v_lshrrev_b32_e32 v18, 3, v53
	s_mov_b32 s42, exec_lo
	v_cmpx_gt_u32_e32 8, v53
; %bb.3044:                             ;   in Loop: Header=BB6_128 Depth=2
	s_delay_alu instid0(VALU_DEP_3) | instskip(NEXT) | instid1(VALU_DEP_1)
	v_clz_i32_u32_e32 v18, v14
	v_min_u32_e32 v18, 32, v18
	s_delay_alu instid0(VALU_DEP_1) | instskip(SKIP_1) | instid1(VALU_DEP_2)
	v_subrev_nc_u32_e32 v53, 28, v18
	v_sub_nc_u32_e32 v18, 29, v18
	v_lshlrev_b64_e32 v[14:15], v53, v[14:15]
	s_delay_alu instid0(VALU_DEP_1)
	v_and_b32_e32 v14, 7, v14
; %bb.3045:                             ;   in Loop: Header=BB6_128 Depth=2
	s_or_b32 exec_lo, exec_lo, s42
	s_delay_alu instid0(VALU_DEP_1) | instskip(SKIP_1) | instid1(VALU_DEP_2)
	v_dual_lshlrev_b32 v15, 16, v17 :: v_dual_lshlrev_b32 v14, 20, v14
	v_lshl_add_u32 v18, v18, 23, 0x3c000000
	v_and_b32_e32 v15, 0x80000000, v15
	s_delay_alu instid0(VALU_DEP_1)
	v_or3_b32 v18, v14, v15, v18
.LBB6_3046:                             ;   in Loop: Header=BB6_128 Depth=2
	s_or_b32 exec_lo, exec_lo, s41
.LBB6_3047:                             ;   in Loop: Header=BB6_128 Depth=2
	s_delay_alu instid0(SALU_CYCLE_1)
	s_or_b32 exec_lo, exec_lo, s40
.LBB6_3048:                             ;   in Loop: Header=BB6_128 Depth=2
	s_delay_alu instid0(SALU_CYCLE_1) | instskip(NEXT) | instid1(VALU_DEP_1)
	s_or_b32 exec_lo, exec_lo, s10
	v_add_f32_e32 v14, v19, v18
	v_mov_b32_e32 v19, v55
                                        ; implicit-def: $vgpr53
	s_mov_b32 s10, exec_lo
	s_delay_alu instid0(VALU_DEP_2) | instskip(SKIP_1) | instid1(VALU_DEP_2)
	v_and_b32_e32 v18, 0x7f800000, v14
	v_lshrrev_b32_e32 v15, 24, v14
	v_cmpx_ne_u64_e32 0x7f800000, v[18:19]
	s_xor_b32 s40, exec_lo, s10
	s_cbranch_execz .LBB6_3062
; %bb.3049:                             ;   in Loop: Header=BB6_128 Depth=2
	v_and_b32_e32 v18, 0x7fffffff, v14
	v_mov_b32_e32 v19, v55
	v_and_b32_e32 v67, 0x80, v15
                                        ; implicit-def: $vgpr53
	s_mov_b32 s10, exec_lo
	s_delay_alu instid0(VALU_DEP_2)
	v_cmpx_gt_u64_e32 0x43e00001, v[18:19]
	s_xor_b32 s41, exec_lo, s10
	s_cbranch_execz .LBB6_3059
; %bb.3050:                             ;   in Loop: Header=BB6_128 Depth=2
	v_mov_b32_e32 v53, 0
	s_mov_b32 s42, exec_lo
	v_cmpx_ne_u32_e32 0, v14
	s_cbranch_execz .LBB6_3058
; %bb.3051:                             ;   in Loop: Header=BB6_128 Depth=2
	v_bfe_u32 v53, v14, 23, 8
	v_and_b32_e32 v15, 0x7fffff, v14
	s_delay_alu instid0(VALU_DEP_2) | instskip(SKIP_2) | instid1(VALU_DEP_4)
	v_cmp_gt_u32_e64 s10, 0x7a, v53
	v_sub_nc_u32_e32 v14, 0x79, v53
	v_cmp_eq_u32_e32 vcc_lo, 0, v53
	v_or_b32_e32 v18, 0x800000, v15
	s_delay_alu instid0(VALU_DEP_3) | instskip(NEXT) | instid1(VALU_DEP_1)
	v_cndmask_b32_e64 v14, 0, v14, s10
	v_cndmask_b32_e64 v100, v14, 0x78, vcc_lo
	s_delay_alu instid0(VALU_DEP_3) | instskip(NEXT) | instid1(VALU_DEP_2)
	v_dual_cndmask_b32 v14, v18, v15 :: v_dual_mov_b32 v15, v55
	v_dual_add_nc_u32 v18, 20, v100 :: v_dual_add_nc_u32 v101, 19, v100
	s_delay_alu instid0(VALU_DEP_1) | instskip(NEXT) | instid1(VALU_DEP_2)
	v_lshlrev_b64_e64 v[18:19], v18, -1
	v_lshlrev_b64_e64 v[40:41], v101, 1
	s_delay_alu instid0(VALU_DEP_2) | instskip(SKIP_1) | instid1(VALU_DEP_4)
	v_bfi_b32 v18, v18, 0, v14
	v_lshrrev_b64 v[14:15], v100, v[14:15]
	v_bfi_b32 v19, v19, 0, 0
	s_delay_alu instid0(VALU_DEP_1) | instskip(NEXT) | instid1(VALU_DEP_3)
	v_cmp_eq_u64_e64 s10, v[18:19], v[40:41]
	v_mov_b64_e32 v[18:19], v[14:15]
	s_and_saveexec_b32 s43, s10
; %bb.3052:                             ;   in Loop: Header=BB6_128 Depth=2
	v_bfe_u32 v18, v14, 20, 1
	v_mov_b32_e32 v19, v55
	s_delay_alu instid0(VALU_DEP_1) | instskip(NEXT) | instid1(VALU_DEP_1)
	v_add_nc_u64_e32 v[18:19], v[14:15], v[18:19]
	v_add_nc_u64_e32 v[18:19], -1, v[18:19]
; %bb.3053:                             ;   in Loop: Header=BB6_128 Depth=2
	s_or_b32 exec_lo, exec_lo, s43
	v_add_nc_u32_e32 v15, 0xffffff81, v53
	v_lshrrev_b32_e32 v19, 23, v14
	s_mov_b32 s10, exec_lo
	s_delay_alu instid0(VALU_DEP_2) | instskip(NEXT) | instid1(VALU_DEP_1)
	v_cndmask_b32_e64 v15, v15, 0xffffff82, vcc_lo
	v_add3_u32 v53, v100, v15, v19
	v_and_b32_e32 v15, 0xfffff, v18
                                        ; implicit-def: $vgpr18
	s_delay_alu instid0(VALU_DEP_1) | instskip(SKIP_1) | instid1(VALU_DEP_2)
	v_dual_add_nc_u32 v19, 6, v53 :: v_dual_add_nc_u32 v14, v15, v14
	v_mov_b32_e32 v15, v55
	v_cmpx_ne_u32_e32 0, v19
	s_xor_b32 s10, exec_lo, s10
; %bb.3054:                             ;   in Loop: Header=BB6_128 Depth=2
	s_delay_alu instid0(VALU_DEP_2) | instskip(SKIP_1) | instid1(VALU_DEP_1)
	v_cmp_lt_u64_e32 vcc_lo, 0xffffff, v[14:15]
	v_add_nc_u32_e32 v18, 7, v53
	v_cndmask_b32_e32 v18, v19, v18, vcc_lo
	v_cndmask_b32_e64 v19, 0, 1, vcc_lo
	s_delay_alu instid0(VALU_DEP_1)
	v_lshrrev_b64 v[14:15], v19, v[14:15]
; %bb.3055:                             ;   in Loop: Header=BB6_128 Depth=2
	s_and_not1_saveexec_b32 s10, s10
; %bb.3056:                             ;   in Loop: Header=BB6_128 Depth=2
	s_delay_alu instid0(VALU_DEP_1)
	v_bfe_u32 v18, v14, 23, 1
; %bb.3057:                             ;   in Loop: Header=BB6_128 Depth=2
	s_or_b32 exec_lo, exec_lo, s10
	s_delay_alu instid0(VALU_DEP_2) | instskip(NEXT) | instid1(VALU_DEP_2)
	v_lshrrev_b64 v[14:15], 20, v[14:15]
	v_cmp_gt_i32_e32 vcc_lo, 16, v18
	v_min_i32_e32 v19, 15, v18
	v_cmp_eq_u32_e64 s10, 0, v18
	s_delay_alu instid0(VALU_DEP_4) | instskip(NEXT) | instid1(VALU_DEP_3)
	v_cndmask_b32_e32 v15, 0, v15, vcc_lo
	v_dual_cndmask_b32 v14, 7, v14 :: v_dual_lshlrev_b32 v19, 3, v19
	s_delay_alu instid0(VALU_DEP_1) | instskip(NEXT) | instid1(VALU_DEP_2)
	v_and_b32_e32 v19, 0xf8, v19
	v_cmp_eq_u64_e32 vcc_lo, 0, v[14:15]
	s_delay_alu instid0(VALU_DEP_2)
	v_and_or_b32 v14, v14, 7, v19
	s_and_b32 s10, s10, vcc_lo
	s_delay_alu instid0(VALU_DEP_1) | instid1(SALU_CYCLE_1)
	v_cndmask_b32_e64 v14, v14, 0, s10
	s_delay_alu instid0(VALU_DEP_1)
	v_or_b32_e32 v53, v14, v67
.LBB6_3058:                             ;   in Loop: Header=BB6_128 Depth=2
	s_or_b32 exec_lo, exec_lo, s42
                                        ; implicit-def: $vgpr67
.LBB6_3059:                             ;   in Loop: Header=BB6_128 Depth=2
	s_and_not1_saveexec_b32 s10, s41
; %bb.3060:                             ;   in Loop: Header=BB6_128 Depth=2
	v_or_b32_e32 v53, 0x7e, v67
; %bb.3061:                             ;   in Loop: Header=BB6_128 Depth=2
	s_or_b32 exec_lo, exec_lo, s10
                                        ; implicit-def: $vgpr15
.LBB6_3062:                             ;   in Loop: Header=BB6_128 Depth=2
	s_and_not1_saveexec_b32 s10, s40
; %bb.3063:                             ;   in Loop: Header=BB6_128 Depth=2
	v_or_b32_e32 v53, 0x7f, v15
; %bb.3064:                             ;   in Loop: Header=BB6_128 Depth=2
	s_or_b32 exec_lo, exec_lo, s10
	v_dual_mov_b32 v18, 0 :: v_dual_lshrrev_b32 v67, 16, v54
	v_mov_b32_e32 v19, 0
	s_mov_b32 s10, exec_lo
	s_delay_alu instid0(VALU_DEP_2) | instskip(NEXT) | instid1(VALU_DEP_1)
	v_and_b32_e32 v14, 0xff, v67
	v_cmpx_ne_u16_e32 0, v14
	s_cbranch_execz .LBB6_3072
; %bb.3065:                             ;   in Loop: Header=BB6_128 Depth=2
	v_bfrev_b32_e32 v19, 1
	s_mov_b32 s40, exec_lo
	v_cmpx_ne_u16_e32 0x80, v14
	s_cbranch_execz .LBB6_3071
; %bb.3066:                             ;   in Loop: Header=BB6_128 Depth=2
	v_bfe_u32 v100, v54, 16, 7
	v_mov_b32_e32 v19, 0x7f800001
	s_mov_b32 s41, exec_lo
	s_delay_alu instid0(VALU_DEP_2)
	v_cmpx_ne_u32_e32 0x7f, v100
	s_cbranch_execz .LBB6_3070
; %bb.3067:                             ;   in Loop: Header=BB6_128 Depth=2
	v_dual_mov_b32 v15, v55 :: v_dual_bitop2_b32 v14, 7, v67 bitop3:0x40
	v_lshrrev_b32_e32 v19, 3, v100
	s_mov_b32 s42, exec_lo
	v_cmpx_gt_u32_e32 8, v100
; %bb.3068:                             ;   in Loop: Header=BB6_128 Depth=2
	s_delay_alu instid0(VALU_DEP_3) | instskip(NEXT) | instid1(VALU_DEP_1)
	v_clz_i32_u32_e32 v19, v14
	v_min_u32_e32 v19, 32, v19
	s_delay_alu instid0(VALU_DEP_1) | instskip(NEXT) | instid1(VALU_DEP_1)
	v_subrev_nc_u32_e32 v100, 28, v19
	v_lshlrev_b64_e32 v[14:15], v100, v[14:15]
	s_delay_alu instid0(VALU_DEP_1)
	v_dual_sub_nc_u32 v19, 29, v19 :: v_dual_bitop2_b32 v14, 7, v14 bitop3:0x40
; %bb.3069:                             ;   in Loop: Header=BB6_128 Depth=2
	s_or_b32 exec_lo, exec_lo, s42
	s_delay_alu instid0(VALU_DEP_1) | instskip(NEXT) | instid1(VALU_DEP_2)
	v_dual_lshlrev_b32 v15, 24, v67 :: v_dual_lshlrev_b32 v14, 20, v14
	v_lshl_add_u32 v19, v19, 23, 0x3c000000
	s_delay_alu instid0(VALU_DEP_2) | instskip(NEXT) | instid1(VALU_DEP_1)
	v_and_b32_e32 v15, 0x80000000, v15
	v_or3_b32 v19, v14, v15, v19
.LBB6_3070:                             ;   in Loop: Header=BB6_128 Depth=2
	s_or_b32 exec_lo, exec_lo, s41
.LBB6_3071:                             ;   in Loop: Header=BB6_128 Depth=2
	s_delay_alu instid0(SALU_CYCLE_1)
	s_or_b32 exec_lo, exec_lo, s40
.LBB6_3072:                             ;   in Loop: Header=BB6_128 Depth=2
	s_delay_alu instid0(SALU_CYCLE_1) | instskip(SKIP_2) | instid1(VALU_DEP_1)
	s_or_b32 exec_lo, exec_lo, s10
	v_lshrrev_b32_e32 v14, 16, v17
	s_mov_b32 s10, exec_lo
	v_and_b32_e32 v15, 0xff, v14
	s_delay_alu instid0(VALU_DEP_1)
	v_cmpx_ne_u16_e32 0, v15
	s_cbranch_execz .LBB6_3080
; %bb.3073:                             ;   in Loop: Header=BB6_128 Depth=2
	v_bfrev_b32_e32 v18, 1
	s_mov_b32 s40, exec_lo
	v_cmpx_ne_u16_e32 0x80, v15
	s_cbranch_execz .LBB6_3079
; %bb.3074:                             ;   in Loop: Header=BB6_128 Depth=2
	v_bfe_u32 v67, v17, 16, 7
	v_mov_b32_e32 v18, 0x7f800001
	s_mov_b32 s41, exec_lo
	s_delay_alu instid0(VALU_DEP_2)
	v_cmpx_ne_u32_e32 0x7f, v67
	s_cbranch_execz .LBB6_3078
; %bb.3075:                             ;   in Loop: Header=BB6_128 Depth=2
	v_dual_mov_b32 v15, v55 :: v_dual_bitop2_b32 v14, 7, v14 bitop3:0x40
	v_lshrrev_b32_e32 v18, 3, v67
	s_mov_b32 s42, exec_lo
	v_cmpx_gt_u32_e32 8, v67
; %bb.3076:                             ;   in Loop: Header=BB6_128 Depth=2
	s_delay_alu instid0(VALU_DEP_3) | instskip(NEXT) | instid1(VALU_DEP_1)
	v_clz_i32_u32_e32 v18, v14
	v_min_u32_e32 v18, 32, v18
	s_delay_alu instid0(VALU_DEP_1) | instskip(SKIP_1) | instid1(VALU_DEP_2)
	v_subrev_nc_u32_e32 v67, 28, v18
	v_sub_nc_u32_e32 v18, 29, v18
	v_lshlrev_b64_e32 v[14:15], v67, v[14:15]
	s_delay_alu instid0(VALU_DEP_1)
	v_and_b32_e32 v14, 7, v14
; %bb.3077:                             ;   in Loop: Header=BB6_128 Depth=2
	s_or_b32 exec_lo, exec_lo, s42
	s_delay_alu instid0(VALU_DEP_1) | instskip(SKIP_1) | instid1(VALU_DEP_2)
	v_dual_lshlrev_b32 v15, 8, v17 :: v_dual_lshlrev_b32 v14, 20, v14
	v_lshl_add_u32 v18, v18, 23, 0x3c000000
	v_and_b32_e32 v15, 0x80000000, v15
	s_delay_alu instid0(VALU_DEP_1)
	v_or3_b32 v18, v14, v15, v18
.LBB6_3078:                             ;   in Loop: Header=BB6_128 Depth=2
	s_or_b32 exec_lo, exec_lo, s41
.LBB6_3079:                             ;   in Loop: Header=BB6_128 Depth=2
	s_delay_alu instid0(SALU_CYCLE_1)
	s_or_b32 exec_lo, exec_lo, s40
.LBB6_3080:                             ;   in Loop: Header=BB6_128 Depth=2
	s_delay_alu instid0(SALU_CYCLE_1) | instskip(NEXT) | instid1(VALU_DEP_1)
	s_or_b32 exec_lo, exec_lo, s10
	v_add_f32_e32 v14, v19, v18
	s_delay_alu instid0(VALU_DEP_1) | instskip(SKIP_1) | instid1(VALU_DEP_1)
	v_dual_mov_b32 v19, v55 :: v_dual_lshrrev_b32 v15, 24, v14
	v_and_b32_e32 v18, 0x7f800000, v14
	v_cmp_ne_u64_e32 vcc_lo, 0x7f800000, v[18:19]
                                        ; implicit-def: $vgpr18
	s_and_saveexec_b32 s10, vcc_lo
	s_delay_alu instid0(SALU_CYCLE_1)
	s_xor_b32 s40, exec_lo, s10
	s_cbranch_execz .LBB6_3094
; %bb.3081:                             ;   in Loop: Header=BB6_128 Depth=2
	v_and_b32_e32 v18, 0x7fffffff, v14
	v_mov_b32_e32 v19, v55
	v_and_b32_e32 v67, 0x80, v15
	s_delay_alu instid0(VALU_DEP_2) | instskip(SKIP_1) | instid1(SALU_CYCLE_1)
	v_cmp_gt_u64_e32 vcc_lo, 0x43e00001, v[18:19]
                                        ; implicit-def: $vgpr18
	s_and_saveexec_b32 s10, vcc_lo
	s_xor_b32 s41, exec_lo, s10
	s_cbranch_execz .LBB6_3091
; %bb.3082:                             ;   in Loop: Header=BB6_128 Depth=2
	v_mov_b32_e32 v18, 0
	s_mov_b32 s42, exec_lo
	v_cmpx_ne_u32_e32 0, v14
	s_cbranch_execz .LBB6_3090
; %bb.3083:                             ;   in Loop: Header=BB6_128 Depth=2
	v_bfe_u32 v100, v14, 23, 8
	v_and_b32_e32 v15, 0x7fffff, v14
	s_delay_alu instid0(VALU_DEP_2) | instskip(SKIP_2) | instid1(VALU_DEP_4)
	v_cmp_gt_u32_e64 s10, 0x7a, v100
	v_sub_nc_u32_e32 v14, 0x79, v100
	v_cmp_eq_u32_e32 vcc_lo, 0, v100
	v_or_b32_e32 v18, 0x800000, v15
	s_delay_alu instid0(VALU_DEP_3) | instskip(NEXT) | instid1(VALU_DEP_1)
	v_cndmask_b32_e64 v14, 0, v14, s10
	v_cndmask_b32_e64 v101, v14, 0x78, vcc_lo
	s_delay_alu instid0(VALU_DEP_3) | instskip(NEXT) | instid1(VALU_DEP_2)
	v_dual_cndmask_b32 v14, v18, v15 :: v_dual_mov_b32 v15, v55
	v_dual_add_nc_u32 v18, 20, v101 :: v_dual_add_nc_u32 v40, 19, v101
	s_delay_alu instid0(VALU_DEP_1) | instskip(NEXT) | instid1(VALU_DEP_2)
	v_lshlrev_b64_e64 v[18:19], v18, -1
	v_lshlrev_b64_e64 v[40:41], v40, 1
	s_delay_alu instid0(VALU_DEP_2) | instskip(SKIP_1) | instid1(VALU_DEP_4)
	v_bfi_b32 v18, v18, 0, v14
	v_lshrrev_b64 v[14:15], v101, v[14:15]
	v_bfi_b32 v19, v19, 0, 0
	s_delay_alu instid0(VALU_DEP_1) | instskip(NEXT) | instid1(VALU_DEP_3)
	v_cmp_eq_u64_e64 s10, v[18:19], v[40:41]
	v_mov_b64_e32 v[18:19], v[14:15]
	s_and_saveexec_b32 s43, s10
; %bb.3084:                             ;   in Loop: Header=BB6_128 Depth=2
	v_bfe_u32 v18, v14, 20, 1
	v_mov_b32_e32 v19, v55
	s_delay_alu instid0(VALU_DEP_1) | instskip(NEXT) | instid1(VALU_DEP_1)
	v_add_nc_u64_e32 v[18:19], v[14:15], v[18:19]
	v_add_nc_u64_e32 v[18:19], -1, v[18:19]
; %bb.3085:                             ;   in Loop: Header=BB6_128 Depth=2
	s_or_b32 exec_lo, exec_lo, s43
	v_add_nc_u32_e32 v15, 0xffffff81, v100
	v_lshrrev_b32_e32 v19, 23, v14
	s_mov_b32 s10, exec_lo
	s_delay_alu instid0(VALU_DEP_2) | instskip(NEXT) | instid1(VALU_DEP_1)
	v_cndmask_b32_e64 v15, v15, 0xffffff82, vcc_lo
	v_add3_u32 v100, v101, v15, v19
	v_and_b32_e32 v15, 0xfffff, v18
                                        ; implicit-def: $vgpr18
	s_delay_alu instid0(VALU_DEP_1) | instskip(SKIP_1) | instid1(VALU_DEP_2)
	v_dual_add_nc_u32 v19, 6, v100 :: v_dual_add_nc_u32 v14, v15, v14
	v_mov_b32_e32 v15, v55
	v_cmpx_ne_u32_e32 0, v19
	s_xor_b32 s10, exec_lo, s10
; %bb.3086:                             ;   in Loop: Header=BB6_128 Depth=2
	s_delay_alu instid0(VALU_DEP_2) | instskip(SKIP_1) | instid1(VALU_DEP_1)
	v_cmp_lt_u64_e32 vcc_lo, 0xffffff, v[14:15]
	v_add_nc_u32_e32 v18, 7, v100
	v_cndmask_b32_e32 v18, v19, v18, vcc_lo
	v_cndmask_b32_e64 v19, 0, 1, vcc_lo
	s_delay_alu instid0(VALU_DEP_1)
	v_lshrrev_b64 v[14:15], v19, v[14:15]
; %bb.3087:                             ;   in Loop: Header=BB6_128 Depth=2
	s_and_not1_saveexec_b32 s10, s10
; %bb.3088:                             ;   in Loop: Header=BB6_128 Depth=2
	s_delay_alu instid0(VALU_DEP_1)
	v_bfe_u32 v18, v14, 23, 1
; %bb.3089:                             ;   in Loop: Header=BB6_128 Depth=2
	s_or_b32 exec_lo, exec_lo, s10
	s_delay_alu instid0(VALU_DEP_2) | instskip(NEXT) | instid1(VALU_DEP_2)
	v_lshrrev_b64 v[14:15], 20, v[14:15]
	v_cmp_gt_i32_e32 vcc_lo, 16, v18
	v_min_i32_e32 v19, 15, v18
	v_cmp_eq_u32_e64 s10, 0, v18
	s_delay_alu instid0(VALU_DEP_4) | instskip(NEXT) | instid1(VALU_DEP_3)
	v_cndmask_b32_e32 v15, 0, v15, vcc_lo
	v_dual_cndmask_b32 v14, 7, v14 :: v_dual_lshlrev_b32 v19, 3, v19
	s_delay_alu instid0(VALU_DEP_1) | instskip(NEXT) | instid1(VALU_DEP_2)
	v_and_b32_e32 v19, 0xf8, v19
	v_cmp_eq_u64_e32 vcc_lo, 0, v[14:15]
	s_delay_alu instid0(VALU_DEP_2)
	v_and_or_b32 v14, v14, 7, v19
	s_and_b32 s10, s10, vcc_lo
	s_delay_alu instid0(VALU_DEP_1) | instid1(SALU_CYCLE_1)
	v_cndmask_b32_e64 v14, v14, 0, s10
	s_delay_alu instid0(VALU_DEP_1)
	v_or_b32_e32 v18, v14, v67
.LBB6_3090:                             ;   in Loop: Header=BB6_128 Depth=2
	s_or_b32 exec_lo, exec_lo, s42
                                        ; implicit-def: $vgpr67
.LBB6_3091:                             ;   in Loop: Header=BB6_128 Depth=2
	s_and_not1_saveexec_b32 s10, s41
; %bb.3092:                             ;   in Loop: Header=BB6_128 Depth=2
	v_or_b32_e32 v18, 0x7e, v67
; %bb.3093:                             ;   in Loop: Header=BB6_128 Depth=2
	s_or_b32 exec_lo, exec_lo, s10
                                        ; implicit-def: $vgpr15
.LBB6_3094:                             ;   in Loop: Header=BB6_128 Depth=2
	s_and_not1_saveexec_b32 s10, s40
; %bb.3095:                             ;   in Loop: Header=BB6_128 Depth=2
	v_or_b32_e32 v18, 0x7f, v15
; %bb.3096:                             ;   in Loop: Header=BB6_128 Depth=2
	s_or_b32 exec_lo, exec_lo, s10
	v_dual_mov_b32 v19, 0 :: v_dual_mov_b32 v67, 0
	s_mov_b32 s10, exec_lo
	v_cmpx_lt_u32_e32 0xffffff, v54
	s_cbranch_execz .LBB6_3104
; %bb.3097:                             ;   in Loop: Header=BB6_128 Depth=2
	v_lshrrev_b32_e32 v100, 24, v54
	v_bfrev_b32_e32 v67, 1
	s_mov_b32 s40, exec_lo
	s_delay_alu instid0(VALU_DEP_2)
	v_cmpx_ne_u32_e32 0x80, v100
	s_cbranch_execz .LBB6_3103
; %bb.3098:                             ;   in Loop: Header=BB6_128 Depth=2
	v_bfe_u32 v14, v54, 24, 7
	v_mov_b32_e32 v67, 0x7f800001
	s_mov_b32 s41, exec_lo
	s_delay_alu instid0(VALU_DEP_2)
	v_cmpx_ne_u32_e32 0x7f, v14
	s_cbranch_execz .LBB6_3102
; %bb.3099:                             ;   in Loop: Header=BB6_128 Depth=2
	v_dual_lshrrev_b32 v67, 3, v14 :: v_dual_bitop2_b32 v54, 7, v100 bitop3:0x40
	v_cmp_gt_u32_e32 vcc_lo, 8, v14
	s_delay_alu instid0(VALU_DEP_2)
	v_mov_b64_e32 v[14:15], v[54:55]
	s_and_saveexec_b32 s42, vcc_lo
; %bb.3100:                             ;   in Loop: Header=BB6_128 Depth=2
	v_clz_i32_u32_e32 v14, v54
	s_delay_alu instid0(VALU_DEP_1) | instskip(NEXT) | instid1(VALU_DEP_1)
	v_min_u32_e32 v67, 32, v14
	v_subrev_nc_u32_e32 v14, 28, v67
	s_delay_alu instid0(VALU_DEP_1) | instskip(NEXT) | instid1(VALU_DEP_1)
	v_lshlrev_b64_e32 v[14:15], v14, v[54:55]
	v_dual_sub_nc_u32 v67, 29, v67 :: v_dual_bitop2_b32 v14, 7, v14 bitop3:0x40
; %bb.3101:                             ;   in Loop: Header=BB6_128 Depth=2
	s_or_b32 exec_lo, exec_lo, s42
	s_delay_alu instid0(VALU_DEP_1) | instskip(NEXT) | instid1(VALU_DEP_2)
	v_dual_lshlrev_b32 v15, 24, v100 :: v_dual_lshlrev_b32 v14, 20, v14
	v_lshl_add_u32 v54, v67, 23, 0x3c000000
	s_delay_alu instid0(VALU_DEP_2) | instskip(NEXT) | instid1(VALU_DEP_1)
	v_and_b32_e32 v15, 0x80000000, v15
	v_or3_b32 v67, v14, v15, v54
.LBB6_3102:                             ;   in Loop: Header=BB6_128 Depth=2
	s_or_b32 exec_lo, exec_lo, s41
.LBB6_3103:                             ;   in Loop: Header=BB6_128 Depth=2
	s_delay_alu instid0(SALU_CYCLE_1)
	s_or_b32 exec_lo, exec_lo, s40
.LBB6_3104:                             ;   in Loop: Header=BB6_128 Depth=2
	s_delay_alu instid0(SALU_CYCLE_1) | instskip(NEXT) | instid1(SALU_CYCLE_1)
	s_or_b32 exec_lo, exec_lo, s10
	s_mov_b32 s10, exec_lo
	v_cmpx_lt_u64_e64 s[14:15], v[16:17]
	s_cbranch_execz .LBB6_3112
; %bb.3105:                             ;   in Loop: Header=BB6_128 Depth=2
	v_lshrrev_b32_e32 v16, 24, v17
	v_bfrev_b32_e32 v19, 1
	s_mov_b32 s40, exec_lo
	s_delay_alu instid0(VALU_DEP_2)
	v_cmpx_ne_u32_e32 0x80, v16
	s_cbranch_execz .LBB6_3111
; %bb.3106:                             ;   in Loop: Header=BB6_128 Depth=2
	v_bfe_u32 v14, v17, 24, 7
	v_mov_b32_e32 v19, 0x7f800001
	s_mov_b32 s41, exec_lo
	s_delay_alu instid0(VALU_DEP_2)
	v_cmpx_ne_u32_e32 0x7f, v14
	s_cbranch_execz .LBB6_3110
; %bb.3107:                             ;   in Loop: Header=BB6_128 Depth=2
	v_dual_lshrrev_b32 v17, 3, v14 :: v_dual_bitop2_b32 v54, 7, v16 bitop3:0x40
	v_cmp_gt_u32_e32 vcc_lo, 8, v14
	s_delay_alu instid0(VALU_DEP_2)
	v_mov_b64_e32 v[14:15], v[54:55]
	s_and_saveexec_b32 s42, vcc_lo
; %bb.3108:                             ;   in Loop: Header=BB6_128 Depth=2
	v_clz_i32_u32_e32 v14, v54
	s_delay_alu instid0(VALU_DEP_1) | instskip(NEXT) | instid1(VALU_DEP_1)
	v_min_u32_e32 v17, 32, v14
	v_subrev_nc_u32_e32 v14, 28, v17
	s_delay_alu instid0(VALU_DEP_1) | instskip(NEXT) | instid1(VALU_DEP_1)
	v_lshlrev_b64_e32 v[14:15], v14, v[54:55]
	v_dual_sub_nc_u32 v17, 29, v17 :: v_dual_bitop2_b32 v14, 7, v14 bitop3:0x40
; %bb.3109:                             ;   in Loop: Header=BB6_128 Depth=2
	s_or_b32 exec_lo, exec_lo, s42
	s_delay_alu instid0(VALU_DEP_1) | instskip(NEXT) | instid1(VALU_DEP_2)
	v_dual_lshlrev_b32 v15, 24, v16 :: v_dual_lshlrev_b32 v14, 20, v14
	v_lshl_add_u32 v16, v17, 23, 0x3c000000
	s_delay_alu instid0(VALU_DEP_2) | instskip(NEXT) | instid1(VALU_DEP_1)
	v_and_b32_e32 v15, 0x80000000, v15
	v_or3_b32 v19, v14, v15, v16
.LBB6_3110:                             ;   in Loop: Header=BB6_128 Depth=2
	s_or_b32 exec_lo, exec_lo, s41
.LBB6_3111:                             ;   in Loop: Header=BB6_128 Depth=2
	s_delay_alu instid0(SALU_CYCLE_1)
	s_or_b32 exec_lo, exec_lo, s40
.LBB6_3112:                             ;   in Loop: Header=BB6_128 Depth=2
	s_delay_alu instid0(SALU_CYCLE_1) | instskip(NEXT) | instid1(VALU_DEP_1)
	s_or_b32 exec_lo, exec_lo, s10
	v_add_f32_e32 v14, v67, v19
                                        ; implicit-def: $vgpr19
	s_mov_b32 s10, exec_lo
	s_delay_alu instid0(VALU_DEP_1) | instskip(SKIP_1) | instid1(VALU_DEP_2)
	v_and_b32_e32 v54, 0x7f800000, v14
	v_lshrrev_b32_e32 v15, 24, v14
	v_cmpx_ne_u64_e32 0x7f800000, v[54:55]
	s_xor_b32 s40, exec_lo, s10
	s_cbranch_execz .LBB6_3126
; %bb.3113:                             ;   in Loop: Header=BB6_128 Depth=2
	v_and_b32_e32 v54, 0x7fffffff, v14
	v_and_b32_e32 v67, 0x80, v15
                                        ; implicit-def: $vgpr19
	s_mov_b32 s10, exec_lo
	s_delay_alu instid0(VALU_DEP_2)
	v_cmpx_gt_u64_e32 0x43e00001, v[54:55]
	s_xor_b32 s41, exec_lo, s10
	s_cbranch_execz .LBB6_3123
; %bb.3114:                             ;   in Loop: Header=BB6_128 Depth=2
	v_mov_b32_e32 v19, 0
	s_mov_b32 s42, exec_lo
	v_cmpx_ne_u32_e32 0, v14
	s_cbranch_execz .LBB6_3122
; %bb.3115:                             ;   in Loop: Header=BB6_128 Depth=2
	v_bfe_u32 v19, v14, 23, 8
	v_and_b32_e32 v15, 0x7fffff, v14
	s_delay_alu instid0(VALU_DEP_2) | instskip(SKIP_2) | instid1(VALU_DEP_4)
	v_cmp_gt_u32_e64 s10, 0x7a, v19
	v_sub_nc_u32_e32 v14, 0x79, v19
	v_cmp_eq_u32_e32 vcc_lo, 0, v19
	v_or_b32_e32 v16, 0x800000, v15
	s_delay_alu instid0(VALU_DEP_1) | instskip(NEXT) | instid1(VALU_DEP_1)
	v_dual_cndmask_b32 v14, 0, v14, s10 :: v_dual_cndmask_b32 v54, v16, v15, vcc_lo
	v_cndmask_b32_e64 v100, v14, 0x78, vcc_lo
	s_delay_alu instid0(VALU_DEP_1) | instskip(NEXT) | instid1(VALU_DEP_1)
	v_dual_add_nc_u32 v14, 20, v100 :: v_dual_add_nc_u32 v16, 19, v100
	v_lshlrev_b64_e64 v[14:15], v14, -1
	s_delay_alu instid0(VALU_DEP_2) | instskip(NEXT) | instid1(VALU_DEP_2)
	v_lshlrev_b64_e64 v[16:17], v16, 1
	v_bfi_b32 v15, v15, 0, 0
	s_delay_alu instid0(VALU_DEP_3) | instskip(NEXT) | instid1(VALU_DEP_1)
	v_bfi_b32 v14, v14, 0, v54
	v_cmp_eq_u64_e64 s10, v[14:15], v[16:17]
	v_lshrrev_b64 v[14:15], v100, v[54:55]
	s_delay_alu instid0(VALU_DEP_1)
	v_mov_b64_e32 v[16:17], v[14:15]
	s_and_saveexec_b32 s43, s10
; %bb.3116:                             ;   in Loop: Header=BB6_128 Depth=2
	v_bfe_u32 v54, v14, 20, 1
	s_delay_alu instid0(VALU_DEP_1) | instskip(NEXT) | instid1(VALU_DEP_1)
	v_add_nc_u64_e32 v[16:17], v[14:15], v[54:55]
	v_add_nc_u64_e32 v[16:17], -1, v[16:17]
; %bb.3117:                             ;   in Loop: Header=BB6_128 Depth=2
	s_or_b32 exec_lo, exec_lo, s43
	v_add_nc_u32_e32 v15, 0xffffff81, v19
	v_lshrrev_b32_e32 v17, 23, v14
	s_mov_b32 s10, exec_lo
	s_delay_alu instid0(VALU_DEP_2) | instskip(NEXT) | instid1(VALU_DEP_1)
	v_cndmask_b32_e64 v15, v15, 0xffffff82, vcc_lo
	v_add3_u32 v19, v100, v15, v17
	v_and_b32_e32 v15, 0xfffff, v16
                                        ; implicit-def: $vgpr16
	s_delay_alu instid0(VALU_DEP_1) | instskip(NEXT) | instid1(VALU_DEP_1)
	v_dual_add_nc_u32 v17, 6, v19 :: v_dual_add_nc_u32 v54, v15, v14
                                        ; implicit-def: $vgpr14_vgpr15
	v_cmpx_ne_u32_e32 0, v17
	s_xor_b32 s10, exec_lo, s10
; %bb.3118:                             ;   in Loop: Header=BB6_128 Depth=2
	s_delay_alu instid0(VALU_DEP_2) | instskip(SKIP_1) | instid1(VALU_DEP_1)
	v_cmp_lt_u64_e32 vcc_lo, 0xffffff, v[54:55]
	v_add_nc_u32_e32 v14, 7, v19
	v_cndmask_b32_e32 v16, v17, v14, vcc_lo
	v_cndmask_b32_e64 v14, 0, 1, vcc_lo
	s_delay_alu instid0(VALU_DEP_1)
	v_lshrrev_b64 v[14:15], v14, v[54:55]
; %bb.3119:                             ;   in Loop: Header=BB6_128 Depth=2
	s_and_not1_saveexec_b32 s10, s10
; %bb.3120:                             ;   in Loop: Header=BB6_128 Depth=2
	v_mov_b64_e32 v[14:15], v[54:55]
	v_bfe_u32 v16, v54, 23, 1
; %bb.3121:                             ;   in Loop: Header=BB6_128 Depth=2
	s_or_b32 exec_lo, exec_lo, s10
	s_delay_alu instid0(VALU_DEP_2) | instskip(NEXT) | instid1(VALU_DEP_2)
	v_lshrrev_b64 v[14:15], 20, v[14:15]
	v_cmp_gt_i32_e32 vcc_lo, 16, v16
	v_min_i32_e32 v17, 15, v16
	v_cmp_eq_u32_e64 s10, 0, v16
	s_delay_alu instid0(VALU_DEP_2) | instskip(SKIP_1) | instid1(VALU_DEP_2)
	v_dual_cndmask_b32 v15, 0, v15, vcc_lo :: v_dual_lshlrev_b32 v17, 3, v17
	v_cndmask_b32_e32 v14, 7, v14, vcc_lo
	v_and_b32_e32 v17, 0xf8, v17
	s_delay_alu instid0(VALU_DEP_2) | instskip(NEXT) | instid1(VALU_DEP_2)
	v_cmp_eq_u64_e32 vcc_lo, 0, v[14:15]
	v_and_or_b32 v14, v14, 7, v17
	s_and_b32 s10, s10, vcc_lo
	s_delay_alu instid0(VALU_DEP_1) | instid1(SALU_CYCLE_1)
	v_cndmask_b32_e64 v14, v14, 0, s10
	s_delay_alu instid0(VALU_DEP_1)
	v_or_b32_e32 v19, v14, v67
.LBB6_3122:                             ;   in Loop: Header=BB6_128 Depth=2
	s_or_b32 exec_lo, exec_lo, s42
                                        ; implicit-def: $vgpr67
.LBB6_3123:                             ;   in Loop: Header=BB6_128 Depth=2
	s_and_not1_saveexec_b32 s10, s41
; %bb.3124:                             ;   in Loop: Header=BB6_128 Depth=2
	v_or_b32_e32 v19, 0x7e, v67
; %bb.3125:                             ;   in Loop: Header=BB6_128 Depth=2
	s_or_b32 exec_lo, exec_lo, s10
                                        ; implicit-def: $vgpr15
.LBB6_3126:                             ;   in Loop: Header=BB6_128 Depth=2
	s_and_not1_saveexec_b32 s10, s40
; %bb.3127:                             ;   in Loop: Header=BB6_128 Depth=2
	v_or_b32_e32 v19, 0x7f, v15
; %bb.3128:                             ;   in Loop: Header=BB6_128 Depth=2
	s_or_b32 exec_lo, exec_lo, s10
	v_lshl_or_b32 v100, v78, 8, v73
	v_dual_lshlrev_b32 v14, 16, v88 :: v_dual_lshlrev_b32 v15, 24, v91
	s_mov_b32 s10, exec_lo
	s_delay_alu instid0(VALU_DEP_1)
	v_or3_b32 v54, v14, v15, v100
	v_dual_mov_b32 v14, 0 :: v_dual_mov_b32 v15, 0
	v_cmpx_ne_u32_e32 0, v73
	s_cbranch_execz .LBB6_3134
; %bb.3129:                             ;   in Loop: Header=BB6_128 Depth=2
	v_bfrev_b32_e32 v15, 1
	s_mov_b32 s40, exec_lo
	v_cmpx_ne_u32_e32 0x80, v73
	s_cbranch_execz .LBB6_3133
; %bb.3130:                             ;   in Loop: Header=BB6_128 Depth=2
	v_and_b32_e32 v16, 0x7f, v73
	v_mov_b32_e32 v15, 0x7f800001
	s_mov_b32 s41, exec_lo
	s_delay_alu instid0(VALU_DEP_2)
	v_cmpx_ne_u32_e32 0x7f, v16
	s_cbranch_execz .LBB6_3132
; %bb.3131:                             ;   in Loop: Header=BB6_128 Depth=2
	v_dual_lshrrev_b32 v17, 3, v16 :: v_dual_bitop2_b32 v15, 7, v73 bitop3:0x40
	v_cmp_gt_u32_e32 vcc_lo, 8, v16
	s_delay_alu instid0(VALU_DEP_2) | instskip(NEXT) | instid1(VALU_DEP_1)
	v_clz_i32_u32_e32 v15, v15
	v_min_u32_e32 v15, 32, v15
	s_delay_alu instid0(VALU_DEP_1) | instskip(NEXT) | instid1(VALU_DEP_1)
	v_subrev_nc_u32_e32 v16, 28, v15
	v_dual_cndmask_b32 v16, 0, v16 :: v_dual_sub_nc_u32 v15, 29, v15
	s_delay_alu instid0(VALU_DEP_1) | instskip(NEXT) | instid1(VALU_DEP_2)
	v_cndmask_b32_e32 v15, v17, v15, vcc_lo
	v_lshlrev_b64_e32 v[16:17], v16, v[54:55]
	v_lshlrev_b32_e32 v17, 24, v54
	s_delay_alu instid0(VALU_DEP_1) | instskip(NEXT) | instid1(VALU_DEP_3)
	v_and_b32_e32 v17, 0x80000000, v17
	v_lshlrev_b32_e32 v16, 20, v16
	v_lshl_add_u32 v15, v15, 23, 0x3c000000
	s_delay_alu instid0(VALU_DEP_2) | instskip(NEXT) | instid1(VALU_DEP_1)
	v_and_b32_e32 v16, 0x700000, v16
	v_or3_b32 v15, v16, v17, v15
.LBB6_3132:                             ;   in Loop: Header=BB6_128 Depth=2
	s_or_b32 exec_lo, exec_lo, s41
.LBB6_3133:                             ;   in Loop: Header=BB6_128 Depth=2
	s_delay_alu instid0(SALU_CYCLE_1)
	s_or_b32 exec_lo, exec_lo, s40
.LBB6_3134:                             ;   in Loop: Header=BB6_128 Depth=2
	s_delay_alu instid0(SALU_CYCLE_1) | instskip(SKIP_3) | instid1(VALU_DEP_1)
	s_or_b32 exec_lo, exec_lo, s10
	s_wait_loadcnt 0x0
	v_and_b32_e32 v16, 0xff, v10
	s_mov_b32 s10, exec_lo
	v_cmpx_ne_u16_e32 0, v16
	s_cbranch_execz .LBB6_3140
; %bb.3135:                             ;   in Loop: Header=BB6_128 Depth=2
	v_bfrev_b32_e32 v14, 1
	s_mov_b32 s40, exec_lo
	v_cmpx_ne_u16_e32 0x80, v16
	s_cbranch_execz .LBB6_3139
; %bb.3136:                             ;   in Loop: Header=BB6_128 Depth=2
	v_and_b32_e32 v16, 0x7f, v10
	v_mov_b32_e32 v14, 0x7f800001
	s_mov_b32 s41, exec_lo
	s_delay_alu instid0(VALU_DEP_2)
	v_cmpx_ne_u32_e32 0x7f, v16
	s_cbranch_execz .LBB6_3138
; %bb.3137:                             ;   in Loop: Header=BB6_128 Depth=2
	v_dual_lshrrev_b32 v17, 3, v16 :: v_dual_bitop2_b32 v14, 7, v10 bitop3:0x40
	v_cmp_gt_u32_e32 vcc_lo, 8, v16
	s_delay_alu instid0(VALU_DEP_2) | instskip(NEXT) | instid1(VALU_DEP_1)
	v_clz_i32_u32_e32 v14, v14
	v_min_u32_e32 v14, 32, v14
	s_delay_alu instid0(VALU_DEP_1) | instskip(NEXT) | instid1(VALU_DEP_1)
	v_subrev_nc_u32_e32 v16, 28, v14
	v_dual_sub_nc_u32 v14, 29, v14 :: v_dual_cndmask_b32 v16, 0, v16, vcc_lo
	s_delay_alu instid0(VALU_DEP_1) | instskip(NEXT) | instid1(VALU_DEP_2)
	v_cndmask_b32_e32 v14, v17, v14, vcc_lo
	v_lshlrev_b64_e32 v[16:17], v16, v[10:11]
	v_lshlrev_b32_e32 v17, 24, v10
	s_delay_alu instid0(VALU_DEP_1) | instskip(NEXT) | instid1(VALU_DEP_3)
	v_and_b32_e32 v17, 0x80000000, v17
	v_lshlrev_b32_e32 v16, 20, v16
	v_lshl_add_u32 v14, v14, 23, 0x3c000000
	s_delay_alu instid0(VALU_DEP_2) | instskip(NEXT) | instid1(VALU_DEP_1)
	v_and_b32_e32 v16, 0x700000, v16
	v_or3_b32 v14, v16, v17, v14
.LBB6_3138:                             ;   in Loop: Header=BB6_128 Depth=2
	s_or_b32 exec_lo, exec_lo, s41
.LBB6_3139:                             ;   in Loop: Header=BB6_128 Depth=2
	s_delay_alu instid0(SALU_CYCLE_1)
	s_or_b32 exec_lo, exec_lo, s40
.LBB6_3140:                             ;   in Loop: Header=BB6_128 Depth=2
	s_delay_alu instid0(SALU_CYCLE_1) | instskip(NEXT) | instid1(VALU_DEP_1)
	s_or_b32 exec_lo, exec_lo, s10
	v_add_f32_e32 v14, v15, v14
	v_mov_b32_e32 v17, v55
                                        ; implicit-def: $vgpr67
	s_mov_b32 s10, exec_lo
	s_delay_alu instid0(VALU_DEP_2) | instskip(SKIP_1) | instid1(VALU_DEP_2)
	v_and_b32_e32 v16, 0x7f800000, v14
	v_lshrrev_b32_e32 v15, 24, v14
	v_cmpx_ne_u64_e32 0x7f800000, v[16:17]
	s_xor_b32 s40, exec_lo, s10
	s_cbranch_execz .LBB6_3154
; %bb.3141:                             ;   in Loop: Header=BB6_128 Depth=2
	v_and_b32_e32 v16, 0x7fffffff, v14
	v_mov_b32_e32 v17, v55
	v_and_b32_e32 v101, 0x80, v15
                                        ; implicit-def: $vgpr67
	s_mov_b32 s10, exec_lo
	s_delay_alu instid0(VALU_DEP_2)
	v_cmpx_gt_u64_e32 0x43e00001, v[16:17]
	s_xor_b32 s41, exec_lo, s10
	s_cbranch_execz .LBB6_3151
; %bb.3142:                             ;   in Loop: Header=BB6_128 Depth=2
	v_mov_b32_e32 v67, 0
	s_mov_b32 s42, exec_lo
	v_cmpx_ne_u32_e32 0, v14
	s_cbranch_execz .LBB6_3150
; %bb.3143:                             ;   in Loop: Header=BB6_128 Depth=2
	v_bfe_u32 v67, v14, 23, 8
	v_and_b32_e32 v15, 0x7fffff, v14
	s_delay_alu instid0(VALU_DEP_2) | instskip(SKIP_2) | instid1(VALU_DEP_4)
	v_cmp_gt_u32_e64 s10, 0x7a, v67
	v_sub_nc_u32_e32 v14, 0x79, v67
	v_cmp_eq_u32_e32 vcc_lo, 0, v67
	v_or_b32_e32 v16, 0x800000, v15
	s_delay_alu instid0(VALU_DEP_3) | instskip(NEXT) | instid1(VALU_DEP_1)
	v_cndmask_b32_e64 v14, 0, v14, s10
	v_cndmask_b32_e64 v40, v14, 0x78, vcc_lo
	s_delay_alu instid0(VALU_DEP_3) | instskip(NEXT) | instid1(VALU_DEP_2)
	v_dual_cndmask_b32 v14, v16, v15 :: v_dual_mov_b32 v15, v55
	v_dual_add_nc_u32 v16, 20, v40 :: v_dual_add_nc_u32 v41, 19, v40
	s_delay_alu instid0(VALU_DEP_1) | instskip(NEXT) | instid1(VALU_DEP_2)
	v_lshlrev_b64_e64 v[16:17], v16, -1
	v_lshlrev_b64_e64 v[42:43], v41, 1
	s_delay_alu instid0(VALU_DEP_2) | instskip(SKIP_1) | instid1(VALU_DEP_4)
	v_bfi_b32 v16, v16, 0, v14
	v_lshrrev_b64 v[14:15], v40, v[14:15]
	v_bfi_b32 v17, v17, 0, 0
	s_delay_alu instid0(VALU_DEP_1) | instskip(NEXT) | instid1(VALU_DEP_3)
	v_cmp_eq_u64_e64 s10, v[16:17], v[42:43]
	v_mov_b64_e32 v[16:17], v[14:15]
	s_and_saveexec_b32 s43, s10
; %bb.3144:                             ;   in Loop: Header=BB6_128 Depth=2
	v_bfe_u32 v16, v14, 20, 1
	v_mov_b32_e32 v17, v55
	s_delay_alu instid0(VALU_DEP_1) | instskip(NEXT) | instid1(VALU_DEP_1)
	v_add_nc_u64_e32 v[16:17], v[14:15], v[16:17]
	v_add_nc_u64_e32 v[16:17], -1, v[16:17]
; %bb.3145:                             ;   in Loop: Header=BB6_128 Depth=2
	s_or_b32 exec_lo, exec_lo, s43
	v_add_nc_u32_e32 v15, 0xffffff81, v67
	v_lshrrev_b32_e32 v17, 23, v14
	s_mov_b32 s10, exec_lo
	s_delay_alu instid0(VALU_DEP_2) | instskip(NEXT) | instid1(VALU_DEP_1)
	v_cndmask_b32_e64 v15, v15, 0xffffff82, vcc_lo
	v_add3_u32 v67, v40, v15, v17
	v_and_b32_e32 v15, 0xfffff, v16
                                        ; implicit-def: $vgpr16
	s_delay_alu instid0(VALU_DEP_1) | instskip(SKIP_1) | instid1(VALU_DEP_2)
	v_dual_add_nc_u32 v17, 6, v67 :: v_dual_add_nc_u32 v14, v15, v14
	v_mov_b32_e32 v15, v55
	v_cmpx_ne_u32_e32 0, v17
	s_xor_b32 s10, exec_lo, s10
; %bb.3146:                             ;   in Loop: Header=BB6_128 Depth=2
	s_delay_alu instid0(VALU_DEP_2) | instskip(SKIP_1) | instid1(VALU_DEP_1)
	v_cmp_lt_u64_e32 vcc_lo, 0xffffff, v[14:15]
	v_add_nc_u32_e32 v16, 7, v67
	v_cndmask_b32_e32 v16, v17, v16, vcc_lo
	v_cndmask_b32_e64 v17, 0, 1, vcc_lo
	s_delay_alu instid0(VALU_DEP_1)
	v_lshrrev_b64 v[14:15], v17, v[14:15]
; %bb.3147:                             ;   in Loop: Header=BB6_128 Depth=2
	s_and_not1_saveexec_b32 s10, s10
; %bb.3148:                             ;   in Loop: Header=BB6_128 Depth=2
	s_delay_alu instid0(VALU_DEP_1)
	v_bfe_u32 v16, v14, 23, 1
; %bb.3149:                             ;   in Loop: Header=BB6_128 Depth=2
	s_or_b32 exec_lo, exec_lo, s10
	s_delay_alu instid0(VALU_DEP_2) | instskip(NEXT) | instid1(VALU_DEP_2)
	v_lshrrev_b64 v[14:15], 20, v[14:15]
	v_cmp_gt_i32_e32 vcc_lo, 16, v16
	v_min_i32_e32 v17, 15, v16
	v_cmp_eq_u32_e64 s10, 0, v16
	s_delay_alu instid0(VALU_DEP_2) | instskip(SKIP_1) | instid1(VALU_DEP_2)
	v_dual_cndmask_b32 v15, 0, v15, vcc_lo :: v_dual_lshlrev_b32 v17, 3, v17
	v_cndmask_b32_e32 v14, 7, v14, vcc_lo
	v_and_b32_e32 v17, 0xf8, v17
	s_delay_alu instid0(VALU_DEP_2) | instskip(NEXT) | instid1(VALU_DEP_2)
	v_cmp_eq_u64_e32 vcc_lo, 0, v[14:15]
	v_and_or_b32 v14, v14, 7, v17
	s_and_b32 s10, s10, vcc_lo
	s_delay_alu instid0(VALU_DEP_1) | instid1(SALU_CYCLE_1)
	v_cndmask_b32_e64 v14, v14, 0, s10
	s_delay_alu instid0(VALU_DEP_1)
	v_or_b32_e32 v67, v14, v101
.LBB6_3150:                             ;   in Loop: Header=BB6_128 Depth=2
	s_or_b32 exec_lo, exec_lo, s42
                                        ; implicit-def: $vgpr101
.LBB6_3151:                             ;   in Loop: Header=BB6_128 Depth=2
	s_and_not1_saveexec_b32 s10, s41
; %bb.3152:                             ;   in Loop: Header=BB6_128 Depth=2
	v_or_b32_e32 v67, 0x7e, v101
; %bb.3153:                             ;   in Loop: Header=BB6_128 Depth=2
	s_or_b32 exec_lo, exec_lo, s10
                                        ; implicit-def: $vgpr15
.LBB6_3154:                             ;   in Loop: Header=BB6_128 Depth=2
	s_and_not1_saveexec_b32 s10, s40
; %bb.3155:                             ;   in Loop: Header=BB6_128 Depth=2
	v_or_b32_e32 v67, 0x7f, v15
; %bb.3156:                             ;   in Loop: Header=BB6_128 Depth=2
	s_or_b32 exec_lo, exec_lo, s10
	v_lshrrev_b16 v14, 8, v100
	v_dual_mov_b32 v16, 0 :: v_dual_mov_b32 v17, 0
	s_mov_b32 s10, exec_lo
	s_delay_alu instid0(VALU_DEP_2)
	v_cmpx_ne_u16_e32 0, v14
	s_cbranch_execz .LBB6_3164
; %bb.3157:                             ;   in Loop: Header=BB6_128 Depth=2
	v_bfrev_b32_e32 v17, 1
	s_mov_b32 s40, exec_lo
	v_cmpx_ne_u16_e32 0x80, v14
	s_cbranch_execz .LBB6_3163
; %bb.3158:                             ;   in Loop: Header=BB6_128 Depth=2
	v_and_b32_e32 v14, 0xffff, v14
	v_mov_b32_e32 v17, 0x7f800001
	s_mov_b32 s41, exec_lo
	s_delay_alu instid0(VALU_DEP_2) | instskip(NEXT) | instid1(VALU_DEP_1)
	v_and_b32_e32 v101, 0x7f, v14
	v_cmpx_ne_u32_e32 0x7f, v101
	s_cbranch_execz .LBB6_3162
; %bb.3159:                             ;   in Loop: Header=BB6_128 Depth=2
	v_dual_mov_b32 v15, v55 :: v_dual_bitop2_b32 v14, 7, v14 bitop3:0x40
	v_lshrrev_b32_e32 v17, 3, v101
	s_mov_b32 s42, exec_lo
	v_cmpx_gt_u32_e32 8, v101
; %bb.3160:                             ;   in Loop: Header=BB6_128 Depth=2
	s_delay_alu instid0(VALU_DEP_3) | instskip(NEXT) | instid1(VALU_DEP_1)
	v_clz_i32_u32_e32 v17, v14
	v_min_u32_e32 v17, 32, v17
	s_delay_alu instid0(VALU_DEP_1) | instskip(NEXT) | instid1(VALU_DEP_1)
	v_subrev_nc_u32_e32 v101, 28, v17
	v_lshlrev_b64_e32 v[14:15], v101, v[14:15]
	s_delay_alu instid0(VALU_DEP_1)
	v_dual_sub_nc_u32 v17, 29, v17 :: v_dual_bitop2_b32 v14, 7, v14 bitop3:0x40
; %bb.3161:                             ;   in Loop: Header=BB6_128 Depth=2
	s_or_b32 exec_lo, exec_lo, s42
	s_delay_alu instid0(VALU_DEP_1) | instskip(NEXT) | instid1(VALU_DEP_2)
	v_dual_lshlrev_b32 v15, 16, v100 :: v_dual_lshlrev_b32 v14, 20, v14
	v_lshl_add_u32 v17, v17, 23, 0x3c000000
	s_delay_alu instid0(VALU_DEP_2) | instskip(NEXT) | instid1(VALU_DEP_1)
	v_and_b32_e32 v15, 0x80000000, v15
	v_or3_b32 v17, v14, v15, v17
.LBB6_3162:                             ;   in Loop: Header=BB6_128 Depth=2
	s_or_b32 exec_lo, exec_lo, s41
.LBB6_3163:                             ;   in Loop: Header=BB6_128 Depth=2
	s_delay_alu instid0(SALU_CYCLE_1)
	s_or_b32 exec_lo, exec_lo, s40
.LBB6_3164:                             ;   in Loop: Header=BB6_128 Depth=2
	s_delay_alu instid0(SALU_CYCLE_1) | instskip(SKIP_2) | instid1(VALU_DEP_1)
	s_or_b32 exec_lo, exec_lo, s10
	v_lshrrev_b16 v14, 8, v10
	s_mov_b32 s10, exec_lo
	v_cmpx_ne_u16_e32 0, v14
	s_cbranch_execz .LBB6_3172
; %bb.3165:                             ;   in Loop: Header=BB6_128 Depth=2
	v_bfrev_b32_e32 v16, 1
	s_mov_b32 s40, exec_lo
	v_cmpx_ne_u16_e32 0x80, v14
	s_cbranch_execz .LBB6_3171
; %bb.3166:                             ;   in Loop: Header=BB6_128 Depth=2
	v_and_b32_e32 v14, 0xffff, v14
	v_mov_b32_e32 v16, 0x7f800001
	s_mov_b32 s41, exec_lo
	s_delay_alu instid0(VALU_DEP_2) | instskip(NEXT) | instid1(VALU_DEP_1)
	v_and_b32_e32 v100, 0x7f, v14
	v_cmpx_ne_u32_e32 0x7f, v100
	s_cbranch_execz .LBB6_3170
; %bb.3167:                             ;   in Loop: Header=BB6_128 Depth=2
	v_dual_mov_b32 v15, v55 :: v_dual_bitop2_b32 v14, 7, v14 bitop3:0x40
	v_lshrrev_b32_e32 v16, 3, v100
	s_mov_b32 s42, exec_lo
	v_cmpx_gt_u32_e32 8, v100
; %bb.3168:                             ;   in Loop: Header=BB6_128 Depth=2
	s_delay_alu instid0(VALU_DEP_3) | instskip(NEXT) | instid1(VALU_DEP_1)
	v_clz_i32_u32_e32 v16, v14
	v_min_u32_e32 v16, 32, v16
	s_delay_alu instid0(VALU_DEP_1) | instskip(NEXT) | instid1(VALU_DEP_1)
	v_subrev_nc_u32_e32 v100, 28, v16
	v_lshlrev_b64_e32 v[14:15], v100, v[14:15]
	s_delay_alu instid0(VALU_DEP_1)
	v_dual_sub_nc_u32 v16, 29, v16 :: v_dual_bitop2_b32 v14, 7, v14 bitop3:0x40
; %bb.3169:                             ;   in Loop: Header=BB6_128 Depth=2
	s_or_b32 exec_lo, exec_lo, s42
	v_lshlrev_b32_e32 v15, 16, v10
	s_delay_alu instid0(VALU_DEP_2) | instskip(NEXT) | instid1(VALU_DEP_3)
	v_lshlrev_b32_e32 v14, 20, v14
	v_lshl_add_u32 v16, v16, 23, 0x3c000000
	s_delay_alu instid0(VALU_DEP_3) | instskip(NEXT) | instid1(VALU_DEP_1)
	v_and_b32_e32 v15, 0x80000000, v15
	v_or3_b32 v16, v14, v15, v16
.LBB6_3170:                             ;   in Loop: Header=BB6_128 Depth=2
	s_or_b32 exec_lo, exec_lo, s41
.LBB6_3171:                             ;   in Loop: Header=BB6_128 Depth=2
	s_delay_alu instid0(SALU_CYCLE_1)
	s_or_b32 exec_lo, exec_lo, s40
.LBB6_3172:                             ;   in Loop: Header=BB6_128 Depth=2
	s_delay_alu instid0(SALU_CYCLE_1) | instskip(NEXT) | instid1(VALU_DEP_1)
	s_or_b32 exec_lo, exec_lo, s10
	v_dual_add_f32 v14, v17, v16 :: v_dual_mov_b32 v17, v55
                                        ; implicit-def: $vgpr100
	s_mov_b32 s10, exec_lo
	s_delay_alu instid0(VALU_DEP_1) | instskip(SKIP_1) | instid1(VALU_DEP_2)
	v_and_b32_e32 v16, 0x7f800000, v14
	v_lshrrev_b32_e32 v15, 24, v14
	v_cmpx_ne_u64_e32 0x7f800000, v[16:17]
	s_xor_b32 s40, exec_lo, s10
	s_cbranch_execz .LBB6_3186
; %bb.3173:                             ;   in Loop: Header=BB6_128 Depth=2
	v_and_b32_e32 v16, 0x7fffffff, v14
	v_mov_b32_e32 v17, v55
	v_and_b32_e32 v101, 0x80, v15
                                        ; implicit-def: $vgpr100
	s_mov_b32 s10, exec_lo
	s_delay_alu instid0(VALU_DEP_2)
	v_cmpx_gt_u64_e32 0x43e00001, v[16:17]
	s_xor_b32 s41, exec_lo, s10
	s_cbranch_execz .LBB6_3183
; %bb.3174:                             ;   in Loop: Header=BB6_128 Depth=2
	v_mov_b32_e32 v100, 0
	s_mov_b32 s42, exec_lo
	v_cmpx_ne_u32_e32 0, v14
	s_cbranch_execz .LBB6_3182
; %bb.3175:                             ;   in Loop: Header=BB6_128 Depth=2
	v_bfe_u32 v100, v14, 23, 8
	v_and_b32_e32 v15, 0x7fffff, v14
	s_delay_alu instid0(VALU_DEP_2) | instskip(SKIP_2) | instid1(VALU_DEP_4)
	v_cmp_gt_u32_e64 s10, 0x7a, v100
	v_sub_nc_u32_e32 v14, 0x79, v100
	v_cmp_eq_u32_e32 vcc_lo, 0, v100
	v_or_b32_e32 v16, 0x800000, v15
	s_delay_alu instid0(VALU_DEP_3) | instskip(NEXT) | instid1(VALU_DEP_1)
	v_cndmask_b32_e64 v14, 0, v14, s10
	v_cndmask_b32_e64 v40, v14, 0x78, vcc_lo
	s_delay_alu instid0(VALU_DEP_3) | instskip(NEXT) | instid1(VALU_DEP_2)
	v_dual_cndmask_b32 v14, v16, v15 :: v_dual_mov_b32 v15, v55
	v_dual_add_nc_u32 v16, 20, v40 :: v_dual_add_nc_u32 v41, 19, v40
	s_delay_alu instid0(VALU_DEP_1) | instskip(NEXT) | instid1(VALU_DEP_2)
	v_lshlrev_b64_e64 v[16:17], v16, -1
	v_lshlrev_b64_e64 v[42:43], v41, 1
	s_delay_alu instid0(VALU_DEP_2) | instskip(SKIP_1) | instid1(VALU_DEP_4)
	v_bfi_b32 v16, v16, 0, v14
	v_lshrrev_b64 v[14:15], v40, v[14:15]
	v_bfi_b32 v17, v17, 0, 0
	s_delay_alu instid0(VALU_DEP_1) | instskip(NEXT) | instid1(VALU_DEP_3)
	v_cmp_eq_u64_e64 s10, v[16:17], v[42:43]
	v_mov_b64_e32 v[16:17], v[14:15]
	s_and_saveexec_b32 s43, s10
; %bb.3176:                             ;   in Loop: Header=BB6_128 Depth=2
	v_bfe_u32 v16, v14, 20, 1
	v_mov_b32_e32 v17, v55
	s_delay_alu instid0(VALU_DEP_1) | instskip(NEXT) | instid1(VALU_DEP_1)
	v_add_nc_u64_e32 v[16:17], v[14:15], v[16:17]
	v_add_nc_u64_e32 v[16:17], -1, v[16:17]
; %bb.3177:                             ;   in Loop: Header=BB6_128 Depth=2
	s_or_b32 exec_lo, exec_lo, s43
	v_add_nc_u32_e32 v15, 0xffffff81, v100
	v_lshrrev_b32_e32 v17, 23, v14
	s_mov_b32 s10, exec_lo
	s_delay_alu instid0(VALU_DEP_2) | instskip(NEXT) | instid1(VALU_DEP_1)
	v_cndmask_b32_e64 v15, v15, 0xffffff82, vcc_lo
	v_add3_u32 v100, v40, v15, v17
	v_and_b32_e32 v15, 0xfffff, v16
                                        ; implicit-def: $vgpr16
	s_delay_alu instid0(VALU_DEP_1) | instskip(SKIP_1) | instid1(VALU_DEP_2)
	v_dual_add_nc_u32 v17, 6, v100 :: v_dual_add_nc_u32 v14, v15, v14
	v_mov_b32_e32 v15, v55
	v_cmpx_ne_u32_e32 0, v17
	s_xor_b32 s10, exec_lo, s10
; %bb.3178:                             ;   in Loop: Header=BB6_128 Depth=2
	s_delay_alu instid0(VALU_DEP_2) | instskip(SKIP_1) | instid1(VALU_DEP_1)
	v_cmp_lt_u64_e32 vcc_lo, 0xffffff, v[14:15]
	v_add_nc_u32_e32 v16, 7, v100
	v_cndmask_b32_e32 v16, v17, v16, vcc_lo
	v_cndmask_b32_e64 v17, 0, 1, vcc_lo
	s_delay_alu instid0(VALU_DEP_1)
	v_lshrrev_b64 v[14:15], v17, v[14:15]
; %bb.3179:                             ;   in Loop: Header=BB6_128 Depth=2
	s_and_not1_saveexec_b32 s10, s10
; %bb.3180:                             ;   in Loop: Header=BB6_128 Depth=2
	s_delay_alu instid0(VALU_DEP_1)
	v_bfe_u32 v16, v14, 23, 1
; %bb.3181:                             ;   in Loop: Header=BB6_128 Depth=2
	s_or_b32 exec_lo, exec_lo, s10
	s_delay_alu instid0(VALU_DEP_2) | instskip(NEXT) | instid1(VALU_DEP_2)
	v_lshrrev_b64 v[14:15], 20, v[14:15]
	v_cmp_gt_i32_e32 vcc_lo, 16, v16
	v_min_i32_e32 v17, 15, v16
	v_cmp_eq_u32_e64 s10, 0, v16
	s_delay_alu instid0(VALU_DEP_2) | instskip(SKIP_1) | instid1(VALU_DEP_2)
	v_dual_cndmask_b32 v15, 0, v15, vcc_lo :: v_dual_lshlrev_b32 v17, 3, v17
	v_cndmask_b32_e32 v14, 7, v14, vcc_lo
	v_and_b32_e32 v17, 0xf8, v17
	s_delay_alu instid0(VALU_DEP_2) | instskip(NEXT) | instid1(VALU_DEP_2)
	v_cmp_eq_u64_e32 vcc_lo, 0, v[14:15]
	v_and_or_b32 v14, v14, 7, v17
	s_and_b32 s10, s10, vcc_lo
	s_delay_alu instid0(VALU_DEP_1) | instid1(SALU_CYCLE_1)
	v_cndmask_b32_e64 v14, v14, 0, s10
	s_delay_alu instid0(VALU_DEP_1)
	v_or_b32_e32 v100, v14, v101
.LBB6_3182:                             ;   in Loop: Header=BB6_128 Depth=2
	s_or_b32 exec_lo, exec_lo, s42
                                        ; implicit-def: $vgpr101
.LBB6_3183:                             ;   in Loop: Header=BB6_128 Depth=2
	s_and_not1_saveexec_b32 s10, s41
; %bb.3184:                             ;   in Loop: Header=BB6_128 Depth=2
	v_or_b32_e32 v100, 0x7e, v101
; %bb.3185:                             ;   in Loop: Header=BB6_128 Depth=2
	s_or_b32 exec_lo, exec_lo, s10
                                        ; implicit-def: $vgpr15
.LBB6_3186:                             ;   in Loop: Header=BB6_128 Depth=2
	s_and_not1_saveexec_b32 s10, s40
; %bb.3187:                             ;   in Loop: Header=BB6_128 Depth=2
	v_or_b32_e32 v100, 0x7f, v15
; %bb.3188:                             ;   in Loop: Header=BB6_128 Depth=2
	s_or_b32 exec_lo, exec_lo, s10
	v_dual_mov_b32 v16, 0 :: v_dual_lshrrev_b32 v101, 16, v54
	v_mov_b32_e32 v17, 0
	s_mov_b32 s10, exec_lo
	s_delay_alu instid0(VALU_DEP_2) | instskip(NEXT) | instid1(VALU_DEP_1)
	v_and_b32_e32 v14, 0xff, v101
	v_cmpx_ne_u16_e32 0, v14
	s_cbranch_execz .LBB6_3196
; %bb.3189:                             ;   in Loop: Header=BB6_128 Depth=2
	v_bfrev_b32_e32 v17, 1
	s_mov_b32 s40, exec_lo
	v_cmpx_ne_u16_e32 0x80, v14
	s_cbranch_execz .LBB6_3195
; %bb.3190:                             ;   in Loop: Header=BB6_128 Depth=2
	v_bfe_u32 v40, v54, 16, 7
	v_mov_b32_e32 v17, 0x7f800001
	s_mov_b32 s41, exec_lo
	s_delay_alu instid0(VALU_DEP_2)
	v_cmpx_ne_u32_e32 0x7f, v40
	s_cbranch_execz .LBB6_3194
; %bb.3191:                             ;   in Loop: Header=BB6_128 Depth=2
	v_dual_mov_b32 v15, v55 :: v_dual_bitop2_b32 v14, 7, v101 bitop3:0x40
	v_lshrrev_b32_e32 v17, 3, v40
	s_mov_b32 s42, exec_lo
	v_cmpx_gt_u32_e32 8, v40
; %bb.3192:                             ;   in Loop: Header=BB6_128 Depth=2
	s_delay_alu instid0(VALU_DEP_3) | instskip(NEXT) | instid1(VALU_DEP_1)
	v_clz_i32_u32_e32 v17, v14
	v_min_u32_e32 v17, 32, v17
	s_delay_alu instid0(VALU_DEP_1) | instskip(NEXT) | instid1(VALU_DEP_1)
	v_subrev_nc_u32_e32 v40, 28, v17
	v_lshlrev_b64_e32 v[14:15], v40, v[14:15]
	s_delay_alu instid0(VALU_DEP_1)
	v_dual_sub_nc_u32 v17, 29, v17 :: v_dual_bitop2_b32 v14, 7, v14 bitop3:0x40
; %bb.3193:                             ;   in Loop: Header=BB6_128 Depth=2
	s_or_b32 exec_lo, exec_lo, s42
	s_delay_alu instid0(VALU_DEP_1) | instskip(NEXT) | instid1(VALU_DEP_2)
	v_dual_lshlrev_b32 v15, 24, v101 :: v_dual_lshlrev_b32 v14, 20, v14
	v_lshl_add_u32 v17, v17, 23, 0x3c000000
	s_delay_alu instid0(VALU_DEP_2) | instskip(NEXT) | instid1(VALU_DEP_1)
	v_and_b32_e32 v15, 0x80000000, v15
	v_or3_b32 v17, v14, v15, v17
.LBB6_3194:                             ;   in Loop: Header=BB6_128 Depth=2
	s_or_b32 exec_lo, exec_lo, s41
.LBB6_3195:                             ;   in Loop: Header=BB6_128 Depth=2
	s_delay_alu instid0(SALU_CYCLE_1)
	s_or_b32 exec_lo, exec_lo, s40
.LBB6_3196:                             ;   in Loop: Header=BB6_128 Depth=2
	s_delay_alu instid0(SALU_CYCLE_1) | instskip(SKIP_2) | instid1(VALU_DEP_1)
	s_or_b32 exec_lo, exec_lo, s10
	v_lshrrev_b32_e32 v14, 16, v10
	s_mov_b32 s10, exec_lo
	v_and_b32_e32 v15, 0xff, v14
	s_delay_alu instid0(VALU_DEP_1)
	v_cmpx_ne_u16_e32 0, v15
	s_cbranch_execz .LBB6_3204
; %bb.3197:                             ;   in Loop: Header=BB6_128 Depth=2
	v_bfrev_b32_e32 v16, 1
	s_mov_b32 s40, exec_lo
	v_cmpx_ne_u16_e32 0x80, v15
	s_cbranch_execz .LBB6_3203
; %bb.3198:                             ;   in Loop: Header=BB6_128 Depth=2
	v_bfe_u32 v101, v10, 16, 7
	v_mov_b32_e32 v16, 0x7f800001
	s_mov_b32 s41, exec_lo
	s_delay_alu instid0(VALU_DEP_2)
	v_cmpx_ne_u32_e32 0x7f, v101
	s_cbranch_execz .LBB6_3202
; %bb.3199:                             ;   in Loop: Header=BB6_128 Depth=2
	v_dual_mov_b32 v15, v55 :: v_dual_bitop2_b32 v14, 7, v14 bitop3:0x40
	v_lshrrev_b32_e32 v16, 3, v101
	s_mov_b32 s42, exec_lo
	v_cmpx_gt_u32_e32 8, v101
; %bb.3200:                             ;   in Loop: Header=BB6_128 Depth=2
	s_delay_alu instid0(VALU_DEP_3) | instskip(NEXT) | instid1(VALU_DEP_1)
	v_clz_i32_u32_e32 v16, v14
	v_min_u32_e32 v16, 32, v16
	s_delay_alu instid0(VALU_DEP_1) | instskip(NEXT) | instid1(VALU_DEP_1)
	v_subrev_nc_u32_e32 v101, 28, v16
	v_lshlrev_b64_e32 v[14:15], v101, v[14:15]
	s_delay_alu instid0(VALU_DEP_1)
	v_dual_sub_nc_u32 v16, 29, v16 :: v_dual_bitop2_b32 v14, 7, v14 bitop3:0x40
; %bb.3201:                             ;   in Loop: Header=BB6_128 Depth=2
	s_or_b32 exec_lo, exec_lo, s42
	v_lshlrev_b32_e32 v15, 8, v10
	s_delay_alu instid0(VALU_DEP_2) | instskip(NEXT) | instid1(VALU_DEP_3)
	v_lshlrev_b32_e32 v14, 20, v14
	v_lshl_add_u32 v16, v16, 23, 0x3c000000
	s_delay_alu instid0(VALU_DEP_3) | instskip(NEXT) | instid1(VALU_DEP_1)
	v_and_b32_e32 v15, 0x80000000, v15
	v_or3_b32 v16, v14, v15, v16
.LBB6_3202:                             ;   in Loop: Header=BB6_128 Depth=2
	s_or_b32 exec_lo, exec_lo, s41
.LBB6_3203:                             ;   in Loop: Header=BB6_128 Depth=2
	s_delay_alu instid0(SALU_CYCLE_1)
	s_or_b32 exec_lo, exec_lo, s40
.LBB6_3204:                             ;   in Loop: Header=BB6_128 Depth=2
	s_delay_alu instid0(SALU_CYCLE_1) | instskip(NEXT) | instid1(VALU_DEP_1)
	s_or_b32 exec_lo, exec_lo, s10
	v_dual_add_f32 v14, v17, v16 :: v_dual_mov_b32 v17, v55
                                        ; implicit-def: $vgpr101
	s_mov_b32 s10, exec_lo
	s_delay_alu instid0(VALU_DEP_1) | instskip(SKIP_1) | instid1(VALU_DEP_2)
	v_and_b32_e32 v16, 0x7f800000, v14
	v_lshrrev_b32_e32 v15, 24, v14
	v_cmpx_ne_u64_e32 0x7f800000, v[16:17]
	s_xor_b32 s40, exec_lo, s10
	s_cbranch_execz .LBB6_3218
; %bb.3205:                             ;   in Loop: Header=BB6_128 Depth=2
	v_and_b32_e32 v16, 0x7fffffff, v14
	v_mov_b32_e32 v17, v55
	v_and_b32_e32 v40, 0x80, v15
                                        ; implicit-def: $vgpr101
	s_mov_b32 s10, exec_lo
	s_delay_alu instid0(VALU_DEP_2)
	v_cmpx_gt_u64_e32 0x43e00001, v[16:17]
	s_xor_b32 s41, exec_lo, s10
	s_cbranch_execz .LBB6_3215
; %bb.3206:                             ;   in Loop: Header=BB6_128 Depth=2
	v_mov_b32_e32 v101, 0
	s_mov_b32 s42, exec_lo
	v_cmpx_ne_u32_e32 0, v14
	s_cbranch_execz .LBB6_3214
; %bb.3207:                             ;   in Loop: Header=BB6_128 Depth=2
	v_bfe_u32 v101, v14, 23, 8
	v_and_b32_e32 v15, 0x7fffff, v14
	s_delay_alu instid0(VALU_DEP_2) | instskip(SKIP_2) | instid1(VALU_DEP_4)
	v_cmp_gt_u32_e64 s10, 0x7a, v101
	v_sub_nc_u32_e32 v14, 0x79, v101
	v_cmp_eq_u32_e32 vcc_lo, 0, v101
	v_or_b32_e32 v16, 0x800000, v15
	s_delay_alu instid0(VALU_DEP_3) | instskip(NEXT) | instid1(VALU_DEP_1)
	v_cndmask_b32_e64 v14, 0, v14, s10
	v_cndmask_b32_e64 v41, v14, 0x78, vcc_lo
	s_delay_alu instid0(VALU_DEP_3) | instskip(NEXT) | instid1(VALU_DEP_2)
	v_dual_cndmask_b32 v14, v16, v15 :: v_dual_mov_b32 v15, v55
	v_dual_add_nc_u32 v16, 20, v41 :: v_dual_add_nc_u32 v42, 19, v41
	s_delay_alu instid0(VALU_DEP_1) | instskip(NEXT) | instid1(VALU_DEP_2)
	v_lshlrev_b64_e64 v[16:17], v16, -1
	v_lshlrev_b64_e64 v[42:43], v42, 1
	s_delay_alu instid0(VALU_DEP_2) | instskip(SKIP_1) | instid1(VALU_DEP_4)
	v_bfi_b32 v16, v16, 0, v14
	v_lshrrev_b64 v[14:15], v41, v[14:15]
	v_bfi_b32 v17, v17, 0, 0
	s_delay_alu instid0(VALU_DEP_1) | instskip(NEXT) | instid1(VALU_DEP_3)
	v_cmp_eq_u64_e64 s10, v[16:17], v[42:43]
	v_mov_b64_e32 v[16:17], v[14:15]
	s_and_saveexec_b32 s43, s10
; %bb.3208:                             ;   in Loop: Header=BB6_128 Depth=2
	v_bfe_u32 v16, v14, 20, 1
	v_mov_b32_e32 v17, v55
	s_delay_alu instid0(VALU_DEP_1) | instskip(NEXT) | instid1(VALU_DEP_1)
	v_add_nc_u64_e32 v[16:17], v[14:15], v[16:17]
	v_add_nc_u64_e32 v[16:17], -1, v[16:17]
; %bb.3209:                             ;   in Loop: Header=BB6_128 Depth=2
	s_or_b32 exec_lo, exec_lo, s43
	v_add_nc_u32_e32 v15, 0xffffff81, v101
	v_lshrrev_b32_e32 v17, 23, v14
	s_mov_b32 s10, exec_lo
	s_delay_alu instid0(VALU_DEP_2) | instskip(NEXT) | instid1(VALU_DEP_1)
	v_cndmask_b32_e64 v15, v15, 0xffffff82, vcc_lo
	v_add3_u32 v101, v41, v15, v17
	v_and_b32_e32 v15, 0xfffff, v16
                                        ; implicit-def: $vgpr16
	s_delay_alu instid0(VALU_DEP_1) | instskip(SKIP_1) | instid1(VALU_DEP_2)
	v_dual_add_nc_u32 v17, 6, v101 :: v_dual_add_nc_u32 v14, v15, v14
	v_mov_b32_e32 v15, v55
	v_cmpx_ne_u32_e32 0, v17
	s_xor_b32 s10, exec_lo, s10
; %bb.3210:                             ;   in Loop: Header=BB6_128 Depth=2
	s_delay_alu instid0(VALU_DEP_2) | instskip(SKIP_1) | instid1(VALU_DEP_1)
	v_cmp_lt_u64_e32 vcc_lo, 0xffffff, v[14:15]
	v_add_nc_u32_e32 v16, 7, v101
	v_cndmask_b32_e32 v16, v17, v16, vcc_lo
	v_cndmask_b32_e64 v17, 0, 1, vcc_lo
	s_delay_alu instid0(VALU_DEP_1)
	v_lshrrev_b64 v[14:15], v17, v[14:15]
; %bb.3211:                             ;   in Loop: Header=BB6_128 Depth=2
	s_and_not1_saveexec_b32 s10, s10
; %bb.3212:                             ;   in Loop: Header=BB6_128 Depth=2
	s_delay_alu instid0(VALU_DEP_1)
	v_bfe_u32 v16, v14, 23, 1
; %bb.3213:                             ;   in Loop: Header=BB6_128 Depth=2
	s_or_b32 exec_lo, exec_lo, s10
	s_delay_alu instid0(VALU_DEP_2) | instskip(NEXT) | instid1(VALU_DEP_2)
	v_lshrrev_b64 v[14:15], 20, v[14:15]
	v_cmp_gt_i32_e32 vcc_lo, 16, v16
	v_min_i32_e32 v17, 15, v16
	v_cmp_eq_u32_e64 s10, 0, v16
	s_delay_alu instid0(VALU_DEP_2) | instskip(SKIP_1) | instid1(VALU_DEP_2)
	v_dual_cndmask_b32 v15, 0, v15, vcc_lo :: v_dual_lshlrev_b32 v17, 3, v17
	v_cndmask_b32_e32 v14, 7, v14, vcc_lo
	v_and_b32_e32 v17, 0xf8, v17
	s_delay_alu instid0(VALU_DEP_2) | instskip(NEXT) | instid1(VALU_DEP_2)
	v_cmp_eq_u64_e32 vcc_lo, 0, v[14:15]
	v_and_or_b32 v14, v14, 7, v17
	s_and_b32 s10, s10, vcc_lo
	s_delay_alu instid0(VALU_DEP_1) | instid1(SALU_CYCLE_1)
	v_cndmask_b32_e64 v14, v14, 0, s10
	s_delay_alu instid0(VALU_DEP_1)
	v_or_b32_e32 v101, v14, v40
.LBB6_3214:                             ;   in Loop: Header=BB6_128 Depth=2
	s_or_b32 exec_lo, exec_lo, s42
                                        ; implicit-def: $vgpr40
.LBB6_3215:                             ;   in Loop: Header=BB6_128 Depth=2
	s_and_not1_saveexec_b32 s10, s41
; %bb.3216:                             ;   in Loop: Header=BB6_128 Depth=2
	v_or_b32_e32 v101, 0x7e, v40
; %bb.3217:                             ;   in Loop: Header=BB6_128 Depth=2
	s_or_b32 exec_lo, exec_lo, s10
                                        ; implicit-def: $vgpr15
.LBB6_3218:                             ;   in Loop: Header=BB6_128 Depth=2
	s_and_not1_saveexec_b32 s10, s40
; %bb.3219:                             ;   in Loop: Header=BB6_128 Depth=2
	v_or_b32_e32 v101, 0x7f, v15
; %bb.3220:                             ;   in Loop: Header=BB6_128 Depth=2
	s_or_b32 exec_lo, exec_lo, s10
	v_dual_mov_b32 v16, 0 :: v_dual_mov_b32 v17, 0
	s_mov_b32 s10, exec_lo
	v_cmpx_lt_u32_e32 0xffffff, v54
	s_cbranch_execz .LBB6_3228
; %bb.3221:                             ;   in Loop: Header=BB6_128 Depth=2
	v_lshrrev_b32_e32 v40, 24, v54
	v_bfrev_b32_e32 v17, 1
	s_mov_b32 s40, exec_lo
	s_delay_alu instid0(VALU_DEP_2)
	v_cmpx_ne_u32_e32 0x80, v40
	s_cbranch_execz .LBB6_3227
; %bb.3222:                             ;   in Loop: Header=BB6_128 Depth=2
	v_bfe_u32 v14, v54, 24, 7
	v_mov_b32_e32 v17, 0x7f800001
	s_mov_b32 s41, exec_lo
	s_delay_alu instid0(VALU_DEP_2)
	v_cmpx_ne_u32_e32 0x7f, v14
	s_cbranch_execz .LBB6_3226
; %bb.3223:                             ;   in Loop: Header=BB6_128 Depth=2
	v_dual_lshrrev_b32 v17, 3, v14 :: v_dual_bitop2_b32 v54, 7, v40 bitop3:0x40
	v_cmp_gt_u32_e32 vcc_lo, 8, v14
	s_delay_alu instid0(VALU_DEP_2)
	v_mov_b64_e32 v[14:15], v[54:55]
	s_and_saveexec_b32 s42, vcc_lo
; %bb.3224:                             ;   in Loop: Header=BB6_128 Depth=2
	v_clz_i32_u32_e32 v14, v54
	s_delay_alu instid0(VALU_DEP_1) | instskip(NEXT) | instid1(VALU_DEP_1)
	v_min_u32_e32 v17, 32, v14
	v_subrev_nc_u32_e32 v14, 28, v17
	s_delay_alu instid0(VALU_DEP_1) | instskip(NEXT) | instid1(VALU_DEP_1)
	v_lshlrev_b64_e32 v[14:15], v14, v[54:55]
	v_dual_sub_nc_u32 v17, 29, v17 :: v_dual_bitop2_b32 v14, 7, v14 bitop3:0x40
; %bb.3225:                             ;   in Loop: Header=BB6_128 Depth=2
	s_or_b32 exec_lo, exec_lo, s42
	s_delay_alu instid0(VALU_DEP_1) | instskip(NEXT) | instid1(VALU_DEP_2)
	v_dual_lshlrev_b32 v15, 24, v40 :: v_dual_lshlrev_b32 v14, 20, v14
	v_lshl_add_u32 v17, v17, 23, 0x3c000000
	s_delay_alu instid0(VALU_DEP_2) | instskip(NEXT) | instid1(VALU_DEP_1)
	v_and_b32_e32 v15, 0x80000000, v15
	v_or3_b32 v17, v14, v15, v17
.LBB6_3226:                             ;   in Loop: Header=BB6_128 Depth=2
	s_or_b32 exec_lo, exec_lo, s41
.LBB6_3227:                             ;   in Loop: Header=BB6_128 Depth=2
	s_delay_alu instid0(SALU_CYCLE_1)
	s_or_b32 exec_lo, exec_lo, s40
.LBB6_3228:                             ;   in Loop: Header=BB6_128 Depth=2
	s_delay_alu instid0(SALU_CYCLE_1) | instskip(NEXT) | instid1(SALU_CYCLE_1)
	s_or_b32 exec_lo, exec_lo, s10
	s_mov_b32 s10, exec_lo
	v_cmpx_lt_u32_e32 0xffffff, v10
	s_cbranch_execz .LBB6_3236
; %bb.3229:                             ;   in Loop: Header=BB6_128 Depth=2
	v_lshrrev_b32_e32 v40, 24, v10
	v_bfrev_b32_e32 v16, 1
	s_mov_b32 s40, exec_lo
	s_delay_alu instid0(VALU_DEP_2)
	v_cmpx_ne_u32_e32 0x80, v40
	s_cbranch_execz .LBB6_3235
; %bb.3230:                             ;   in Loop: Header=BB6_128 Depth=2
	v_bfe_u32 v14, v10, 24, 7
	v_mov_b32_e32 v16, 0x7f800001
	s_mov_b32 s41, exec_lo
	s_delay_alu instid0(VALU_DEP_2)
	v_cmpx_ne_u32_e32 0x7f, v14
	s_cbranch_execz .LBB6_3234
; %bb.3231:                             ;   in Loop: Header=BB6_128 Depth=2
	v_dual_lshrrev_b32 v16, 3, v14 :: v_dual_bitop2_b32 v54, 7, v40 bitop3:0x40
	v_cmp_gt_u32_e32 vcc_lo, 8, v14
	s_delay_alu instid0(VALU_DEP_2)
	v_mov_b64_e32 v[14:15], v[54:55]
	s_and_saveexec_b32 s42, vcc_lo
; %bb.3232:                             ;   in Loop: Header=BB6_128 Depth=2
	v_clz_i32_u32_e32 v14, v54
	s_delay_alu instid0(VALU_DEP_1) | instskip(NEXT) | instid1(VALU_DEP_1)
	v_min_u32_e32 v16, 32, v14
	v_subrev_nc_u32_e32 v14, 28, v16
	s_delay_alu instid0(VALU_DEP_1) | instskip(NEXT) | instid1(VALU_DEP_1)
	v_lshlrev_b64_e32 v[14:15], v14, v[54:55]
	v_dual_sub_nc_u32 v16, 29, v16 :: v_dual_bitop2_b32 v14, 7, v14 bitop3:0x40
; %bb.3233:                             ;   in Loop: Header=BB6_128 Depth=2
	s_or_b32 exec_lo, exec_lo, s42
	s_delay_alu instid0(VALU_DEP_1) | instskip(NEXT) | instid1(VALU_DEP_2)
	v_dual_lshlrev_b32 v15, 24, v40 :: v_dual_lshlrev_b32 v14, 20, v14
	v_lshl_add_u32 v16, v16, 23, 0x3c000000
	s_delay_alu instid0(VALU_DEP_2) | instskip(NEXT) | instid1(VALU_DEP_1)
	v_and_b32_e32 v15, 0x80000000, v15
	v_or3_b32 v16, v14, v15, v16
.LBB6_3234:                             ;   in Loop: Header=BB6_128 Depth=2
	s_or_b32 exec_lo, exec_lo, s41
.LBB6_3235:                             ;   in Loop: Header=BB6_128 Depth=2
	s_delay_alu instid0(SALU_CYCLE_1)
	s_or_b32 exec_lo, exec_lo, s40
.LBB6_3236:                             ;   in Loop: Header=BB6_128 Depth=2
	s_delay_alu instid0(SALU_CYCLE_1) | instskip(NEXT) | instid1(VALU_DEP_1)
	s_or_b32 exec_lo, exec_lo, s10
	v_add_f32_e32 v14, v17, v16
                                        ; implicit-def: $vgpr40
	s_mov_b32 s10, exec_lo
	s_delay_alu instid0(VALU_DEP_1) | instskip(SKIP_1) | instid1(VALU_DEP_2)
	v_and_b32_e32 v54, 0x7f800000, v14
	v_lshrrev_b32_e32 v15, 24, v14
	v_cmpx_ne_u64_e32 0x7f800000, v[54:55]
	s_xor_b32 s40, exec_lo, s10
	s_cbranch_execz .LBB6_3250
; %bb.3237:                             ;   in Loop: Header=BB6_128 Depth=2
	v_and_b32_e32 v54, 0x7fffffff, v14
	v_and_b32_e32 v41, 0x80, v15
                                        ; implicit-def: $vgpr40
	s_mov_b32 s10, exec_lo
	s_delay_alu instid0(VALU_DEP_2)
	v_cmpx_gt_u64_e32 0x43e00001, v[54:55]
	s_xor_b32 s41, exec_lo, s10
	s_cbranch_execz .LBB6_3247
; %bb.3238:                             ;   in Loop: Header=BB6_128 Depth=2
	v_mov_b32_e32 v40, 0
	s_mov_b32 s42, exec_lo
	v_cmpx_ne_u32_e32 0, v14
	s_cbranch_execz .LBB6_3246
; %bb.3239:                             ;   in Loop: Header=BB6_128 Depth=2
	v_bfe_u32 v40, v14, 23, 8
	v_and_b32_e32 v15, 0x7fffff, v14
	s_delay_alu instid0(VALU_DEP_2) | instskip(SKIP_2) | instid1(VALU_DEP_4)
	v_cmp_gt_u32_e64 s10, 0x7a, v40
	v_sub_nc_u32_e32 v14, 0x79, v40
	v_cmp_eq_u32_e32 vcc_lo, 0, v40
	v_or_b32_e32 v16, 0x800000, v15
	s_delay_alu instid0(VALU_DEP_1) | instskip(NEXT) | instid1(VALU_DEP_1)
	v_dual_cndmask_b32 v14, 0, v14, s10 :: v_dual_cndmask_b32 v54, v16, v15, vcc_lo
	v_cndmask_b32_e64 v42, v14, 0x78, vcc_lo
	s_delay_alu instid0(VALU_DEP_1) | instskip(NEXT) | instid1(VALU_DEP_1)
	v_dual_add_nc_u32 v14, 20, v42 :: v_dual_add_nc_u32 v16, 19, v42
	v_lshlrev_b64_e64 v[14:15], v14, -1
	s_delay_alu instid0(VALU_DEP_2) | instskip(NEXT) | instid1(VALU_DEP_2)
	v_lshlrev_b64_e64 v[16:17], v16, 1
	v_bfi_b32 v15, v15, 0, 0
	s_delay_alu instid0(VALU_DEP_3) | instskip(NEXT) | instid1(VALU_DEP_1)
	v_bfi_b32 v14, v14, 0, v54
	v_cmp_eq_u64_e64 s10, v[14:15], v[16:17]
	v_lshrrev_b64 v[14:15], v42, v[54:55]
	s_delay_alu instid0(VALU_DEP_1)
	v_mov_b64_e32 v[16:17], v[14:15]
	s_and_saveexec_b32 s43, s10
; %bb.3240:                             ;   in Loop: Header=BB6_128 Depth=2
	v_bfe_u32 v54, v14, 20, 1
	s_delay_alu instid0(VALU_DEP_1) | instskip(NEXT) | instid1(VALU_DEP_1)
	v_add_nc_u64_e32 v[16:17], v[14:15], v[54:55]
	v_add_nc_u64_e32 v[16:17], -1, v[16:17]
; %bb.3241:                             ;   in Loop: Header=BB6_128 Depth=2
	s_or_b32 exec_lo, exec_lo, s43
	v_add_nc_u32_e32 v15, 0xffffff81, v40
	v_lshrrev_b32_e32 v17, 23, v14
	s_mov_b32 s10, exec_lo
	s_delay_alu instid0(VALU_DEP_2) | instskip(NEXT) | instid1(VALU_DEP_1)
	v_cndmask_b32_e64 v15, v15, 0xffffff82, vcc_lo
	v_add3_u32 v40, v42, v15, v17
	v_and_b32_e32 v15, 0xfffff, v16
                                        ; implicit-def: $vgpr16
	s_delay_alu instid0(VALU_DEP_1) | instskip(NEXT) | instid1(VALU_DEP_1)
	v_dual_add_nc_u32 v17, 6, v40 :: v_dual_add_nc_u32 v54, v15, v14
                                        ; implicit-def: $vgpr14_vgpr15
	v_cmpx_ne_u32_e32 0, v17
	s_xor_b32 s10, exec_lo, s10
; %bb.3242:                             ;   in Loop: Header=BB6_128 Depth=2
	s_delay_alu instid0(VALU_DEP_2) | instskip(SKIP_1) | instid1(VALU_DEP_1)
	v_cmp_lt_u64_e32 vcc_lo, 0xffffff, v[54:55]
	v_add_nc_u32_e32 v14, 7, v40
	v_cndmask_b32_e32 v16, v17, v14, vcc_lo
	v_cndmask_b32_e64 v14, 0, 1, vcc_lo
	s_delay_alu instid0(VALU_DEP_1)
	v_lshrrev_b64 v[14:15], v14, v[54:55]
; %bb.3243:                             ;   in Loop: Header=BB6_128 Depth=2
	s_and_not1_saveexec_b32 s10, s10
; %bb.3244:                             ;   in Loop: Header=BB6_128 Depth=2
	v_mov_b64_e32 v[14:15], v[54:55]
	v_bfe_u32 v16, v54, 23, 1
; %bb.3245:                             ;   in Loop: Header=BB6_128 Depth=2
	s_or_b32 exec_lo, exec_lo, s10
	s_delay_alu instid0(VALU_DEP_2) | instskip(NEXT) | instid1(VALU_DEP_2)
	v_lshrrev_b64 v[14:15], 20, v[14:15]
	v_cmp_gt_i32_e32 vcc_lo, 16, v16
	v_min_i32_e32 v17, 15, v16
	v_cmp_eq_u32_e64 s10, 0, v16
	s_delay_alu instid0(VALU_DEP_2) | instskip(SKIP_1) | instid1(VALU_DEP_2)
	v_dual_cndmask_b32 v15, 0, v15, vcc_lo :: v_dual_lshlrev_b32 v17, 3, v17
	v_cndmask_b32_e32 v14, 7, v14, vcc_lo
	v_and_b32_e32 v17, 0xf8, v17
	s_delay_alu instid0(VALU_DEP_2) | instskip(NEXT) | instid1(VALU_DEP_2)
	v_cmp_eq_u64_e32 vcc_lo, 0, v[14:15]
	v_and_or_b32 v14, v14, 7, v17
	s_and_b32 s10, s10, vcc_lo
	s_delay_alu instid0(VALU_DEP_1) | instid1(SALU_CYCLE_1)
	v_cndmask_b32_e64 v14, v14, 0, s10
	s_delay_alu instid0(VALU_DEP_1)
	v_or_b32_e32 v40, v14, v41
.LBB6_3246:                             ;   in Loop: Header=BB6_128 Depth=2
	s_or_b32 exec_lo, exec_lo, s42
                                        ; implicit-def: $vgpr41
.LBB6_3247:                             ;   in Loop: Header=BB6_128 Depth=2
	s_and_not1_saveexec_b32 s10, s41
; %bb.3248:                             ;   in Loop: Header=BB6_128 Depth=2
	v_or_b32_e32 v40, 0x7e, v41
; %bb.3249:                             ;   in Loop: Header=BB6_128 Depth=2
	s_or_b32 exec_lo, exec_lo, s10
                                        ; implicit-def: $vgpr15
.LBB6_3250:                             ;   in Loop: Header=BB6_128 Depth=2
	s_and_not1_saveexec_b32 s10, s40
; %bb.3251:                             ;   in Loop: Header=BB6_128 Depth=2
	v_or_b32_e32 v40, 0x7f, v15
; %bb.3252:                             ;   in Loop: Header=BB6_128 Depth=2
	s_or_b32 exec_lo, exec_lo, s10
	v_lshl_or_b32 v41, v75, 8, v60
	v_dual_lshlrev_b32 v14, 16, v77 :: v_dual_lshlrev_b32 v3, 24, v3
	s_mov_b32 s10, exec_lo
	s_delay_alu instid0(VALU_DEP_1)
	v_or3_b32 v54, v14, v3, v41
	v_dual_mov_b32 v3, 0 :: v_dual_mov_b32 v14, 0
	v_cmpx_ne_u32_e32 0, v60
	s_cbranch_execz .LBB6_3258
; %bb.3253:                             ;   in Loop: Header=BB6_128 Depth=2
	v_bfrev_b32_e32 v14, 1
	s_mov_b32 s40, exec_lo
	v_cmpx_ne_u32_e32 0x80, v60
	s_cbranch_execz .LBB6_3257
; %bb.3254:                             ;   in Loop: Header=BB6_128 Depth=2
	v_and_b32_e32 v15, 0x7f, v60
	v_mov_b32_e32 v14, 0x7f800001
	s_mov_b32 s41, exec_lo
	s_delay_alu instid0(VALU_DEP_2)
	v_cmpx_ne_u32_e32 0x7f, v15
	s_cbranch_execz .LBB6_3256
; %bb.3255:                             ;   in Loop: Header=BB6_128 Depth=2
	v_dual_lshrrev_b32 v16, 3, v15 :: v_dual_bitop2_b32 v14, 7, v60 bitop3:0x40
	v_cmp_gt_u32_e32 vcc_lo, 8, v15
	s_delay_alu instid0(VALU_DEP_2) | instskip(NEXT) | instid1(VALU_DEP_1)
	v_clz_i32_u32_e32 v14, v14
	v_min_u32_e32 v14, 32, v14
	s_delay_alu instid0(VALU_DEP_1) | instskip(SKIP_1) | instid1(VALU_DEP_1)
	v_subrev_nc_u32_e32 v15, 28, v14
	v_sub_nc_u32_e32 v14, 29, v14
	v_dual_cndmask_b32 v16, v16, v14, vcc_lo :: v_dual_cndmask_b32 v14, 0, v15, vcc_lo
	s_delay_alu instid0(VALU_DEP_1) | instskip(NEXT) | instid1(VALU_DEP_2)
	v_lshl_add_u32 v16, v16, 23, 0x3c000000
	v_lshlrev_b64_e32 v[14:15], v14, v[54:55]
	v_lshlrev_b32_e32 v15, 24, v54
	s_delay_alu instid0(VALU_DEP_1) | instskip(NEXT) | instid1(VALU_DEP_3)
	v_and_b32_e32 v15, 0x80000000, v15
	v_lshlrev_b32_e32 v14, 20, v14
	s_delay_alu instid0(VALU_DEP_1) | instskip(NEXT) | instid1(VALU_DEP_1)
	v_and_b32_e32 v14, 0x700000, v14
	v_or3_b32 v14, v14, v15, v16
.LBB6_3256:                             ;   in Loop: Header=BB6_128 Depth=2
	s_or_b32 exec_lo, exec_lo, s41
.LBB6_3257:                             ;   in Loop: Header=BB6_128 Depth=2
	s_delay_alu instid0(SALU_CYCLE_1)
	s_or_b32 exec_lo, exec_lo, s40
.LBB6_3258:                             ;   in Loop: Header=BB6_128 Depth=2
	s_delay_alu instid0(SALU_CYCLE_1) | instskip(SKIP_2) | instid1(VALU_DEP_1)
	s_or_b32 exec_lo, exec_lo, s10
	v_and_b32_e32 v15, 0xff, v11
	s_mov_b32 s10, exec_lo
	v_cmpx_ne_u16_e32 0, v15
	s_cbranch_execz .LBB6_3264
; %bb.3259:                             ;   in Loop: Header=BB6_128 Depth=2
	v_bfrev_b32_e32 v3, 1
	s_mov_b32 s40, exec_lo
	v_cmpx_ne_u16_e32 0x80, v15
	s_cbranch_execz .LBB6_3263
; %bb.3260:                             ;   in Loop: Header=BB6_128 Depth=2
	v_and_b32_e32 v15, 0x7f, v11
	v_mov_b32_e32 v3, 0x7f800001
	s_mov_b32 s41, exec_lo
	s_delay_alu instid0(VALU_DEP_2)
	v_cmpx_ne_u32_e32 0x7f, v15
	s_cbranch_execz .LBB6_3262
; %bb.3261:                             ;   in Loop: Header=BB6_128 Depth=2
	v_dual_mov_b32 v16, v11 :: v_dual_bitop2_b32 v3, 7, v11 bitop3:0x40
	v_cmp_gt_u32_e32 vcc_lo, 8, v15
	v_dual_mov_b32 v17, v55 :: v_dual_lshrrev_b32 v42, 3, v15
	s_delay_alu instid0(VALU_DEP_3) | instskip(NEXT) | instid1(VALU_DEP_1)
	v_clz_i32_u32_e32 v3, v3
	v_min_u32_e32 v3, 32, v3
	s_delay_alu instid0(VALU_DEP_1) | instskip(SKIP_1) | instid1(VALU_DEP_1)
	v_sub_nc_u32_e32 v43, 29, v3
	v_subrev_nc_u32_e32 v3, 28, v3
	v_cndmask_b32_e32 v3, 0, v3, vcc_lo
	s_delay_alu instid0(VALU_DEP_3) | instskip(NEXT) | instid1(VALU_DEP_2)
	v_cndmask_b32_e32 v15, v42, v43, vcc_lo
	v_lshlrev_b64_e32 v[42:43], v3, v[16:17]
	v_lshlrev_b32_e32 v3, 24, v16
	s_delay_alu instid0(VALU_DEP_3) | instskip(NEXT) | instid1(VALU_DEP_2)
	v_lshl_add_u32 v15, v15, 23, 0x3c000000
	v_and_b32_e32 v3, 0x80000000, v3
	s_delay_alu instid0(VALU_DEP_4) | instskip(NEXT) | instid1(VALU_DEP_1)
	v_lshlrev_b32_e32 v16, 20, v42
	v_and_b32_e32 v16, 0x700000, v16
	s_delay_alu instid0(VALU_DEP_1)
	v_or3_b32 v3, v16, v3, v15
.LBB6_3262:                             ;   in Loop: Header=BB6_128 Depth=2
	s_or_b32 exec_lo, exec_lo, s41
.LBB6_3263:                             ;   in Loop: Header=BB6_128 Depth=2
	s_delay_alu instid0(SALU_CYCLE_1)
	s_or_b32 exec_lo, exec_lo, s40
.LBB6_3264:                             ;   in Loop: Header=BB6_128 Depth=2
	s_delay_alu instid0(SALU_CYCLE_1) | instskip(NEXT) | instid1(VALU_DEP_1)
	s_or_b32 exec_lo, exec_lo, s10
	v_dual_add_f32 v14, v14, v3 :: v_dual_mov_b32 v17, v55
                                        ; implicit-def: $vgpr3
	s_mov_b32 s10, exec_lo
	s_delay_alu instid0(VALU_DEP_1) | instskip(SKIP_1) | instid1(VALU_DEP_2)
	v_and_b32_e32 v16, 0x7f800000, v14
	v_lshrrev_b32_e32 v15, 24, v14
	v_cmpx_ne_u64_e32 0x7f800000, v[16:17]
	s_xor_b32 s40, exec_lo, s10
	s_cbranch_execz .LBB6_3278
; %bb.3265:                             ;   in Loop: Header=BB6_128 Depth=2
	v_and_b32_e32 v16, 0x7fffffff, v14
	v_mov_b32_e32 v17, v55
	v_and_b32_e32 v42, 0x80, v15
                                        ; implicit-def: $vgpr3
	s_mov_b32 s10, exec_lo
	s_delay_alu instid0(VALU_DEP_2)
	v_cmpx_gt_u64_e32 0x43e00001, v[16:17]
	s_xor_b32 s41, exec_lo, s10
	s_cbranch_execz .LBB6_3275
; %bb.3266:                             ;   in Loop: Header=BB6_128 Depth=2
	v_mov_b32_e32 v3, 0
	s_mov_b32 s42, exec_lo
	v_cmpx_ne_u32_e32 0, v14
	s_cbranch_execz .LBB6_3274
; %bb.3267:                             ;   in Loop: Header=BB6_128 Depth=2
	v_bfe_u32 v3, v14, 23, 8
	v_and_b32_e32 v15, 0x7fffff, v14
	s_delay_alu instid0(VALU_DEP_2) | instskip(SKIP_2) | instid1(VALU_DEP_4)
	v_cmp_gt_u32_e64 s10, 0x7a, v3
	v_sub_nc_u32_e32 v14, 0x79, v3
	v_cmp_eq_u32_e32 vcc_lo, 0, v3
	v_or_b32_e32 v16, 0x800000, v15
	s_delay_alu instid0(VALU_DEP_3) | instskip(NEXT) | instid1(VALU_DEP_1)
	v_cndmask_b32_e64 v14, 0, v14, s10
	v_cndmask_b32_e64 v43, v14, 0x78, vcc_lo
	s_delay_alu instid0(VALU_DEP_3) | instskip(NEXT) | instid1(VALU_DEP_2)
	v_dual_cndmask_b32 v14, v16, v15 :: v_dual_mov_b32 v15, v55
	v_dual_add_nc_u32 v16, 20, v43 :: v_dual_add_nc_u32 v44, 19, v43
	s_delay_alu instid0(VALU_DEP_1) | instskip(NEXT) | instid1(VALU_DEP_2)
	v_lshlrev_b64_e64 v[16:17], v16, -1
	v_lshlrev_b64_e64 v[90:91], v44, 1
	s_delay_alu instid0(VALU_DEP_2) | instskip(SKIP_1) | instid1(VALU_DEP_4)
	v_bfi_b32 v16, v16, 0, v14
	v_lshrrev_b64 v[14:15], v43, v[14:15]
	v_bfi_b32 v17, v17, 0, 0
	s_delay_alu instid0(VALU_DEP_1) | instskip(NEXT) | instid1(VALU_DEP_3)
	v_cmp_eq_u64_e64 s10, v[16:17], v[90:91]
	v_mov_b64_e32 v[16:17], v[14:15]
	s_and_saveexec_b32 s43, s10
; %bb.3268:                             ;   in Loop: Header=BB6_128 Depth=2
	v_bfe_u32 v16, v14, 20, 1
	v_mov_b32_e32 v17, v55
	s_delay_alu instid0(VALU_DEP_1) | instskip(NEXT) | instid1(VALU_DEP_1)
	v_add_nc_u64_e32 v[16:17], v[14:15], v[16:17]
	v_add_nc_u64_e32 v[16:17], -1, v[16:17]
; %bb.3269:                             ;   in Loop: Header=BB6_128 Depth=2
	s_or_b32 exec_lo, exec_lo, s43
	v_add_nc_u32_e32 v3, 0xffffff81, v3
	v_lshrrev_b32_e32 v15, 23, v14
	s_mov_b32 s10, exec_lo
	s_delay_alu instid0(VALU_DEP_2) | instskip(NEXT) | instid1(VALU_DEP_1)
	v_cndmask_b32_e64 v3, v3, 0xffffff82, vcc_lo
	v_add3_u32 v17, v43, v3, v15
	v_and_b32_e32 v3, 0xfffff, v16
	s_delay_alu instid0(VALU_DEP_2) | instskip(NEXT) | instid1(VALU_DEP_2)
	v_dual_mov_b32 v15, v55 :: v_dual_add_nc_u32 v16, 6, v17
	v_add_nc_u32_e32 v14, v3, v14
                                        ; implicit-def: $vgpr3
	s_delay_alu instid0(VALU_DEP_2)
	v_cmpx_ne_u32_e32 0, v16
	s_xor_b32 s10, exec_lo, s10
; %bb.3270:                             ;   in Loop: Header=BB6_128 Depth=2
	s_delay_alu instid0(VALU_DEP_2) | instskip(SKIP_1) | instid1(VALU_DEP_1)
	v_cmp_lt_u64_e32 vcc_lo, 0xffffff, v[14:15]
	v_add_nc_u32_e32 v3, 7, v17
	v_cndmask_b32_e32 v3, v16, v3, vcc_lo
	v_cndmask_b32_e64 v16, 0, 1, vcc_lo
	s_delay_alu instid0(VALU_DEP_1)
	v_lshrrev_b64 v[14:15], v16, v[14:15]
; %bb.3271:                             ;   in Loop: Header=BB6_128 Depth=2
	s_and_not1_saveexec_b32 s10, s10
; %bb.3272:                             ;   in Loop: Header=BB6_128 Depth=2
	s_delay_alu instid0(VALU_DEP_1)
	v_bfe_u32 v3, v14, 23, 1
; %bb.3273:                             ;   in Loop: Header=BB6_128 Depth=2
	s_or_b32 exec_lo, exec_lo, s10
	s_delay_alu instid0(VALU_DEP_2) | instskip(NEXT) | instid1(VALU_DEP_2)
	v_lshrrev_b64 v[14:15], 20, v[14:15]
	v_cmp_gt_i32_e32 vcc_lo, 16, v3
	v_min_i32_e32 v16, 15, v3
	v_cmp_eq_u32_e64 s10, 0, v3
	s_delay_alu instid0(VALU_DEP_2) | instskip(SKIP_1) | instid1(VALU_DEP_2)
	v_dual_cndmask_b32 v14, 7, v14, vcc_lo :: v_dual_lshlrev_b32 v16, 3, v16
	v_cndmask_b32_e32 v15, 0, v15, vcc_lo
	v_and_b32_e32 v16, 0xf8, v16
	s_delay_alu instid0(VALU_DEP_2) | instskip(NEXT) | instid1(VALU_DEP_2)
	v_cmp_eq_u64_e32 vcc_lo, 0, v[14:15]
	v_and_or_b32 v3, v14, 7, v16
	s_and_b32 s10, s10, vcc_lo
	s_delay_alu instid0(VALU_DEP_1) | instid1(SALU_CYCLE_1)
	v_cndmask_b32_e64 v3, v3, 0, s10
	s_delay_alu instid0(VALU_DEP_1)
	v_or_b32_e32 v3, v3, v42
.LBB6_3274:                             ;   in Loop: Header=BB6_128 Depth=2
	s_or_b32 exec_lo, exec_lo, s42
                                        ; implicit-def: $vgpr42
.LBB6_3275:                             ;   in Loop: Header=BB6_128 Depth=2
	s_and_not1_saveexec_b32 s10, s41
; %bb.3276:                             ;   in Loop: Header=BB6_128 Depth=2
	v_or_b32_e32 v3, 0x7e, v42
; %bb.3277:                             ;   in Loop: Header=BB6_128 Depth=2
	s_or_b32 exec_lo, exec_lo, s10
                                        ; implicit-def: $vgpr15
.LBB6_3278:                             ;   in Loop: Header=BB6_128 Depth=2
	s_and_not1_saveexec_b32 s10, s40
; %bb.3279:                             ;   in Loop: Header=BB6_128 Depth=2
	v_or_b32_e32 v3, 0x7f, v15
; %bb.3280:                             ;   in Loop: Header=BB6_128 Depth=2
	s_or_b32 exec_lo, exec_lo, s10
	v_lshrrev_b16 v14, 8, v41
	v_dual_mov_b32 v16, 0 :: v_dual_mov_b32 v17, 0
	s_mov_b32 s10, exec_lo
	s_delay_alu instid0(VALU_DEP_2)
	v_cmpx_ne_u16_e32 0, v14
	s_cbranch_execz .LBB6_3288
; %bb.3281:                             ;   in Loop: Header=BB6_128 Depth=2
	v_bfrev_b32_e32 v17, 1
	s_mov_b32 s40, exec_lo
	v_cmpx_ne_u16_e32 0x80, v14
	s_cbranch_execz .LBB6_3287
; %bb.3282:                             ;   in Loop: Header=BB6_128 Depth=2
	v_and_b32_e32 v14, 0xffff, v14
	v_mov_b32_e32 v17, 0x7f800001
	s_mov_b32 s41, exec_lo
	s_delay_alu instid0(VALU_DEP_2) | instskip(NEXT) | instid1(VALU_DEP_1)
	v_and_b32_e32 v42, 0x7f, v14
	v_cmpx_ne_u32_e32 0x7f, v42
	s_cbranch_execz .LBB6_3286
; %bb.3283:                             ;   in Loop: Header=BB6_128 Depth=2
	v_dual_mov_b32 v15, v55 :: v_dual_bitop2_b32 v14, 7, v14 bitop3:0x40
	v_lshrrev_b32_e32 v17, 3, v42
	s_mov_b32 s42, exec_lo
	v_cmpx_gt_u32_e32 8, v42
; %bb.3284:                             ;   in Loop: Header=BB6_128 Depth=2
	s_delay_alu instid0(VALU_DEP_3) | instskip(NEXT) | instid1(VALU_DEP_1)
	v_clz_i32_u32_e32 v17, v14
	v_min_u32_e32 v17, 32, v17
	s_delay_alu instid0(VALU_DEP_1) | instskip(NEXT) | instid1(VALU_DEP_1)
	v_subrev_nc_u32_e32 v42, 28, v17
	v_lshlrev_b64_e32 v[14:15], v42, v[14:15]
	s_delay_alu instid0(VALU_DEP_1)
	v_dual_sub_nc_u32 v17, 29, v17 :: v_dual_bitop2_b32 v14, 7, v14 bitop3:0x40
; %bb.3285:                             ;   in Loop: Header=BB6_128 Depth=2
	s_or_b32 exec_lo, exec_lo, s42
	s_delay_alu instid0(VALU_DEP_1) | instskip(NEXT) | instid1(VALU_DEP_2)
	v_dual_lshlrev_b32 v15, 16, v41 :: v_dual_lshlrev_b32 v14, 20, v14
	v_lshl_add_u32 v17, v17, 23, 0x3c000000
	s_delay_alu instid0(VALU_DEP_2) | instskip(NEXT) | instid1(VALU_DEP_1)
	v_and_b32_e32 v15, 0x80000000, v15
	v_or3_b32 v17, v14, v15, v17
.LBB6_3286:                             ;   in Loop: Header=BB6_128 Depth=2
	s_or_b32 exec_lo, exec_lo, s41
.LBB6_3287:                             ;   in Loop: Header=BB6_128 Depth=2
	s_delay_alu instid0(SALU_CYCLE_1)
	s_or_b32 exec_lo, exec_lo, s40
.LBB6_3288:                             ;   in Loop: Header=BB6_128 Depth=2
	s_delay_alu instid0(SALU_CYCLE_1) | instskip(SKIP_2) | instid1(VALU_DEP_1)
	s_or_b32 exec_lo, exec_lo, s10
	v_lshrrev_b16 v14, 8, v11
	s_mov_b32 s10, exec_lo
	v_cmpx_ne_u16_e32 0, v14
	s_cbranch_execz .LBB6_3296
; %bb.3289:                             ;   in Loop: Header=BB6_128 Depth=2
	v_bfrev_b32_e32 v16, 1
	s_mov_b32 s40, exec_lo
	v_cmpx_ne_u16_e32 0x80, v14
	s_cbranch_execz .LBB6_3295
; %bb.3290:                             ;   in Loop: Header=BB6_128 Depth=2
	v_and_b32_e32 v14, 0xffff, v14
	v_mov_b32_e32 v16, 0x7f800001
	s_mov_b32 s41, exec_lo
	s_delay_alu instid0(VALU_DEP_2) | instskip(NEXT) | instid1(VALU_DEP_1)
	v_and_b32_e32 v41, 0x7f, v14
	v_cmpx_ne_u32_e32 0x7f, v41
	s_cbranch_execz .LBB6_3294
; %bb.3291:                             ;   in Loop: Header=BB6_128 Depth=2
	v_dual_mov_b32 v15, v55 :: v_dual_bitop2_b32 v14, 7, v14 bitop3:0x40
	v_lshrrev_b32_e32 v16, 3, v41
	s_mov_b32 s42, exec_lo
	v_cmpx_gt_u32_e32 8, v41
; %bb.3292:                             ;   in Loop: Header=BB6_128 Depth=2
	s_delay_alu instid0(VALU_DEP_3) | instskip(NEXT) | instid1(VALU_DEP_1)
	v_clz_i32_u32_e32 v16, v14
	v_min_u32_e32 v16, 32, v16
	s_delay_alu instid0(VALU_DEP_1) | instskip(NEXT) | instid1(VALU_DEP_1)
	v_subrev_nc_u32_e32 v41, 28, v16
	v_lshlrev_b64_e32 v[14:15], v41, v[14:15]
	s_delay_alu instid0(VALU_DEP_1)
	v_dual_sub_nc_u32 v16, 29, v16 :: v_dual_bitop2_b32 v14, 7, v14 bitop3:0x40
; %bb.3293:                             ;   in Loop: Header=BB6_128 Depth=2
	s_or_b32 exec_lo, exec_lo, s42
	s_delay_alu instid0(VALU_DEP_1) | instskip(NEXT) | instid1(VALU_DEP_2)
	v_dual_lshlrev_b32 v15, 16, v11 :: v_dual_lshlrev_b32 v14, 20, v14
	v_lshl_add_u32 v16, v16, 23, 0x3c000000
	s_delay_alu instid0(VALU_DEP_2) | instskip(NEXT) | instid1(VALU_DEP_1)
	v_and_b32_e32 v15, 0x80000000, v15
	v_or3_b32 v16, v14, v15, v16
.LBB6_3294:                             ;   in Loop: Header=BB6_128 Depth=2
	s_or_b32 exec_lo, exec_lo, s41
.LBB6_3295:                             ;   in Loop: Header=BB6_128 Depth=2
	s_delay_alu instid0(SALU_CYCLE_1)
	s_or_b32 exec_lo, exec_lo, s40
.LBB6_3296:                             ;   in Loop: Header=BB6_128 Depth=2
	s_delay_alu instid0(SALU_CYCLE_1) | instskip(NEXT) | instid1(VALU_DEP_1)
	s_or_b32 exec_lo, exec_lo, s10
	v_dual_add_f32 v14, v17, v16 :: v_dual_mov_b32 v17, v55
                                        ; implicit-def: $vgpr41
	s_mov_b32 s10, exec_lo
	s_delay_alu instid0(VALU_DEP_1) | instskip(SKIP_1) | instid1(VALU_DEP_2)
	v_and_b32_e32 v16, 0x7f800000, v14
	v_lshrrev_b32_e32 v15, 24, v14
	v_cmpx_ne_u64_e32 0x7f800000, v[16:17]
	s_xor_b32 s40, exec_lo, s10
	s_cbranch_execz .LBB6_3310
; %bb.3297:                             ;   in Loop: Header=BB6_128 Depth=2
	v_and_b32_e32 v16, 0x7fffffff, v14
	v_mov_b32_e32 v17, v55
	v_and_b32_e32 v42, 0x80, v15
                                        ; implicit-def: $vgpr41
	s_mov_b32 s10, exec_lo
	s_delay_alu instid0(VALU_DEP_2)
	v_cmpx_gt_u64_e32 0x43e00001, v[16:17]
	s_xor_b32 s41, exec_lo, s10
	s_cbranch_execz .LBB6_3307
; %bb.3298:                             ;   in Loop: Header=BB6_128 Depth=2
	v_mov_b32_e32 v41, 0
	s_mov_b32 s42, exec_lo
	v_cmpx_ne_u32_e32 0, v14
	s_cbranch_execz .LBB6_3306
; %bb.3299:                             ;   in Loop: Header=BB6_128 Depth=2
	v_bfe_u32 v41, v14, 23, 8
	v_and_b32_e32 v15, 0x7fffff, v14
	s_delay_alu instid0(VALU_DEP_2) | instskip(SKIP_2) | instid1(VALU_DEP_4)
	v_cmp_gt_u32_e64 s10, 0x7a, v41
	v_sub_nc_u32_e32 v14, 0x79, v41
	v_cmp_eq_u32_e32 vcc_lo, 0, v41
	v_or_b32_e32 v16, 0x800000, v15
	s_delay_alu instid0(VALU_DEP_3) | instskip(NEXT) | instid1(VALU_DEP_1)
	v_cndmask_b32_e64 v14, 0, v14, s10
	v_cndmask_b32_e64 v43, v14, 0x78, vcc_lo
	s_delay_alu instid0(VALU_DEP_3) | instskip(NEXT) | instid1(VALU_DEP_2)
	v_dual_cndmask_b32 v14, v16, v15 :: v_dual_mov_b32 v15, v55
	v_dual_add_nc_u32 v16, 20, v43 :: v_dual_add_nc_u32 v44, 19, v43
	s_delay_alu instid0(VALU_DEP_1) | instskip(NEXT) | instid1(VALU_DEP_2)
	v_lshlrev_b64_e64 v[16:17], v16, -1
	v_lshlrev_b64_e64 v[90:91], v44, 1
	s_delay_alu instid0(VALU_DEP_2) | instskip(SKIP_1) | instid1(VALU_DEP_4)
	v_bfi_b32 v16, v16, 0, v14
	v_lshrrev_b64 v[14:15], v43, v[14:15]
	v_bfi_b32 v17, v17, 0, 0
	s_delay_alu instid0(VALU_DEP_1) | instskip(NEXT) | instid1(VALU_DEP_3)
	v_cmp_eq_u64_e64 s10, v[16:17], v[90:91]
	v_mov_b64_e32 v[16:17], v[14:15]
	s_and_saveexec_b32 s43, s10
; %bb.3300:                             ;   in Loop: Header=BB6_128 Depth=2
	v_bfe_u32 v16, v14, 20, 1
	v_mov_b32_e32 v17, v55
	s_delay_alu instid0(VALU_DEP_1) | instskip(NEXT) | instid1(VALU_DEP_1)
	v_add_nc_u64_e32 v[16:17], v[14:15], v[16:17]
	v_add_nc_u64_e32 v[16:17], -1, v[16:17]
; %bb.3301:                             ;   in Loop: Header=BB6_128 Depth=2
	s_or_b32 exec_lo, exec_lo, s43
	v_add_nc_u32_e32 v15, 0xffffff81, v41
	v_lshrrev_b32_e32 v17, 23, v14
	s_mov_b32 s10, exec_lo
	s_delay_alu instid0(VALU_DEP_2) | instskip(NEXT) | instid1(VALU_DEP_1)
	v_cndmask_b32_e64 v15, v15, 0xffffff82, vcc_lo
	v_add3_u32 v41, v43, v15, v17
	v_and_b32_e32 v15, 0xfffff, v16
                                        ; implicit-def: $vgpr16
	s_delay_alu instid0(VALU_DEP_1) | instskip(SKIP_1) | instid1(VALU_DEP_2)
	v_dual_add_nc_u32 v17, 6, v41 :: v_dual_add_nc_u32 v14, v15, v14
	v_mov_b32_e32 v15, v55
	v_cmpx_ne_u32_e32 0, v17
	s_xor_b32 s10, exec_lo, s10
; %bb.3302:                             ;   in Loop: Header=BB6_128 Depth=2
	s_delay_alu instid0(VALU_DEP_2) | instskip(SKIP_1) | instid1(VALU_DEP_1)
	v_cmp_lt_u64_e32 vcc_lo, 0xffffff, v[14:15]
	v_add_nc_u32_e32 v16, 7, v41
	v_cndmask_b32_e32 v16, v17, v16, vcc_lo
	v_cndmask_b32_e64 v17, 0, 1, vcc_lo
	s_delay_alu instid0(VALU_DEP_1)
	v_lshrrev_b64 v[14:15], v17, v[14:15]
; %bb.3303:                             ;   in Loop: Header=BB6_128 Depth=2
	s_and_not1_saveexec_b32 s10, s10
; %bb.3304:                             ;   in Loop: Header=BB6_128 Depth=2
	s_delay_alu instid0(VALU_DEP_1)
	v_bfe_u32 v16, v14, 23, 1
; %bb.3305:                             ;   in Loop: Header=BB6_128 Depth=2
	s_or_b32 exec_lo, exec_lo, s10
	s_delay_alu instid0(VALU_DEP_2) | instskip(NEXT) | instid1(VALU_DEP_2)
	v_lshrrev_b64 v[14:15], 20, v[14:15]
	v_cmp_gt_i32_e32 vcc_lo, 16, v16
	v_min_i32_e32 v17, 15, v16
	v_cmp_eq_u32_e64 s10, 0, v16
	s_delay_alu instid0(VALU_DEP_2) | instskip(SKIP_1) | instid1(VALU_DEP_2)
	v_dual_cndmask_b32 v15, 0, v15, vcc_lo :: v_dual_lshlrev_b32 v17, 3, v17
	v_cndmask_b32_e32 v14, 7, v14, vcc_lo
	v_and_b32_e32 v17, 0xf8, v17
	s_delay_alu instid0(VALU_DEP_2) | instskip(NEXT) | instid1(VALU_DEP_2)
	v_cmp_eq_u64_e32 vcc_lo, 0, v[14:15]
	v_and_or_b32 v14, v14, 7, v17
	s_and_b32 s10, s10, vcc_lo
	s_delay_alu instid0(VALU_DEP_1) | instid1(SALU_CYCLE_1)
	v_cndmask_b32_e64 v14, v14, 0, s10
	s_delay_alu instid0(VALU_DEP_1)
	v_or_b32_e32 v41, v14, v42
.LBB6_3306:                             ;   in Loop: Header=BB6_128 Depth=2
	s_or_b32 exec_lo, exec_lo, s42
                                        ; implicit-def: $vgpr42
.LBB6_3307:                             ;   in Loop: Header=BB6_128 Depth=2
	s_and_not1_saveexec_b32 s10, s41
; %bb.3308:                             ;   in Loop: Header=BB6_128 Depth=2
	v_or_b32_e32 v41, 0x7e, v42
; %bb.3309:                             ;   in Loop: Header=BB6_128 Depth=2
	s_or_b32 exec_lo, exec_lo, s10
                                        ; implicit-def: $vgpr15
.LBB6_3310:                             ;   in Loop: Header=BB6_128 Depth=2
	s_and_not1_saveexec_b32 s10, s40
; %bb.3311:                             ;   in Loop: Header=BB6_128 Depth=2
	v_or_b32_e32 v41, 0x7f, v15
; %bb.3312:                             ;   in Loop: Header=BB6_128 Depth=2
	s_or_b32 exec_lo, exec_lo, s10
	v_dual_lshrrev_b32 v42, 16, v54 :: v_dual_mov_b32 v16, 0
	v_mov_b32_e32 v17, 0
	s_mov_b32 s10, exec_lo
	s_delay_alu instid0(VALU_DEP_2) | instskip(NEXT) | instid1(VALU_DEP_1)
	v_and_b32_e32 v14, 0xff, v42
	v_cmpx_ne_u16_e32 0, v14
	s_cbranch_execz .LBB6_3320
; %bb.3313:                             ;   in Loop: Header=BB6_128 Depth=2
	v_bfrev_b32_e32 v17, 1
	s_mov_b32 s40, exec_lo
	v_cmpx_ne_u16_e32 0x80, v14
	s_cbranch_execz .LBB6_3319
; %bb.3314:                             ;   in Loop: Header=BB6_128 Depth=2
	v_bfe_u32 v43, v54, 16, 7
	v_mov_b32_e32 v17, 0x7f800001
	s_mov_b32 s41, exec_lo
	s_delay_alu instid0(VALU_DEP_2)
	v_cmpx_ne_u32_e32 0x7f, v43
	s_cbranch_execz .LBB6_3318
; %bb.3315:                             ;   in Loop: Header=BB6_128 Depth=2
	v_dual_mov_b32 v15, v55 :: v_dual_bitop2_b32 v14, 7, v42 bitop3:0x40
	v_lshrrev_b32_e32 v17, 3, v43
	s_mov_b32 s42, exec_lo
	v_cmpx_gt_u32_e32 8, v43
; %bb.3316:                             ;   in Loop: Header=BB6_128 Depth=2
	s_delay_alu instid0(VALU_DEP_3) | instskip(NEXT) | instid1(VALU_DEP_1)
	v_clz_i32_u32_e32 v17, v14
	v_min_u32_e32 v17, 32, v17
	s_delay_alu instid0(VALU_DEP_1) | instskip(NEXT) | instid1(VALU_DEP_1)
	v_subrev_nc_u32_e32 v43, 28, v17
	v_lshlrev_b64_e32 v[14:15], v43, v[14:15]
	s_delay_alu instid0(VALU_DEP_1)
	v_dual_sub_nc_u32 v17, 29, v17 :: v_dual_bitop2_b32 v14, 7, v14 bitop3:0x40
; %bb.3317:                             ;   in Loop: Header=BB6_128 Depth=2
	s_or_b32 exec_lo, exec_lo, s42
	v_lshlrev_b32_e32 v15, 24, v42
	s_delay_alu instid0(VALU_DEP_2) | instskip(NEXT) | instid1(VALU_DEP_3)
	v_lshlrev_b32_e32 v14, 20, v14
	v_lshl_add_u32 v17, v17, 23, 0x3c000000
	s_delay_alu instid0(VALU_DEP_3) | instskip(NEXT) | instid1(VALU_DEP_1)
	v_and_b32_e32 v15, 0x80000000, v15
	v_or3_b32 v17, v14, v15, v17
.LBB6_3318:                             ;   in Loop: Header=BB6_128 Depth=2
	s_or_b32 exec_lo, exec_lo, s41
.LBB6_3319:                             ;   in Loop: Header=BB6_128 Depth=2
	s_delay_alu instid0(SALU_CYCLE_1)
	s_or_b32 exec_lo, exec_lo, s40
.LBB6_3320:                             ;   in Loop: Header=BB6_128 Depth=2
	s_delay_alu instid0(SALU_CYCLE_1) | instskip(SKIP_2) | instid1(VALU_DEP_1)
	s_or_b32 exec_lo, exec_lo, s10
	v_lshrrev_b32_e32 v14, 16, v11
	s_mov_b32 s10, exec_lo
	v_and_b32_e32 v15, 0xff, v14
	s_delay_alu instid0(VALU_DEP_1)
	v_cmpx_ne_u16_e32 0, v15
	s_cbranch_execz .LBB6_3328
; %bb.3321:                             ;   in Loop: Header=BB6_128 Depth=2
	v_bfrev_b32_e32 v16, 1
	s_mov_b32 s40, exec_lo
	v_cmpx_ne_u16_e32 0x80, v15
	s_cbranch_execz .LBB6_3327
; %bb.3322:                             ;   in Loop: Header=BB6_128 Depth=2
	v_bfe_u32 v42, v11, 16, 7
	v_mov_b32_e32 v16, 0x7f800001
	s_mov_b32 s41, exec_lo
	s_delay_alu instid0(VALU_DEP_2)
	v_cmpx_ne_u32_e32 0x7f, v42
	s_cbranch_execz .LBB6_3326
; %bb.3323:                             ;   in Loop: Header=BB6_128 Depth=2
	v_dual_mov_b32 v15, v55 :: v_dual_bitop2_b32 v14, 7, v14 bitop3:0x40
	v_lshrrev_b32_e32 v16, 3, v42
	s_mov_b32 s42, exec_lo
	v_cmpx_gt_u32_e32 8, v42
; %bb.3324:                             ;   in Loop: Header=BB6_128 Depth=2
	s_delay_alu instid0(VALU_DEP_3) | instskip(NEXT) | instid1(VALU_DEP_1)
	v_clz_i32_u32_e32 v16, v14
	v_min_u32_e32 v16, 32, v16
	s_delay_alu instid0(VALU_DEP_1) | instskip(NEXT) | instid1(VALU_DEP_1)
	v_subrev_nc_u32_e32 v42, 28, v16
	v_lshlrev_b64_e32 v[14:15], v42, v[14:15]
	s_delay_alu instid0(VALU_DEP_1)
	v_dual_sub_nc_u32 v16, 29, v16 :: v_dual_bitop2_b32 v14, 7, v14 bitop3:0x40
; %bb.3325:                             ;   in Loop: Header=BB6_128 Depth=2
	s_or_b32 exec_lo, exec_lo, s42
	s_delay_alu instid0(VALU_DEP_1) | instskip(NEXT) | instid1(VALU_DEP_2)
	v_dual_lshlrev_b32 v15, 8, v11 :: v_dual_lshlrev_b32 v14, 20, v14
	v_lshl_add_u32 v16, v16, 23, 0x3c000000
	s_delay_alu instid0(VALU_DEP_2) | instskip(NEXT) | instid1(VALU_DEP_1)
	v_and_b32_e32 v15, 0x80000000, v15
	v_or3_b32 v16, v14, v15, v16
.LBB6_3326:                             ;   in Loop: Header=BB6_128 Depth=2
	s_or_b32 exec_lo, exec_lo, s41
.LBB6_3327:                             ;   in Loop: Header=BB6_128 Depth=2
	s_delay_alu instid0(SALU_CYCLE_1)
	s_or_b32 exec_lo, exec_lo, s40
.LBB6_3328:                             ;   in Loop: Header=BB6_128 Depth=2
	s_delay_alu instid0(SALU_CYCLE_1) | instskip(NEXT) | instid1(VALU_DEP_1)
	s_or_b32 exec_lo, exec_lo, s10
	v_dual_add_f32 v14, v17, v16 :: v_dual_mov_b32 v17, v55
	s_delay_alu instid0(VALU_DEP_1) | instskip(SKIP_1) | instid1(VALU_DEP_2)
	v_and_b32_e32 v16, 0x7f800000, v14
	v_lshrrev_b32_e32 v15, 24, v14
	v_cmp_ne_u64_e32 vcc_lo, 0x7f800000, v[16:17]
                                        ; implicit-def: $vgpr16
	s_and_saveexec_b32 s10, vcc_lo
	s_delay_alu instid0(SALU_CYCLE_1)
	s_xor_b32 s40, exec_lo, s10
	s_cbranch_execz .LBB6_3342
; %bb.3329:                             ;   in Loop: Header=BB6_128 Depth=2
	v_and_b32_e32 v16, 0x7fffffff, v14
	v_mov_b32_e32 v17, v55
	v_and_b32_e32 v42, 0x80, v15
	s_delay_alu instid0(VALU_DEP_2) | instskip(SKIP_1) | instid1(SALU_CYCLE_1)
	v_cmp_gt_u64_e32 vcc_lo, 0x43e00001, v[16:17]
                                        ; implicit-def: $vgpr16
	s_and_saveexec_b32 s10, vcc_lo
	s_xor_b32 s41, exec_lo, s10
	s_cbranch_execz .LBB6_3339
; %bb.3330:                             ;   in Loop: Header=BB6_128 Depth=2
	v_mov_b32_e32 v16, 0
	s_mov_b32 s42, exec_lo
	v_cmpx_ne_u32_e32 0, v14
	s_cbranch_execz .LBB6_3338
; %bb.3331:                             ;   in Loop: Header=BB6_128 Depth=2
	v_bfe_u32 v43, v14, 23, 8
	v_and_b32_e32 v15, 0x7fffff, v14
	s_delay_alu instid0(VALU_DEP_2) | instskip(SKIP_2) | instid1(VALU_DEP_4)
	v_cmp_gt_u32_e64 s10, 0x7a, v43
	v_sub_nc_u32_e32 v14, 0x79, v43
	v_cmp_eq_u32_e32 vcc_lo, 0, v43
	v_or_b32_e32 v16, 0x800000, v15
	s_delay_alu instid0(VALU_DEP_3) | instskip(NEXT) | instid1(VALU_DEP_1)
	v_cndmask_b32_e64 v14, 0, v14, s10
	v_cndmask_b32_e64 v44, v14, 0x78, vcc_lo
	s_delay_alu instid0(VALU_DEP_3) | instskip(NEXT) | instid1(VALU_DEP_2)
	v_dual_cndmask_b32 v14, v16, v15 :: v_dual_mov_b32 v15, v55
	v_dual_add_nc_u32 v16, 20, v44 :: v_dual_add_nc_u32 v60, 19, v44
	s_delay_alu instid0(VALU_DEP_1) | instskip(NEXT) | instid1(VALU_DEP_2)
	v_lshlrev_b64_e64 v[16:17], v16, -1
	v_lshlrev_b64_e64 v[90:91], v60, 1
	s_delay_alu instid0(VALU_DEP_2) | instskip(SKIP_1) | instid1(VALU_DEP_4)
	v_bfi_b32 v16, v16, 0, v14
	v_lshrrev_b64 v[14:15], v44, v[14:15]
	v_bfi_b32 v17, v17, 0, 0
	s_delay_alu instid0(VALU_DEP_1) | instskip(NEXT) | instid1(VALU_DEP_3)
	v_cmp_eq_u64_e64 s10, v[16:17], v[90:91]
	v_mov_b64_e32 v[16:17], v[14:15]
	s_and_saveexec_b32 s43, s10
; %bb.3332:                             ;   in Loop: Header=BB6_128 Depth=2
	v_bfe_u32 v16, v14, 20, 1
	v_mov_b32_e32 v17, v55
	s_delay_alu instid0(VALU_DEP_1) | instskip(NEXT) | instid1(VALU_DEP_1)
	v_add_nc_u64_e32 v[16:17], v[14:15], v[16:17]
	v_add_nc_u64_e32 v[16:17], -1, v[16:17]
; %bb.3333:                             ;   in Loop: Header=BB6_128 Depth=2
	s_or_b32 exec_lo, exec_lo, s43
	v_add_nc_u32_e32 v15, 0xffffff81, v43
	v_lshrrev_b32_e32 v17, 23, v14
	s_mov_b32 s10, exec_lo
	s_delay_alu instid0(VALU_DEP_2) | instskip(NEXT) | instid1(VALU_DEP_1)
	v_cndmask_b32_e64 v15, v15, 0xffffff82, vcc_lo
	v_add3_u32 v43, v44, v15, v17
	v_and_b32_e32 v15, 0xfffff, v16
                                        ; implicit-def: $vgpr16
	s_delay_alu instid0(VALU_DEP_1) | instskip(SKIP_1) | instid1(VALU_DEP_2)
	v_dual_add_nc_u32 v17, 6, v43 :: v_dual_add_nc_u32 v14, v15, v14
	v_mov_b32_e32 v15, v55
	v_cmpx_ne_u32_e32 0, v17
	s_xor_b32 s10, exec_lo, s10
; %bb.3334:                             ;   in Loop: Header=BB6_128 Depth=2
	s_delay_alu instid0(VALU_DEP_2) | instskip(SKIP_1) | instid1(VALU_DEP_1)
	v_cmp_lt_u64_e32 vcc_lo, 0xffffff, v[14:15]
	v_add_nc_u32_e32 v16, 7, v43
	v_cndmask_b32_e32 v16, v17, v16, vcc_lo
	v_cndmask_b32_e64 v17, 0, 1, vcc_lo
	s_delay_alu instid0(VALU_DEP_1)
	v_lshrrev_b64 v[14:15], v17, v[14:15]
; %bb.3335:                             ;   in Loop: Header=BB6_128 Depth=2
	s_and_not1_saveexec_b32 s10, s10
; %bb.3336:                             ;   in Loop: Header=BB6_128 Depth=2
	s_delay_alu instid0(VALU_DEP_1)
	v_bfe_u32 v16, v14, 23, 1
; %bb.3337:                             ;   in Loop: Header=BB6_128 Depth=2
	s_or_b32 exec_lo, exec_lo, s10
	s_delay_alu instid0(VALU_DEP_2) | instskip(NEXT) | instid1(VALU_DEP_2)
	v_lshrrev_b64 v[14:15], 20, v[14:15]
	v_cmp_gt_i32_e32 vcc_lo, 16, v16
	v_min_i32_e32 v17, 15, v16
	v_cmp_eq_u32_e64 s10, 0, v16
	s_delay_alu instid0(VALU_DEP_2) | instskip(SKIP_1) | instid1(VALU_DEP_2)
	v_dual_cndmask_b32 v15, 0, v15, vcc_lo :: v_dual_lshlrev_b32 v17, 3, v17
	v_cndmask_b32_e32 v14, 7, v14, vcc_lo
	v_and_b32_e32 v17, 0xf8, v17
	s_delay_alu instid0(VALU_DEP_2) | instskip(NEXT) | instid1(VALU_DEP_2)
	v_cmp_eq_u64_e32 vcc_lo, 0, v[14:15]
	v_and_or_b32 v14, v14, 7, v17
	s_and_b32 s10, s10, vcc_lo
	s_delay_alu instid0(VALU_DEP_1) | instid1(SALU_CYCLE_1)
	v_cndmask_b32_e64 v14, v14, 0, s10
	s_delay_alu instid0(VALU_DEP_1)
	v_or_b32_e32 v16, v14, v42
.LBB6_3338:                             ;   in Loop: Header=BB6_128 Depth=2
	s_or_b32 exec_lo, exec_lo, s42
                                        ; implicit-def: $vgpr42
.LBB6_3339:                             ;   in Loop: Header=BB6_128 Depth=2
	s_and_not1_saveexec_b32 s10, s41
; %bb.3340:                             ;   in Loop: Header=BB6_128 Depth=2
	v_or_b32_e32 v16, 0x7e, v42
; %bb.3341:                             ;   in Loop: Header=BB6_128 Depth=2
	s_or_b32 exec_lo, exec_lo, s10
                                        ; implicit-def: $vgpr15
.LBB6_3342:                             ;   in Loop: Header=BB6_128 Depth=2
	s_and_not1_saveexec_b32 s10, s40
; %bb.3343:                             ;   in Loop: Header=BB6_128 Depth=2
	v_or_b32_e32 v16, 0x7f, v15
; %bb.3344:                             ;   in Loop: Header=BB6_128 Depth=2
	s_or_b32 exec_lo, exec_lo, s10
	v_dual_mov_b32 v17, 0 :: v_dual_mov_b32 v14, 0
	s_mov_b32 s10, exec_lo
	v_cmpx_lt_u32_e32 0xffffff, v54
	s_cbranch_execz .LBB6_3352
; %bb.3345:                             ;   in Loop: Header=BB6_128 Depth=2
	v_lshrrev_b32_e32 v42, 24, v54
	v_bfrev_b32_e32 v14, 1
	s_mov_b32 s40, exec_lo
	s_delay_alu instid0(VALU_DEP_2)
	v_cmpx_ne_u32_e32 0x80, v42
	s_cbranch_execz .LBB6_3351
; %bb.3346:                             ;   in Loop: Header=BB6_128 Depth=2
	v_bfe_u32 v15, v54, 24, 7
	v_mov_b32_e32 v14, 0x7f800001
	s_mov_b32 s41, exec_lo
	s_delay_alu instid0(VALU_DEP_2)
	v_cmpx_ne_u32_e32 0x7f, v15
	s_cbranch_execz .LBB6_3350
; %bb.3347:                             ;   in Loop: Header=BB6_128 Depth=2
	v_dual_lshrrev_b32 v43, 3, v15 :: v_dual_bitop2_b32 v54, 7, v42 bitop3:0x40
	v_cmp_gt_u32_e32 vcc_lo, 8, v15
	s_delay_alu instid0(VALU_DEP_2)
	v_mov_b64_e32 v[14:15], v[54:55]
	s_and_saveexec_b32 s42, vcc_lo
; %bb.3348:                             ;   in Loop: Header=BB6_128 Depth=2
	v_clz_i32_u32_e32 v14, v54
	s_delay_alu instid0(VALU_DEP_1) | instskip(NEXT) | instid1(VALU_DEP_1)
	v_min_u32_e32 v43, 32, v14
	v_subrev_nc_u32_e32 v14, 28, v43
	s_delay_alu instid0(VALU_DEP_1) | instskip(NEXT) | instid1(VALU_DEP_1)
	v_lshlrev_b64_e32 v[14:15], v14, v[54:55]
	v_dual_sub_nc_u32 v43, 29, v43 :: v_dual_bitop2_b32 v14, 7, v14 bitop3:0x40
; %bb.3349:                             ;   in Loop: Header=BB6_128 Depth=2
	s_or_b32 exec_lo, exec_lo, s42
	v_lshlrev_b32_e32 v15, 24, v42
	s_delay_alu instid0(VALU_DEP_2) | instskip(NEXT) | instid1(VALU_DEP_3)
	v_lshlrev_b32_e32 v14, 20, v14
	v_lshl_add_u32 v54, v43, 23, 0x3c000000
	s_delay_alu instid0(VALU_DEP_3) | instskip(NEXT) | instid1(VALU_DEP_1)
	v_and_b32_e32 v15, 0x80000000, v15
	v_or3_b32 v14, v14, v15, v54
.LBB6_3350:                             ;   in Loop: Header=BB6_128 Depth=2
	s_or_b32 exec_lo, exec_lo, s41
.LBB6_3351:                             ;   in Loop: Header=BB6_128 Depth=2
	s_delay_alu instid0(SALU_CYCLE_1)
	s_or_b32 exec_lo, exec_lo, s40
.LBB6_3352:                             ;   in Loop: Header=BB6_128 Depth=2
	s_delay_alu instid0(SALU_CYCLE_1) | instskip(NEXT) | instid1(SALU_CYCLE_1)
	s_or_b32 exec_lo, exec_lo, s10
	s_mov_b32 s10, exec_lo
	v_cmpx_lt_u64_e64 s[14:15], v[10:11]
	s_cbranch_execz .LBB6_3360
; %bb.3353:                             ;   in Loop: Header=BB6_128 Depth=2
	v_lshrrev_b32_e32 v15, 24, v11
	v_bfrev_b32_e32 v17, 1
	s_mov_b32 s40, exec_lo
	s_delay_alu instid0(VALU_DEP_2)
	v_cmpx_ne_u32_e32 0x80, v15
	s_cbranch_execz .LBB6_3359
; %bb.3354:                             ;   in Loop: Header=BB6_128 Depth=2
	v_bfe_u32 v10, v11, 24, 7
	v_mov_b32_e32 v17, 0x7f800001
	s_mov_b32 s41, exec_lo
	s_delay_alu instid0(VALU_DEP_2)
	v_cmpx_ne_u32_e32 0x7f, v10
	s_cbranch_execz .LBB6_3358
; %bb.3355:                             ;   in Loop: Header=BB6_128 Depth=2
	v_dual_lshrrev_b32 v17, 3, v10 :: v_dual_bitop2_b32 v54, 7, v15 bitop3:0x40
	v_cmp_gt_u32_e32 vcc_lo, 8, v10
	s_delay_alu instid0(VALU_DEP_2)
	v_mov_b64_e32 v[10:11], v[54:55]
	s_and_saveexec_b32 s42, vcc_lo
; %bb.3356:                             ;   in Loop: Header=BB6_128 Depth=2
	v_clz_i32_u32_e32 v10, v54
	s_delay_alu instid0(VALU_DEP_1) | instskip(NEXT) | instid1(VALU_DEP_1)
	v_min_u32_e32 v17, 32, v10
	v_subrev_nc_u32_e32 v10, 28, v17
	s_delay_alu instid0(VALU_DEP_1) | instskip(NEXT) | instid1(VALU_DEP_1)
	v_lshlrev_b64_e32 v[10:11], v10, v[54:55]
	v_dual_sub_nc_u32 v17, 29, v17 :: v_dual_bitop2_b32 v10, 7, v10 bitop3:0x40
; %bb.3357:                             ;   in Loop: Header=BB6_128 Depth=2
	s_or_b32 exec_lo, exec_lo, s42
	s_delay_alu instid0(VALU_DEP_1) | instskip(NEXT) | instid1(VALU_DEP_2)
	v_dual_lshlrev_b32 v11, 24, v15 :: v_dual_lshlrev_b32 v10, 20, v10
	v_lshl_add_u32 v15, v17, 23, 0x3c000000
	s_delay_alu instid0(VALU_DEP_2) | instskip(NEXT) | instid1(VALU_DEP_1)
	v_and_b32_e32 v11, 0x80000000, v11
	v_or3_b32 v17, v10, v11, v15
.LBB6_3358:                             ;   in Loop: Header=BB6_128 Depth=2
	s_or_b32 exec_lo, exec_lo, s41
.LBB6_3359:                             ;   in Loop: Header=BB6_128 Depth=2
	s_delay_alu instid0(SALU_CYCLE_1)
	s_or_b32 exec_lo, exec_lo, s40
.LBB6_3360:                             ;   in Loop: Header=BB6_128 Depth=2
	s_delay_alu instid0(SALU_CYCLE_1) | instskip(NEXT) | instid1(VALU_DEP_1)
	s_or_b32 exec_lo, exec_lo, s10
	v_add_f32_e32 v10, v14, v17
                                        ; implicit-def: $vgpr17
	s_mov_b32 s10, exec_lo
	s_delay_alu instid0(VALU_DEP_1) | instskip(SKIP_1) | instid1(VALU_DEP_2)
	v_and_b32_e32 v54, 0x7f800000, v10
	v_lshrrev_b32_e32 v11, 24, v10
	v_cmpx_ne_u64_e32 0x7f800000, v[54:55]
	s_xor_b32 s40, exec_lo, s10
	s_cbranch_execz .LBB6_3374
; %bb.3361:                             ;   in Loop: Header=BB6_128 Depth=2
	v_and_b32_e32 v54, 0x7fffffff, v10
	v_and_b32_e32 v42, 0x80, v11
                                        ; implicit-def: $vgpr17
	s_mov_b32 s10, exec_lo
	s_delay_alu instid0(VALU_DEP_2)
	v_cmpx_gt_u64_e32 0x43e00001, v[54:55]
	s_xor_b32 s41, exec_lo, s10
	s_cbranch_execz .LBB6_3371
; %bb.3362:                             ;   in Loop: Header=BB6_128 Depth=2
	v_mov_b32_e32 v17, 0
	s_mov_b32 s42, exec_lo
	v_cmpx_ne_u32_e32 0, v10
	s_cbranch_execz .LBB6_3370
; %bb.3363:                             ;   in Loop: Header=BB6_128 Depth=2
	v_bfe_u32 v17, v10, 23, 8
	v_and_b32_e32 v11, 0x7fffff, v10
	s_delay_alu instid0(VALU_DEP_2) | instskip(SKIP_2) | instid1(VALU_DEP_4)
	v_cmp_gt_u32_e64 s10, 0x7a, v17
	v_sub_nc_u32_e32 v10, 0x79, v17
	v_cmp_eq_u32_e32 vcc_lo, 0, v17
	v_or_b32_e32 v14, 0x800000, v11
	s_delay_alu instid0(VALU_DEP_1) | instskip(NEXT) | instid1(VALU_DEP_1)
	v_dual_cndmask_b32 v10, 0, v10, s10 :: v_dual_cndmask_b32 v54, v14, v11, vcc_lo
	v_cndmask_b32_e64 v43, v10, 0x78, vcc_lo
	s_delay_alu instid0(VALU_DEP_1) | instskip(NEXT) | instid1(VALU_DEP_1)
	v_dual_add_nc_u32 v10, 20, v43 :: v_dual_add_nc_u32 v14, 19, v43
	v_lshlrev_b64_e64 v[10:11], v10, -1
	s_delay_alu instid0(VALU_DEP_2) | instskip(NEXT) | instid1(VALU_DEP_2)
	v_lshlrev_b64_e64 v[14:15], v14, 1
	v_bfi_b32 v11, v11, 0, 0
	s_delay_alu instid0(VALU_DEP_3) | instskip(NEXT) | instid1(VALU_DEP_1)
	v_bfi_b32 v10, v10, 0, v54
	v_cmp_eq_u64_e64 s10, v[10:11], v[14:15]
	v_lshrrev_b64 v[10:11], v43, v[54:55]
	s_delay_alu instid0(VALU_DEP_1)
	v_mov_b64_e32 v[14:15], v[10:11]
	s_and_saveexec_b32 s43, s10
; %bb.3364:                             ;   in Loop: Header=BB6_128 Depth=2
	v_bfe_u32 v54, v10, 20, 1
	s_delay_alu instid0(VALU_DEP_1) | instskip(NEXT) | instid1(VALU_DEP_1)
	v_add_nc_u64_e32 v[14:15], v[10:11], v[54:55]
	v_add_nc_u64_e32 v[14:15], -1, v[14:15]
; %bb.3365:                             ;   in Loop: Header=BB6_128 Depth=2
	s_or_b32 exec_lo, exec_lo, s43
	v_add_nc_u32_e32 v11, 0xffffff81, v17
	v_lshrrev_b32_e32 v15, 23, v10
	s_mov_b32 s10, exec_lo
	s_delay_alu instid0(VALU_DEP_2) | instskip(NEXT) | instid1(VALU_DEP_1)
	v_cndmask_b32_e64 v11, v11, 0xffffff82, vcc_lo
	v_add3_u32 v17, v43, v11, v15
	v_and_b32_e32 v11, 0xfffff, v14
                                        ; implicit-def: $vgpr14
	s_delay_alu instid0(VALU_DEP_1) | instskip(NEXT) | instid1(VALU_DEP_1)
	v_dual_add_nc_u32 v15, 6, v17 :: v_dual_add_nc_u32 v54, v11, v10
                                        ; implicit-def: $vgpr10_vgpr11
	v_cmpx_ne_u32_e32 0, v15
	s_xor_b32 s10, exec_lo, s10
; %bb.3366:                             ;   in Loop: Header=BB6_128 Depth=2
	s_delay_alu instid0(VALU_DEP_2) | instskip(SKIP_1) | instid1(VALU_DEP_1)
	v_cmp_lt_u64_e32 vcc_lo, 0xffffff, v[54:55]
	v_add_nc_u32_e32 v10, 7, v17
	v_cndmask_b32_e32 v14, v15, v10, vcc_lo
	v_cndmask_b32_e64 v10, 0, 1, vcc_lo
	s_delay_alu instid0(VALU_DEP_1)
	v_lshrrev_b64 v[10:11], v10, v[54:55]
; %bb.3367:                             ;   in Loop: Header=BB6_128 Depth=2
	s_and_not1_saveexec_b32 s10, s10
; %bb.3368:                             ;   in Loop: Header=BB6_128 Depth=2
	v_mov_b64_e32 v[10:11], v[54:55]
	v_bfe_u32 v14, v54, 23, 1
; %bb.3369:                             ;   in Loop: Header=BB6_128 Depth=2
	s_or_b32 exec_lo, exec_lo, s10
	s_delay_alu instid0(VALU_DEP_2) | instskip(NEXT) | instid1(VALU_DEP_2)
	v_lshrrev_b64 v[10:11], 20, v[10:11]
	v_cmp_gt_i32_e32 vcc_lo, 16, v14
	v_min_i32_e32 v15, 15, v14
	v_cmp_eq_u32_e64 s10, 0, v14
	s_delay_alu instid0(VALU_DEP_4) | instskip(NEXT) | instid1(VALU_DEP_3)
	v_cndmask_b32_e32 v11, 0, v11, vcc_lo
	v_dual_cndmask_b32 v10, 7, v10 :: v_dual_lshlrev_b32 v15, 3, v15
	s_delay_alu instid0(VALU_DEP_1) | instskip(NEXT) | instid1(VALU_DEP_2)
	v_and_b32_e32 v15, 0xf8, v15
	v_cmp_eq_u64_e32 vcc_lo, 0, v[10:11]
	s_delay_alu instid0(VALU_DEP_2)
	v_and_or_b32 v10, v10, 7, v15
	s_and_b32 s10, s10, vcc_lo
	s_delay_alu instid0(VALU_DEP_1) | instid1(SALU_CYCLE_1)
	v_cndmask_b32_e64 v10, v10, 0, s10
	s_delay_alu instid0(VALU_DEP_1)
	v_or_b32_e32 v17, v10, v42
.LBB6_3370:                             ;   in Loop: Header=BB6_128 Depth=2
	s_or_b32 exec_lo, exec_lo, s42
                                        ; implicit-def: $vgpr42
.LBB6_3371:                             ;   in Loop: Header=BB6_128 Depth=2
	s_and_not1_saveexec_b32 s10, s41
; %bb.3372:                             ;   in Loop: Header=BB6_128 Depth=2
	v_or_b32_e32 v17, 0x7e, v42
; %bb.3373:                             ;   in Loop: Header=BB6_128 Depth=2
	s_or_b32 exec_lo, exec_lo, s10
                                        ; implicit-def: $vgpr11
.LBB6_3374:                             ;   in Loop: Header=BB6_128 Depth=2
	s_and_not1_saveexec_b32 s10, s40
; %bb.3375:                             ;   in Loop: Header=BB6_128 Depth=2
	v_or_b32_e32 v17, 0x7f, v11
; %bb.3376:                             ;   in Loop: Header=BB6_128 Depth=2
	s_or_b32 exec_lo, exec_lo, s10
	v_lshl_or_b32 v43, v62, 8, v57
	v_dual_lshlrev_b32 v10, 16, v74 :: v_dual_lshlrev_b32 v11, 24, v76
	s_mov_b32 s10, exec_lo
	s_delay_alu instid0(VALU_DEP_1)
	v_or3_b32 v54, v10, v11, v43
	v_dual_mov_b32 v10, 0 :: v_dual_mov_b32 v11, 0
	v_cmpx_ne_u32_e32 0, v57
	s_cbranch_execz .LBB6_3382
; %bb.3377:                             ;   in Loop: Header=BB6_128 Depth=2
	v_bfrev_b32_e32 v11, 1
	s_mov_b32 s40, exec_lo
	v_cmpx_ne_u32_e32 0x80, v57
	s_cbranch_execz .LBB6_3381
; %bb.3378:                             ;   in Loop: Header=BB6_128 Depth=2
	v_and_b32_e32 v14, 0x7f, v57
	v_mov_b32_e32 v11, 0x7f800001
	s_mov_b32 s41, exec_lo
	s_delay_alu instid0(VALU_DEP_2)
	v_cmpx_ne_u32_e32 0x7f, v14
	s_cbranch_execz .LBB6_3380
; %bb.3379:                             ;   in Loop: Header=BB6_128 Depth=2
	v_dual_lshrrev_b32 v15, 3, v14 :: v_dual_bitop2_b32 v11, 7, v57 bitop3:0x40
	v_cmp_gt_u32_e32 vcc_lo, 8, v14
	s_delay_alu instid0(VALU_DEP_2) | instskip(NEXT) | instid1(VALU_DEP_1)
	v_clz_i32_u32_e32 v11, v11
	v_min_u32_e32 v11, 32, v11
	s_delay_alu instid0(VALU_DEP_1) | instskip(NEXT) | instid1(VALU_DEP_1)
	v_subrev_nc_u32_e32 v14, 28, v11
	v_dual_cndmask_b32 v14, 0, v14 :: v_dual_sub_nc_u32 v11, 29, v11
	s_delay_alu instid0(VALU_DEP_1) | instskip(NEXT) | instid1(VALU_DEP_2)
	v_cndmask_b32_e32 v11, v15, v11, vcc_lo
	v_lshlrev_b64_e32 v[14:15], v14, v[54:55]
	v_lshlrev_b32_e32 v15, 24, v54
	s_delay_alu instid0(VALU_DEP_1) | instskip(NEXT) | instid1(VALU_DEP_3)
	v_and_b32_e32 v15, 0x80000000, v15
	v_lshlrev_b32_e32 v14, 20, v14
	v_lshl_add_u32 v11, v11, 23, 0x3c000000
	s_delay_alu instid0(VALU_DEP_2) | instskip(NEXT) | instid1(VALU_DEP_1)
	v_and_b32_e32 v14, 0x700000, v14
	v_or3_b32 v11, v14, v15, v11
.LBB6_3380:                             ;   in Loop: Header=BB6_128 Depth=2
	s_or_b32 exec_lo, exec_lo, s41
.LBB6_3381:                             ;   in Loop: Header=BB6_128 Depth=2
	s_delay_alu instid0(SALU_CYCLE_1)
	s_or_b32 exec_lo, exec_lo, s40
.LBB6_3382:                             ;   in Loop: Header=BB6_128 Depth=2
	s_delay_alu instid0(SALU_CYCLE_1) | instskip(SKIP_2) | instid1(VALU_DEP_1)
	s_or_b32 exec_lo, exec_lo, s10
	v_and_b32_e32 v14, 0xff, v12
	s_mov_b32 s10, exec_lo
	v_cmpx_ne_u16_e32 0, v14
	s_cbranch_execz .LBB6_3388
; %bb.3383:                             ;   in Loop: Header=BB6_128 Depth=2
	v_bfrev_b32_e32 v10, 1
	s_mov_b32 s40, exec_lo
	v_cmpx_ne_u16_e32 0x80, v14
	s_cbranch_execz .LBB6_3387
; %bb.3384:                             ;   in Loop: Header=BB6_128 Depth=2
	v_and_b32_e32 v14, 0x7f, v12
	v_mov_b32_e32 v10, 0x7f800001
	s_mov_b32 s41, exec_lo
	s_delay_alu instid0(VALU_DEP_2)
	v_cmpx_ne_u32_e32 0x7f, v14
	s_cbranch_execz .LBB6_3386
; %bb.3385:                             ;   in Loop: Header=BB6_128 Depth=2
	v_dual_lshrrev_b32 v15, 3, v14 :: v_dual_bitop2_b32 v10, 7, v12 bitop3:0x40
	v_cmp_gt_u32_e32 vcc_lo, 8, v14
	s_delay_alu instid0(VALU_DEP_2) | instskip(NEXT) | instid1(VALU_DEP_1)
	v_clz_i32_u32_e32 v10, v10
	v_min_u32_e32 v10, 32, v10
	s_delay_alu instid0(VALU_DEP_1) | instskip(SKIP_1) | instid1(VALU_DEP_2)
	v_subrev_nc_u32_e32 v14, 28, v10
	v_sub_nc_u32_e32 v10, 29, v10
	v_cndmask_b32_e32 v14, 0, v14, vcc_lo
	s_delay_alu instid0(VALU_DEP_2) | instskip(NEXT) | instid1(VALU_DEP_2)
	v_cndmask_b32_e32 v10, v15, v10, vcc_lo
	v_lshlrev_b64_e32 v[14:15], v14, v[12:13]
	v_lshlrev_b32_e32 v15, 24, v12
	s_delay_alu instid0(VALU_DEP_3) | instskip(NEXT) | instid1(VALU_DEP_2)
	v_lshl_add_u32 v10, v10, 23, 0x3c000000
	v_and_b32_e32 v15, 0x80000000, v15
	s_delay_alu instid0(VALU_DEP_4) | instskip(NEXT) | instid1(VALU_DEP_1)
	v_lshlrev_b32_e32 v14, 20, v14
	v_and_b32_e32 v14, 0x700000, v14
	s_delay_alu instid0(VALU_DEP_1)
	v_or3_b32 v10, v14, v15, v10
.LBB6_3386:                             ;   in Loop: Header=BB6_128 Depth=2
	s_or_b32 exec_lo, exec_lo, s41
.LBB6_3387:                             ;   in Loop: Header=BB6_128 Depth=2
	s_delay_alu instid0(SALU_CYCLE_1)
	s_or_b32 exec_lo, exec_lo, s40
.LBB6_3388:                             ;   in Loop: Header=BB6_128 Depth=2
	s_delay_alu instid0(SALU_CYCLE_1) | instskip(NEXT) | instid1(VALU_DEP_1)
	s_or_b32 exec_lo, exec_lo, s10
	v_add_f32_e32 v10, v11, v10
	v_mov_b32_e32 v15, v55
                                        ; implicit-def: $vgpr42
	s_mov_b32 s10, exec_lo
	s_delay_alu instid0(VALU_DEP_2) | instskip(SKIP_1) | instid1(VALU_DEP_2)
	v_and_b32_e32 v14, 0x7f800000, v10
	v_lshrrev_b32_e32 v11, 24, v10
	v_cmpx_ne_u64_e32 0x7f800000, v[14:15]
	s_xor_b32 s40, exec_lo, s10
	s_cbranch_execz .LBB6_3402
; %bb.3389:                             ;   in Loop: Header=BB6_128 Depth=2
	v_and_b32_e32 v14, 0x7fffffff, v10
	v_mov_b32_e32 v15, v55
	v_and_b32_e32 v44, 0x80, v11
                                        ; implicit-def: $vgpr42
	s_mov_b32 s10, exec_lo
	s_delay_alu instid0(VALU_DEP_2)
	v_cmpx_gt_u64_e32 0x43e00001, v[14:15]
	s_xor_b32 s41, exec_lo, s10
	s_cbranch_execz .LBB6_3399
; %bb.3390:                             ;   in Loop: Header=BB6_128 Depth=2
	v_mov_b32_e32 v42, 0
	s_mov_b32 s42, exec_lo
	v_cmpx_ne_u32_e32 0, v10
	s_cbranch_execz .LBB6_3398
; %bb.3391:                             ;   in Loop: Header=BB6_128 Depth=2
	v_bfe_u32 v42, v10, 23, 8
	v_and_b32_e32 v11, 0x7fffff, v10
	s_delay_alu instid0(VALU_DEP_2) | instskip(SKIP_2) | instid1(VALU_DEP_4)
	v_cmp_gt_u32_e64 s10, 0x7a, v42
	v_sub_nc_u32_e32 v10, 0x79, v42
	v_cmp_eq_u32_e32 vcc_lo, 0, v42
	v_or_b32_e32 v14, 0x800000, v11
	s_delay_alu instid0(VALU_DEP_3) | instskip(NEXT) | instid1(VALU_DEP_1)
	v_cndmask_b32_e64 v10, 0, v10, s10
	v_cndmask_b32_e64 v57, v10, 0x78, vcc_lo
	s_delay_alu instid0(VALU_DEP_3) | instskip(NEXT) | instid1(VALU_DEP_2)
	v_dual_cndmask_b32 v10, v14, v11 :: v_dual_mov_b32 v11, v55
	v_dual_add_nc_u32 v14, 20, v57 :: v_dual_add_nc_u32 v60, 19, v57
	s_delay_alu instid0(VALU_DEP_1) | instskip(NEXT) | instid1(VALU_DEP_2)
	v_lshlrev_b64_e64 v[14:15], v14, -1
	v_lshlrev_b64_e64 v[74:75], v60, 1
	s_delay_alu instid0(VALU_DEP_2) | instskip(SKIP_1) | instid1(VALU_DEP_4)
	v_bfi_b32 v14, v14, 0, v10
	v_lshrrev_b64 v[10:11], v57, v[10:11]
	v_bfi_b32 v15, v15, 0, 0
	s_delay_alu instid0(VALU_DEP_1) | instskip(NEXT) | instid1(VALU_DEP_3)
	v_cmp_eq_u64_e64 s10, v[14:15], v[74:75]
	v_mov_b64_e32 v[14:15], v[10:11]
	s_and_saveexec_b32 s43, s10
; %bb.3392:                             ;   in Loop: Header=BB6_128 Depth=2
	v_bfe_u32 v14, v10, 20, 1
	v_mov_b32_e32 v15, v55
	s_delay_alu instid0(VALU_DEP_1) | instskip(NEXT) | instid1(VALU_DEP_1)
	v_add_nc_u64_e32 v[14:15], v[10:11], v[14:15]
	v_add_nc_u64_e32 v[14:15], -1, v[14:15]
; %bb.3393:                             ;   in Loop: Header=BB6_128 Depth=2
	s_or_b32 exec_lo, exec_lo, s43
	v_add_nc_u32_e32 v11, 0xffffff81, v42
	v_lshrrev_b32_e32 v15, 23, v10
	s_mov_b32 s10, exec_lo
	s_delay_alu instid0(VALU_DEP_2) | instskip(NEXT) | instid1(VALU_DEP_1)
	v_cndmask_b32_e64 v11, v11, 0xffffff82, vcc_lo
	v_add3_u32 v42, v57, v11, v15
	v_and_b32_e32 v11, 0xfffff, v14
                                        ; implicit-def: $vgpr14
	s_delay_alu instid0(VALU_DEP_2) | instskip(NEXT) | instid1(VALU_DEP_2)
	v_add_nc_u32_e32 v15, 6, v42
	v_add_nc_u32_e32 v10, v11, v10
	v_mov_b32_e32 v11, v55
	s_delay_alu instid0(VALU_DEP_3)
	v_cmpx_ne_u32_e32 0, v15
	s_xor_b32 s10, exec_lo, s10
; %bb.3394:                             ;   in Loop: Header=BB6_128 Depth=2
	s_delay_alu instid0(VALU_DEP_2) | instskip(SKIP_1) | instid1(VALU_DEP_1)
	v_cmp_lt_u64_e32 vcc_lo, 0xffffff, v[10:11]
	v_add_nc_u32_e32 v14, 7, v42
	v_cndmask_b32_e32 v14, v15, v14, vcc_lo
	v_cndmask_b32_e64 v15, 0, 1, vcc_lo
	s_delay_alu instid0(VALU_DEP_1)
	v_lshrrev_b64 v[10:11], v15, v[10:11]
; %bb.3395:                             ;   in Loop: Header=BB6_128 Depth=2
	s_and_not1_saveexec_b32 s10, s10
; %bb.3396:                             ;   in Loop: Header=BB6_128 Depth=2
	s_delay_alu instid0(VALU_DEP_1)
	v_bfe_u32 v14, v10, 23, 1
; %bb.3397:                             ;   in Loop: Header=BB6_128 Depth=2
	s_or_b32 exec_lo, exec_lo, s10
	s_delay_alu instid0(VALU_DEP_2) | instskip(NEXT) | instid1(VALU_DEP_2)
	v_lshrrev_b64 v[10:11], 20, v[10:11]
	v_cmp_gt_i32_e32 vcc_lo, 16, v14
	v_min_i32_e32 v15, 15, v14
	v_cmp_eq_u32_e64 s10, 0, v14
	s_delay_alu instid0(VALU_DEP_4) | instskip(NEXT) | instid1(VALU_DEP_3)
	v_cndmask_b32_e32 v11, 0, v11, vcc_lo
	v_dual_cndmask_b32 v10, 7, v10 :: v_dual_lshlrev_b32 v15, 3, v15
	s_delay_alu instid0(VALU_DEP_1) | instskip(NEXT) | instid1(VALU_DEP_2)
	v_and_b32_e32 v15, 0xf8, v15
	v_cmp_eq_u64_e32 vcc_lo, 0, v[10:11]
	s_delay_alu instid0(VALU_DEP_2)
	v_and_or_b32 v10, v10, 7, v15
	s_and_b32 s10, s10, vcc_lo
	s_delay_alu instid0(VALU_DEP_1) | instid1(SALU_CYCLE_1)
	v_cndmask_b32_e64 v10, v10, 0, s10
	s_delay_alu instid0(VALU_DEP_1)
	v_or_b32_e32 v42, v10, v44
.LBB6_3398:                             ;   in Loop: Header=BB6_128 Depth=2
	s_or_b32 exec_lo, exec_lo, s42
                                        ; implicit-def: $vgpr44
.LBB6_3399:                             ;   in Loop: Header=BB6_128 Depth=2
	s_and_not1_saveexec_b32 s10, s41
; %bb.3400:                             ;   in Loop: Header=BB6_128 Depth=2
	v_or_b32_e32 v42, 0x7e, v44
; %bb.3401:                             ;   in Loop: Header=BB6_128 Depth=2
	s_or_b32 exec_lo, exec_lo, s10
                                        ; implicit-def: $vgpr11
.LBB6_3402:                             ;   in Loop: Header=BB6_128 Depth=2
	s_and_not1_saveexec_b32 s10, s40
; %bb.3403:                             ;   in Loop: Header=BB6_128 Depth=2
	v_or_b32_e32 v42, 0x7f, v11
; %bb.3404:                             ;   in Loop: Header=BB6_128 Depth=2
	s_or_b32 exec_lo, exec_lo, s10
	v_lshrrev_b16 v10, 8, v43
	v_dual_mov_b32 v14, 0 :: v_dual_mov_b32 v15, 0
	s_mov_b32 s10, exec_lo
	s_delay_alu instid0(VALU_DEP_2)
	v_cmpx_ne_u16_e32 0, v10
	s_cbranch_execz .LBB6_3412
; %bb.3405:                             ;   in Loop: Header=BB6_128 Depth=2
	v_bfrev_b32_e32 v15, 1
	s_mov_b32 s40, exec_lo
	v_cmpx_ne_u16_e32 0x80, v10
	s_cbranch_execz .LBB6_3411
; %bb.3406:                             ;   in Loop: Header=BB6_128 Depth=2
	v_and_b32_e32 v10, 0xffff, v10
	v_mov_b32_e32 v15, 0x7f800001
	s_mov_b32 s41, exec_lo
	s_delay_alu instid0(VALU_DEP_2) | instskip(NEXT) | instid1(VALU_DEP_1)
	v_and_b32_e32 v44, 0x7f, v10
	v_cmpx_ne_u32_e32 0x7f, v44
	s_cbranch_execz .LBB6_3410
; %bb.3407:                             ;   in Loop: Header=BB6_128 Depth=2
	v_dual_mov_b32 v11, v55 :: v_dual_bitop2_b32 v10, 7, v10 bitop3:0x40
	v_lshrrev_b32_e32 v15, 3, v44
	s_mov_b32 s42, exec_lo
	v_cmpx_gt_u32_e32 8, v44
; %bb.3408:                             ;   in Loop: Header=BB6_128 Depth=2
	s_delay_alu instid0(VALU_DEP_3) | instskip(NEXT) | instid1(VALU_DEP_1)
	v_clz_i32_u32_e32 v15, v10
	v_min_u32_e32 v15, 32, v15
	s_delay_alu instid0(VALU_DEP_1) | instskip(NEXT) | instid1(VALU_DEP_1)
	v_subrev_nc_u32_e32 v44, 28, v15
	v_lshlrev_b64_e32 v[10:11], v44, v[10:11]
	s_delay_alu instid0(VALU_DEP_1)
	v_dual_sub_nc_u32 v15, 29, v15 :: v_dual_bitop2_b32 v10, 7, v10 bitop3:0x40
; %bb.3409:                             ;   in Loop: Header=BB6_128 Depth=2
	s_or_b32 exec_lo, exec_lo, s42
	s_delay_alu instid0(VALU_DEP_1) | instskip(NEXT) | instid1(VALU_DEP_2)
	v_dual_lshlrev_b32 v11, 16, v43 :: v_dual_lshlrev_b32 v10, 20, v10
	v_lshl_add_u32 v15, v15, 23, 0x3c000000
	s_delay_alu instid0(VALU_DEP_2) | instskip(NEXT) | instid1(VALU_DEP_1)
	v_and_b32_e32 v11, 0x80000000, v11
	v_or3_b32 v15, v10, v11, v15
.LBB6_3410:                             ;   in Loop: Header=BB6_128 Depth=2
	s_or_b32 exec_lo, exec_lo, s41
.LBB6_3411:                             ;   in Loop: Header=BB6_128 Depth=2
	s_delay_alu instid0(SALU_CYCLE_1)
	s_or_b32 exec_lo, exec_lo, s40
.LBB6_3412:                             ;   in Loop: Header=BB6_128 Depth=2
	s_delay_alu instid0(SALU_CYCLE_1) | instskip(SKIP_2) | instid1(VALU_DEP_1)
	s_or_b32 exec_lo, exec_lo, s10
	v_lshrrev_b16 v10, 8, v12
	s_mov_b32 s10, exec_lo
	v_cmpx_ne_u16_e32 0, v10
	s_cbranch_execz .LBB6_3420
; %bb.3413:                             ;   in Loop: Header=BB6_128 Depth=2
	v_bfrev_b32_e32 v14, 1
	s_mov_b32 s40, exec_lo
	v_cmpx_ne_u16_e32 0x80, v10
	s_cbranch_execz .LBB6_3419
; %bb.3414:                             ;   in Loop: Header=BB6_128 Depth=2
	v_and_b32_e32 v10, 0xffff, v10
	v_mov_b32_e32 v14, 0x7f800001
	s_mov_b32 s41, exec_lo
	s_delay_alu instid0(VALU_DEP_2) | instskip(NEXT) | instid1(VALU_DEP_1)
	v_and_b32_e32 v43, 0x7f, v10
	v_cmpx_ne_u32_e32 0x7f, v43
	s_cbranch_execz .LBB6_3418
; %bb.3415:                             ;   in Loop: Header=BB6_128 Depth=2
	v_dual_mov_b32 v11, v55 :: v_dual_bitop2_b32 v10, 7, v10 bitop3:0x40
	v_lshrrev_b32_e32 v14, 3, v43
	s_mov_b32 s42, exec_lo
	v_cmpx_gt_u32_e32 8, v43
; %bb.3416:                             ;   in Loop: Header=BB6_128 Depth=2
	s_delay_alu instid0(VALU_DEP_3) | instskip(NEXT) | instid1(VALU_DEP_1)
	v_clz_i32_u32_e32 v14, v10
	v_min_u32_e32 v14, 32, v14
	s_delay_alu instid0(VALU_DEP_1) | instskip(SKIP_1) | instid1(VALU_DEP_2)
	v_subrev_nc_u32_e32 v43, 28, v14
	v_sub_nc_u32_e32 v14, 29, v14
	v_lshlrev_b64_e32 v[10:11], v43, v[10:11]
	s_delay_alu instid0(VALU_DEP_1)
	v_and_b32_e32 v10, 7, v10
; %bb.3417:                             ;   in Loop: Header=BB6_128 Depth=2
	s_or_b32 exec_lo, exec_lo, s42
	s_delay_alu instid0(VALU_DEP_1) | instskip(SKIP_1) | instid1(VALU_DEP_2)
	v_dual_lshlrev_b32 v11, 16, v12 :: v_dual_lshlrev_b32 v10, 20, v10
	v_lshl_add_u32 v14, v14, 23, 0x3c000000
	v_and_b32_e32 v11, 0x80000000, v11
	s_delay_alu instid0(VALU_DEP_1)
	v_or3_b32 v14, v10, v11, v14
.LBB6_3418:                             ;   in Loop: Header=BB6_128 Depth=2
	s_or_b32 exec_lo, exec_lo, s41
.LBB6_3419:                             ;   in Loop: Header=BB6_128 Depth=2
	s_delay_alu instid0(SALU_CYCLE_1)
	s_or_b32 exec_lo, exec_lo, s40
.LBB6_3420:                             ;   in Loop: Header=BB6_128 Depth=2
	s_delay_alu instid0(SALU_CYCLE_1) | instskip(NEXT) | instid1(VALU_DEP_1)
	s_or_b32 exec_lo, exec_lo, s10
	v_add_f32_e32 v10, v15, v14
	v_mov_b32_e32 v15, v55
                                        ; implicit-def: $vgpr43
	s_mov_b32 s10, exec_lo
	s_delay_alu instid0(VALU_DEP_2) | instskip(SKIP_1) | instid1(VALU_DEP_2)
	v_and_b32_e32 v14, 0x7f800000, v10
	v_lshrrev_b32_e32 v11, 24, v10
	v_cmpx_ne_u64_e32 0x7f800000, v[14:15]
	s_xor_b32 s40, exec_lo, s10
	s_cbranch_execz .LBB6_3434
; %bb.3421:                             ;   in Loop: Header=BB6_128 Depth=2
	v_and_b32_e32 v14, 0x7fffffff, v10
	v_mov_b32_e32 v15, v55
	v_and_b32_e32 v44, 0x80, v11
                                        ; implicit-def: $vgpr43
	s_mov_b32 s10, exec_lo
	s_delay_alu instid0(VALU_DEP_2)
	v_cmpx_gt_u64_e32 0x43e00001, v[14:15]
	s_xor_b32 s41, exec_lo, s10
	s_cbranch_execz .LBB6_3431
; %bb.3422:                             ;   in Loop: Header=BB6_128 Depth=2
	v_mov_b32_e32 v43, 0
	s_mov_b32 s42, exec_lo
	v_cmpx_ne_u32_e32 0, v10
	s_cbranch_execz .LBB6_3430
; %bb.3423:                             ;   in Loop: Header=BB6_128 Depth=2
	v_bfe_u32 v43, v10, 23, 8
	v_and_b32_e32 v11, 0x7fffff, v10
	s_delay_alu instid0(VALU_DEP_2) | instskip(SKIP_2) | instid1(VALU_DEP_4)
	v_cmp_gt_u32_e64 s10, 0x7a, v43
	v_sub_nc_u32_e32 v10, 0x79, v43
	v_cmp_eq_u32_e32 vcc_lo, 0, v43
	v_or_b32_e32 v14, 0x800000, v11
	s_delay_alu instid0(VALU_DEP_3) | instskip(NEXT) | instid1(VALU_DEP_1)
	v_cndmask_b32_e64 v10, 0, v10, s10
	v_cndmask_b32_e64 v57, v10, 0x78, vcc_lo
	s_delay_alu instid0(VALU_DEP_3) | instskip(NEXT) | instid1(VALU_DEP_2)
	v_dual_cndmask_b32 v10, v14, v11 :: v_dual_mov_b32 v11, v55
	v_dual_add_nc_u32 v14, 20, v57 :: v_dual_add_nc_u32 v60, 19, v57
	s_delay_alu instid0(VALU_DEP_1) | instskip(NEXT) | instid1(VALU_DEP_2)
	v_lshlrev_b64_e64 v[14:15], v14, -1
	v_lshlrev_b64_e64 v[74:75], v60, 1
	s_delay_alu instid0(VALU_DEP_2) | instskip(SKIP_1) | instid1(VALU_DEP_4)
	v_bfi_b32 v14, v14, 0, v10
	v_lshrrev_b64 v[10:11], v57, v[10:11]
	v_bfi_b32 v15, v15, 0, 0
	s_delay_alu instid0(VALU_DEP_1) | instskip(NEXT) | instid1(VALU_DEP_3)
	v_cmp_eq_u64_e64 s10, v[14:15], v[74:75]
	v_mov_b64_e32 v[14:15], v[10:11]
	s_and_saveexec_b32 s43, s10
; %bb.3424:                             ;   in Loop: Header=BB6_128 Depth=2
	v_bfe_u32 v14, v10, 20, 1
	v_mov_b32_e32 v15, v55
	s_delay_alu instid0(VALU_DEP_1) | instskip(NEXT) | instid1(VALU_DEP_1)
	v_add_nc_u64_e32 v[14:15], v[10:11], v[14:15]
	v_add_nc_u64_e32 v[14:15], -1, v[14:15]
; %bb.3425:                             ;   in Loop: Header=BB6_128 Depth=2
	s_or_b32 exec_lo, exec_lo, s43
	v_add_nc_u32_e32 v11, 0xffffff81, v43
	v_lshrrev_b32_e32 v15, 23, v10
	s_mov_b32 s10, exec_lo
	s_delay_alu instid0(VALU_DEP_2) | instskip(NEXT) | instid1(VALU_DEP_1)
	v_cndmask_b32_e64 v11, v11, 0xffffff82, vcc_lo
	v_add3_u32 v43, v57, v11, v15
	v_and_b32_e32 v11, 0xfffff, v14
                                        ; implicit-def: $vgpr14
	s_delay_alu instid0(VALU_DEP_1) | instskip(SKIP_1) | instid1(VALU_DEP_2)
	v_dual_add_nc_u32 v15, 6, v43 :: v_dual_add_nc_u32 v10, v11, v10
	v_mov_b32_e32 v11, v55
	v_cmpx_ne_u32_e32 0, v15
	s_xor_b32 s10, exec_lo, s10
; %bb.3426:                             ;   in Loop: Header=BB6_128 Depth=2
	s_delay_alu instid0(VALU_DEP_2) | instskip(SKIP_1) | instid1(VALU_DEP_1)
	v_cmp_lt_u64_e32 vcc_lo, 0xffffff, v[10:11]
	v_add_nc_u32_e32 v14, 7, v43
	v_cndmask_b32_e32 v14, v15, v14, vcc_lo
	v_cndmask_b32_e64 v15, 0, 1, vcc_lo
	s_delay_alu instid0(VALU_DEP_1)
	v_lshrrev_b64 v[10:11], v15, v[10:11]
; %bb.3427:                             ;   in Loop: Header=BB6_128 Depth=2
	s_and_not1_saveexec_b32 s10, s10
; %bb.3428:                             ;   in Loop: Header=BB6_128 Depth=2
	s_delay_alu instid0(VALU_DEP_1)
	v_bfe_u32 v14, v10, 23, 1
; %bb.3429:                             ;   in Loop: Header=BB6_128 Depth=2
	s_or_b32 exec_lo, exec_lo, s10
	s_delay_alu instid0(VALU_DEP_2) | instskip(NEXT) | instid1(VALU_DEP_2)
	v_lshrrev_b64 v[10:11], 20, v[10:11]
	v_cmp_gt_i32_e32 vcc_lo, 16, v14
	v_min_i32_e32 v15, 15, v14
	v_cmp_eq_u32_e64 s10, 0, v14
	s_delay_alu instid0(VALU_DEP_4) | instskip(NEXT) | instid1(VALU_DEP_3)
	v_cndmask_b32_e32 v11, 0, v11, vcc_lo
	v_dual_cndmask_b32 v10, 7, v10 :: v_dual_lshlrev_b32 v15, 3, v15
	s_delay_alu instid0(VALU_DEP_1) | instskip(NEXT) | instid1(VALU_DEP_2)
	v_and_b32_e32 v15, 0xf8, v15
	v_cmp_eq_u64_e32 vcc_lo, 0, v[10:11]
	s_delay_alu instid0(VALU_DEP_2)
	v_and_or_b32 v10, v10, 7, v15
	s_and_b32 s10, s10, vcc_lo
	s_delay_alu instid0(VALU_DEP_1) | instid1(SALU_CYCLE_1)
	v_cndmask_b32_e64 v10, v10, 0, s10
	s_delay_alu instid0(VALU_DEP_1)
	v_or_b32_e32 v43, v10, v44
.LBB6_3430:                             ;   in Loop: Header=BB6_128 Depth=2
	s_or_b32 exec_lo, exec_lo, s42
                                        ; implicit-def: $vgpr44
.LBB6_3431:                             ;   in Loop: Header=BB6_128 Depth=2
	s_and_not1_saveexec_b32 s10, s41
; %bb.3432:                             ;   in Loop: Header=BB6_128 Depth=2
	v_or_b32_e32 v43, 0x7e, v44
; %bb.3433:                             ;   in Loop: Header=BB6_128 Depth=2
	s_or_b32 exec_lo, exec_lo, s10
                                        ; implicit-def: $vgpr11
.LBB6_3434:                             ;   in Loop: Header=BB6_128 Depth=2
	s_and_not1_saveexec_b32 s10, s40
; %bb.3435:                             ;   in Loop: Header=BB6_128 Depth=2
	v_or_b32_e32 v43, 0x7f, v11
; %bb.3436:                             ;   in Loop: Header=BB6_128 Depth=2
	s_or_b32 exec_lo, exec_lo, s10
	v_dual_lshrrev_b32 v44, 16, v54 :: v_dual_mov_b32 v14, 0
	v_mov_b32_e32 v15, 0
	s_mov_b32 s10, exec_lo
	s_delay_alu instid0(VALU_DEP_2) | instskip(NEXT) | instid1(VALU_DEP_1)
	v_and_b32_e32 v10, 0xff, v44
	v_cmpx_ne_u16_e32 0, v10
	s_cbranch_execz .LBB6_3444
; %bb.3437:                             ;   in Loop: Header=BB6_128 Depth=2
	v_bfrev_b32_e32 v15, 1
	s_mov_b32 s40, exec_lo
	v_cmpx_ne_u16_e32 0x80, v10
	s_cbranch_execz .LBB6_3443
; %bb.3438:                             ;   in Loop: Header=BB6_128 Depth=2
	v_bfe_u32 v57, v54, 16, 7
	v_mov_b32_e32 v15, 0x7f800001
	s_mov_b32 s41, exec_lo
	s_delay_alu instid0(VALU_DEP_2)
	v_cmpx_ne_u32_e32 0x7f, v57
	s_cbranch_execz .LBB6_3442
; %bb.3439:                             ;   in Loop: Header=BB6_128 Depth=2
	v_dual_mov_b32 v11, v55 :: v_dual_bitop2_b32 v10, 7, v44 bitop3:0x40
	v_lshrrev_b32_e32 v15, 3, v57
	s_mov_b32 s42, exec_lo
	v_cmpx_gt_u32_e32 8, v57
; %bb.3440:                             ;   in Loop: Header=BB6_128 Depth=2
	s_delay_alu instid0(VALU_DEP_3) | instskip(NEXT) | instid1(VALU_DEP_1)
	v_clz_i32_u32_e32 v15, v10
	v_min_u32_e32 v15, 32, v15
	s_delay_alu instid0(VALU_DEP_1) | instskip(NEXT) | instid1(VALU_DEP_1)
	v_subrev_nc_u32_e32 v57, 28, v15
	v_lshlrev_b64_e32 v[10:11], v57, v[10:11]
	s_delay_alu instid0(VALU_DEP_1)
	v_dual_sub_nc_u32 v15, 29, v15 :: v_dual_bitop2_b32 v10, 7, v10 bitop3:0x40
; %bb.3441:                             ;   in Loop: Header=BB6_128 Depth=2
	s_or_b32 exec_lo, exec_lo, s42
	s_delay_alu instid0(VALU_DEP_1) | instskip(NEXT) | instid1(VALU_DEP_2)
	v_dual_lshlrev_b32 v11, 24, v44 :: v_dual_lshlrev_b32 v10, 20, v10
	v_lshl_add_u32 v15, v15, 23, 0x3c000000
	s_delay_alu instid0(VALU_DEP_2) | instskip(NEXT) | instid1(VALU_DEP_1)
	v_and_b32_e32 v11, 0x80000000, v11
	v_or3_b32 v15, v10, v11, v15
.LBB6_3442:                             ;   in Loop: Header=BB6_128 Depth=2
	s_or_b32 exec_lo, exec_lo, s41
.LBB6_3443:                             ;   in Loop: Header=BB6_128 Depth=2
	s_delay_alu instid0(SALU_CYCLE_1)
	s_or_b32 exec_lo, exec_lo, s40
.LBB6_3444:                             ;   in Loop: Header=BB6_128 Depth=2
	s_delay_alu instid0(SALU_CYCLE_1) | instskip(SKIP_2) | instid1(VALU_DEP_1)
	s_or_b32 exec_lo, exec_lo, s10
	v_lshrrev_b32_e32 v10, 16, v12
	s_mov_b32 s10, exec_lo
	v_and_b32_e32 v11, 0xff, v10
	s_delay_alu instid0(VALU_DEP_1)
	v_cmpx_ne_u16_e32 0, v11
	s_cbranch_execz .LBB6_3452
; %bb.3445:                             ;   in Loop: Header=BB6_128 Depth=2
	v_bfrev_b32_e32 v14, 1
	s_mov_b32 s40, exec_lo
	v_cmpx_ne_u16_e32 0x80, v11
	s_cbranch_execz .LBB6_3451
; %bb.3446:                             ;   in Loop: Header=BB6_128 Depth=2
	v_bfe_u32 v44, v12, 16, 7
	v_mov_b32_e32 v14, 0x7f800001
	s_mov_b32 s41, exec_lo
	s_delay_alu instid0(VALU_DEP_2)
	v_cmpx_ne_u32_e32 0x7f, v44
	s_cbranch_execz .LBB6_3450
; %bb.3447:                             ;   in Loop: Header=BB6_128 Depth=2
	v_dual_mov_b32 v11, v55 :: v_dual_bitop2_b32 v10, 7, v10 bitop3:0x40
	v_lshrrev_b32_e32 v14, 3, v44
	s_mov_b32 s42, exec_lo
	v_cmpx_gt_u32_e32 8, v44
; %bb.3448:                             ;   in Loop: Header=BB6_128 Depth=2
	s_delay_alu instid0(VALU_DEP_3) | instskip(NEXT) | instid1(VALU_DEP_1)
	v_clz_i32_u32_e32 v14, v10
	v_min_u32_e32 v14, 32, v14
	s_delay_alu instid0(VALU_DEP_1) | instskip(SKIP_1) | instid1(VALU_DEP_2)
	v_subrev_nc_u32_e32 v44, 28, v14
	v_sub_nc_u32_e32 v14, 29, v14
	v_lshlrev_b64_e32 v[10:11], v44, v[10:11]
	s_delay_alu instid0(VALU_DEP_1)
	v_and_b32_e32 v10, 7, v10
; %bb.3449:                             ;   in Loop: Header=BB6_128 Depth=2
	s_or_b32 exec_lo, exec_lo, s42
	s_delay_alu instid0(VALU_DEP_1) | instskip(SKIP_1) | instid1(VALU_DEP_2)
	v_dual_lshlrev_b32 v11, 8, v12 :: v_dual_lshlrev_b32 v10, 20, v10
	v_lshl_add_u32 v14, v14, 23, 0x3c000000
	v_and_b32_e32 v11, 0x80000000, v11
	s_delay_alu instid0(VALU_DEP_1)
	v_or3_b32 v14, v10, v11, v14
.LBB6_3450:                             ;   in Loop: Header=BB6_128 Depth=2
	s_or_b32 exec_lo, exec_lo, s41
.LBB6_3451:                             ;   in Loop: Header=BB6_128 Depth=2
	s_delay_alu instid0(SALU_CYCLE_1)
	s_or_b32 exec_lo, exec_lo, s40
.LBB6_3452:                             ;   in Loop: Header=BB6_128 Depth=2
	s_delay_alu instid0(SALU_CYCLE_1) | instskip(NEXT) | instid1(VALU_DEP_1)
	s_or_b32 exec_lo, exec_lo, s10
	v_add_f32_e32 v10, v15, v14
	v_mov_b32_e32 v15, v55
                                        ; implicit-def: $vgpr44
	s_mov_b32 s10, exec_lo
	s_delay_alu instid0(VALU_DEP_2) | instskip(SKIP_1) | instid1(VALU_DEP_2)
	v_and_b32_e32 v14, 0x7f800000, v10
	v_lshrrev_b32_e32 v11, 24, v10
	v_cmpx_ne_u64_e32 0x7f800000, v[14:15]
	s_xor_b32 s40, exec_lo, s10
	s_cbranch_execz .LBB6_3466
; %bb.3453:                             ;   in Loop: Header=BB6_128 Depth=2
	v_and_b32_e32 v14, 0x7fffffff, v10
	v_mov_b32_e32 v15, v55
	v_and_b32_e32 v57, 0x80, v11
                                        ; implicit-def: $vgpr44
	s_mov_b32 s10, exec_lo
	s_delay_alu instid0(VALU_DEP_2)
	v_cmpx_gt_u64_e32 0x43e00001, v[14:15]
	s_xor_b32 s41, exec_lo, s10
	s_cbranch_execz .LBB6_3463
; %bb.3454:                             ;   in Loop: Header=BB6_128 Depth=2
	v_mov_b32_e32 v44, 0
	s_mov_b32 s42, exec_lo
	v_cmpx_ne_u32_e32 0, v10
	s_cbranch_execz .LBB6_3462
; %bb.3455:                             ;   in Loop: Header=BB6_128 Depth=2
	v_bfe_u32 v44, v10, 23, 8
	v_and_b32_e32 v11, 0x7fffff, v10
	s_delay_alu instid0(VALU_DEP_2) | instskip(SKIP_2) | instid1(VALU_DEP_4)
	v_cmp_gt_u32_e64 s10, 0x7a, v44
	v_sub_nc_u32_e32 v10, 0x79, v44
	v_cmp_eq_u32_e32 vcc_lo, 0, v44
	v_or_b32_e32 v14, 0x800000, v11
	s_delay_alu instid0(VALU_DEP_3) | instskip(NEXT) | instid1(VALU_DEP_1)
	v_cndmask_b32_e64 v10, 0, v10, s10
	v_cndmask_b32_e64 v60, v10, 0x78, vcc_lo
	s_delay_alu instid0(VALU_DEP_3) | instskip(NEXT) | instid1(VALU_DEP_2)
	v_dual_cndmask_b32 v10, v14, v11 :: v_dual_mov_b32 v11, v55
	v_dual_add_nc_u32 v14, 20, v60 :: v_dual_add_nc_u32 v62, 19, v60
	s_delay_alu instid0(VALU_DEP_1) | instskip(NEXT) | instid1(VALU_DEP_2)
	v_lshlrev_b64_e64 v[14:15], v14, -1
	v_lshlrev_b64_e64 v[74:75], v62, 1
	s_delay_alu instid0(VALU_DEP_2) | instskip(SKIP_1) | instid1(VALU_DEP_4)
	v_bfi_b32 v14, v14, 0, v10
	v_lshrrev_b64 v[10:11], v60, v[10:11]
	v_bfi_b32 v15, v15, 0, 0
	s_delay_alu instid0(VALU_DEP_1) | instskip(NEXT) | instid1(VALU_DEP_3)
	v_cmp_eq_u64_e64 s10, v[14:15], v[74:75]
	v_mov_b64_e32 v[14:15], v[10:11]
	s_and_saveexec_b32 s43, s10
; %bb.3456:                             ;   in Loop: Header=BB6_128 Depth=2
	v_bfe_u32 v14, v10, 20, 1
	v_mov_b32_e32 v15, v55
	s_delay_alu instid0(VALU_DEP_1) | instskip(NEXT) | instid1(VALU_DEP_1)
	v_add_nc_u64_e32 v[14:15], v[10:11], v[14:15]
	v_add_nc_u64_e32 v[14:15], -1, v[14:15]
; %bb.3457:                             ;   in Loop: Header=BB6_128 Depth=2
	s_or_b32 exec_lo, exec_lo, s43
	v_add_nc_u32_e32 v11, 0xffffff81, v44
	v_lshrrev_b32_e32 v15, 23, v10
	s_mov_b32 s10, exec_lo
	s_delay_alu instid0(VALU_DEP_2) | instskip(NEXT) | instid1(VALU_DEP_1)
	v_cndmask_b32_e64 v11, v11, 0xffffff82, vcc_lo
	v_add3_u32 v44, v60, v11, v15
	v_and_b32_e32 v11, 0xfffff, v14
                                        ; implicit-def: $vgpr14
	s_delay_alu instid0(VALU_DEP_1) | instskip(SKIP_1) | instid1(VALU_DEP_2)
	v_dual_add_nc_u32 v15, 6, v44 :: v_dual_add_nc_u32 v10, v11, v10
	v_mov_b32_e32 v11, v55
	v_cmpx_ne_u32_e32 0, v15
	s_xor_b32 s10, exec_lo, s10
; %bb.3458:                             ;   in Loop: Header=BB6_128 Depth=2
	s_delay_alu instid0(VALU_DEP_2) | instskip(SKIP_1) | instid1(VALU_DEP_1)
	v_cmp_lt_u64_e32 vcc_lo, 0xffffff, v[10:11]
	v_add_nc_u32_e32 v14, 7, v44
	v_cndmask_b32_e32 v14, v15, v14, vcc_lo
	v_cndmask_b32_e64 v15, 0, 1, vcc_lo
	s_delay_alu instid0(VALU_DEP_1)
	v_lshrrev_b64 v[10:11], v15, v[10:11]
; %bb.3459:                             ;   in Loop: Header=BB6_128 Depth=2
	s_and_not1_saveexec_b32 s10, s10
; %bb.3460:                             ;   in Loop: Header=BB6_128 Depth=2
	s_delay_alu instid0(VALU_DEP_1)
	v_bfe_u32 v14, v10, 23, 1
; %bb.3461:                             ;   in Loop: Header=BB6_128 Depth=2
	s_or_b32 exec_lo, exec_lo, s10
	s_delay_alu instid0(VALU_DEP_2) | instskip(NEXT) | instid1(VALU_DEP_2)
	v_lshrrev_b64 v[10:11], 20, v[10:11]
	v_cmp_gt_i32_e32 vcc_lo, 16, v14
	v_min_i32_e32 v15, 15, v14
	v_cmp_eq_u32_e64 s10, 0, v14
	s_delay_alu instid0(VALU_DEP_4) | instskip(NEXT) | instid1(VALU_DEP_3)
	v_cndmask_b32_e32 v11, 0, v11, vcc_lo
	v_dual_cndmask_b32 v10, 7, v10 :: v_dual_lshlrev_b32 v15, 3, v15
	s_delay_alu instid0(VALU_DEP_1) | instskip(NEXT) | instid1(VALU_DEP_2)
	v_and_b32_e32 v15, 0xf8, v15
	v_cmp_eq_u64_e32 vcc_lo, 0, v[10:11]
	s_delay_alu instid0(VALU_DEP_2)
	v_and_or_b32 v10, v10, 7, v15
	s_and_b32 s10, s10, vcc_lo
	s_delay_alu instid0(VALU_DEP_1) | instid1(SALU_CYCLE_1)
	v_cndmask_b32_e64 v10, v10, 0, s10
	s_delay_alu instid0(VALU_DEP_1)
	v_or_b32_e32 v44, v10, v57
.LBB6_3462:                             ;   in Loop: Header=BB6_128 Depth=2
	s_or_b32 exec_lo, exec_lo, s42
                                        ; implicit-def: $vgpr57
.LBB6_3463:                             ;   in Loop: Header=BB6_128 Depth=2
	s_and_not1_saveexec_b32 s10, s41
; %bb.3464:                             ;   in Loop: Header=BB6_128 Depth=2
	v_or_b32_e32 v44, 0x7e, v57
; %bb.3465:                             ;   in Loop: Header=BB6_128 Depth=2
	s_or_b32 exec_lo, exec_lo, s10
                                        ; implicit-def: $vgpr11
.LBB6_3466:                             ;   in Loop: Header=BB6_128 Depth=2
	s_and_not1_saveexec_b32 s10, s40
; %bb.3467:                             ;   in Loop: Header=BB6_128 Depth=2
	v_or_b32_e32 v44, 0x7f, v11
; %bb.3468:                             ;   in Loop: Header=BB6_128 Depth=2
	s_or_b32 exec_lo, exec_lo, s10
	v_dual_mov_b32 v14, 0 :: v_dual_mov_b32 v15, 0
	s_mov_b32 s10, exec_lo
	v_cmpx_lt_u32_e32 0xffffff, v54
	s_cbranch_execz .LBB6_3476
; %bb.3469:                             ;   in Loop: Header=BB6_128 Depth=2
	v_lshrrev_b32_e32 v57, 24, v54
	v_bfrev_b32_e32 v15, 1
	s_mov_b32 s40, exec_lo
	s_delay_alu instid0(VALU_DEP_2)
	v_cmpx_ne_u32_e32 0x80, v57
	s_cbranch_execz .LBB6_3475
; %bb.3470:                             ;   in Loop: Header=BB6_128 Depth=2
	v_bfe_u32 v10, v54, 24, 7
	v_mov_b32_e32 v15, 0x7f800001
	s_mov_b32 s41, exec_lo
	s_delay_alu instid0(VALU_DEP_2)
	v_cmpx_ne_u32_e32 0x7f, v10
	s_cbranch_execz .LBB6_3474
; %bb.3471:                             ;   in Loop: Header=BB6_128 Depth=2
	v_dual_lshrrev_b32 v15, 3, v10 :: v_dual_bitop2_b32 v54, 7, v57 bitop3:0x40
	v_cmp_gt_u32_e32 vcc_lo, 8, v10
	s_delay_alu instid0(VALU_DEP_2)
	v_mov_b64_e32 v[10:11], v[54:55]
	s_and_saveexec_b32 s42, vcc_lo
; %bb.3472:                             ;   in Loop: Header=BB6_128 Depth=2
	v_clz_i32_u32_e32 v10, v54
	s_delay_alu instid0(VALU_DEP_1) | instskip(NEXT) | instid1(VALU_DEP_1)
	v_min_u32_e32 v15, 32, v10
	v_subrev_nc_u32_e32 v10, 28, v15
	s_delay_alu instid0(VALU_DEP_1) | instskip(NEXT) | instid1(VALU_DEP_1)
	v_lshlrev_b64_e32 v[10:11], v10, v[54:55]
	v_dual_sub_nc_u32 v15, 29, v15 :: v_dual_bitop2_b32 v10, 7, v10 bitop3:0x40
; %bb.3473:                             ;   in Loop: Header=BB6_128 Depth=2
	s_or_b32 exec_lo, exec_lo, s42
	s_delay_alu instid0(VALU_DEP_1) | instskip(NEXT) | instid1(VALU_DEP_2)
	v_dual_lshlrev_b32 v11, 24, v57 :: v_dual_lshlrev_b32 v10, 20, v10
	v_lshl_add_u32 v15, v15, 23, 0x3c000000
	s_delay_alu instid0(VALU_DEP_2) | instskip(NEXT) | instid1(VALU_DEP_1)
	v_and_b32_e32 v11, 0x80000000, v11
	v_or3_b32 v15, v10, v11, v15
.LBB6_3474:                             ;   in Loop: Header=BB6_128 Depth=2
	s_or_b32 exec_lo, exec_lo, s41
.LBB6_3475:                             ;   in Loop: Header=BB6_128 Depth=2
	s_delay_alu instid0(SALU_CYCLE_1)
	s_or_b32 exec_lo, exec_lo, s40
.LBB6_3476:                             ;   in Loop: Header=BB6_128 Depth=2
	s_delay_alu instid0(SALU_CYCLE_1) | instskip(NEXT) | instid1(SALU_CYCLE_1)
	s_or_b32 exec_lo, exec_lo, s10
	s_mov_b32 s10, exec_lo
	v_cmpx_lt_u32_e32 0xffffff, v12
	s_cbranch_execz .LBB6_3484
; %bb.3477:                             ;   in Loop: Header=BB6_128 Depth=2
	v_lshrrev_b32_e32 v57, 24, v12
	v_bfrev_b32_e32 v14, 1
	s_mov_b32 s40, exec_lo
	s_delay_alu instid0(VALU_DEP_2)
	v_cmpx_ne_u32_e32 0x80, v57
	s_cbranch_execz .LBB6_3483
; %bb.3478:                             ;   in Loop: Header=BB6_128 Depth=2
	v_bfe_u32 v10, v12, 24, 7
	v_mov_b32_e32 v14, 0x7f800001
	s_mov_b32 s41, exec_lo
	s_delay_alu instid0(VALU_DEP_2)
	v_cmpx_ne_u32_e32 0x7f, v10
	s_cbranch_execz .LBB6_3482
; %bb.3479:                             ;   in Loop: Header=BB6_128 Depth=2
	v_dual_lshrrev_b32 v14, 3, v10 :: v_dual_bitop2_b32 v54, 7, v57 bitop3:0x40
	v_cmp_gt_u32_e32 vcc_lo, 8, v10
	s_delay_alu instid0(VALU_DEP_2)
	v_mov_b64_e32 v[10:11], v[54:55]
	s_and_saveexec_b32 s42, vcc_lo
; %bb.3480:                             ;   in Loop: Header=BB6_128 Depth=2
	v_clz_i32_u32_e32 v10, v54
	s_delay_alu instid0(VALU_DEP_1) | instskip(NEXT) | instid1(VALU_DEP_1)
	v_min_u32_e32 v14, 32, v10
	v_subrev_nc_u32_e32 v10, 28, v14
	v_sub_nc_u32_e32 v14, 29, v14
	s_delay_alu instid0(VALU_DEP_2) | instskip(NEXT) | instid1(VALU_DEP_1)
	v_lshlrev_b64_e32 v[10:11], v10, v[54:55]
	v_and_b32_e32 v10, 7, v10
; %bb.3481:                             ;   in Loop: Header=BB6_128 Depth=2
	s_or_b32 exec_lo, exec_lo, s42
	s_delay_alu instid0(VALU_DEP_1) | instskip(SKIP_1) | instid1(VALU_DEP_2)
	v_dual_lshlrev_b32 v11, 24, v57 :: v_dual_lshlrev_b32 v10, 20, v10
	v_lshl_add_u32 v14, v14, 23, 0x3c000000
	v_and_b32_e32 v11, 0x80000000, v11
	s_delay_alu instid0(VALU_DEP_1)
	v_or3_b32 v14, v10, v11, v14
.LBB6_3482:                             ;   in Loop: Header=BB6_128 Depth=2
	s_or_b32 exec_lo, exec_lo, s41
.LBB6_3483:                             ;   in Loop: Header=BB6_128 Depth=2
	s_delay_alu instid0(SALU_CYCLE_1)
	s_or_b32 exec_lo, exec_lo, s40
.LBB6_3484:                             ;   in Loop: Header=BB6_128 Depth=2
	s_delay_alu instid0(SALU_CYCLE_1) | instskip(NEXT) | instid1(VALU_DEP_1)
	s_or_b32 exec_lo, exec_lo, s10
	v_add_f32_e32 v10, v15, v14
                                        ; implicit-def: $vgpr57
	s_mov_b32 s10, exec_lo
	s_delay_alu instid0(VALU_DEP_1) | instskip(SKIP_1) | instid1(VALU_DEP_2)
	v_and_b32_e32 v54, 0x7f800000, v10
	v_lshrrev_b32_e32 v11, 24, v10
	v_cmpx_ne_u64_e32 0x7f800000, v[54:55]
	s_xor_b32 s40, exec_lo, s10
	s_cbranch_execz .LBB6_3498
; %bb.3485:                             ;   in Loop: Header=BB6_128 Depth=2
	v_and_b32_e32 v54, 0x7fffffff, v10
	v_and_b32_e32 v60, 0x80, v11
                                        ; implicit-def: $vgpr57
	s_mov_b32 s10, exec_lo
	s_delay_alu instid0(VALU_DEP_2)
	v_cmpx_gt_u64_e32 0x43e00001, v[54:55]
	s_xor_b32 s41, exec_lo, s10
	s_cbranch_execz .LBB6_3495
; %bb.3486:                             ;   in Loop: Header=BB6_128 Depth=2
	v_mov_b32_e32 v57, 0
	s_mov_b32 s42, exec_lo
	v_cmpx_ne_u32_e32 0, v10
	s_cbranch_execz .LBB6_3494
; %bb.3487:                             ;   in Loop: Header=BB6_128 Depth=2
	v_bfe_u32 v57, v10, 23, 8
	v_and_b32_e32 v11, 0x7fffff, v10
	s_delay_alu instid0(VALU_DEP_2) | instskip(SKIP_2) | instid1(VALU_DEP_4)
	v_cmp_gt_u32_e64 s10, 0x7a, v57
	v_sub_nc_u32_e32 v10, 0x79, v57
	v_cmp_eq_u32_e32 vcc_lo, 0, v57
	v_or_b32_e32 v14, 0x800000, v11
	s_delay_alu instid0(VALU_DEP_1) | instskip(NEXT) | instid1(VALU_DEP_1)
	v_dual_cndmask_b32 v10, 0, v10, s10 :: v_dual_cndmask_b32 v54, v14, v11, vcc_lo
	v_cndmask_b32_e64 v62, v10, 0x78, vcc_lo
	s_delay_alu instid0(VALU_DEP_1) | instskip(NEXT) | instid1(VALU_DEP_1)
	v_dual_add_nc_u32 v10, 20, v62 :: v_dual_add_nc_u32 v14, 19, v62
	v_lshlrev_b64_e64 v[10:11], v10, -1
	s_delay_alu instid0(VALU_DEP_2) | instskip(NEXT) | instid1(VALU_DEP_2)
	v_lshlrev_b64_e64 v[14:15], v14, 1
	v_bfi_b32 v11, v11, 0, 0
	s_delay_alu instid0(VALU_DEP_3) | instskip(NEXT) | instid1(VALU_DEP_1)
	v_bfi_b32 v10, v10, 0, v54
	v_cmp_eq_u64_e64 s10, v[10:11], v[14:15]
	v_lshrrev_b64 v[10:11], v62, v[54:55]
	s_delay_alu instid0(VALU_DEP_1)
	v_mov_b64_e32 v[14:15], v[10:11]
	s_and_saveexec_b32 s43, s10
; %bb.3488:                             ;   in Loop: Header=BB6_128 Depth=2
	v_bfe_u32 v54, v10, 20, 1
	s_delay_alu instid0(VALU_DEP_1) | instskip(NEXT) | instid1(VALU_DEP_1)
	v_add_nc_u64_e32 v[14:15], v[10:11], v[54:55]
	v_add_nc_u64_e32 v[14:15], -1, v[14:15]
; %bb.3489:                             ;   in Loop: Header=BB6_128 Depth=2
	s_or_b32 exec_lo, exec_lo, s43
	v_add_nc_u32_e32 v11, 0xffffff81, v57
	v_lshrrev_b32_e32 v15, 23, v10
	s_mov_b32 s10, exec_lo
	s_delay_alu instid0(VALU_DEP_2) | instskip(NEXT) | instid1(VALU_DEP_1)
	v_cndmask_b32_e64 v11, v11, 0xffffff82, vcc_lo
	v_add3_u32 v57, v62, v11, v15
	v_and_b32_e32 v11, 0xfffff, v14
                                        ; implicit-def: $vgpr14
	s_delay_alu instid0(VALU_DEP_1) | instskip(NEXT) | instid1(VALU_DEP_1)
	v_dual_add_nc_u32 v15, 6, v57 :: v_dual_add_nc_u32 v54, v11, v10
                                        ; implicit-def: $vgpr10_vgpr11
	v_cmpx_ne_u32_e32 0, v15
	s_xor_b32 s10, exec_lo, s10
; %bb.3490:                             ;   in Loop: Header=BB6_128 Depth=2
	s_delay_alu instid0(VALU_DEP_2) | instskip(SKIP_1) | instid1(VALU_DEP_1)
	v_cmp_lt_u64_e32 vcc_lo, 0xffffff, v[54:55]
	v_add_nc_u32_e32 v10, 7, v57
	v_cndmask_b32_e32 v14, v15, v10, vcc_lo
	v_cndmask_b32_e64 v10, 0, 1, vcc_lo
	s_delay_alu instid0(VALU_DEP_1)
	v_lshrrev_b64 v[10:11], v10, v[54:55]
; %bb.3491:                             ;   in Loop: Header=BB6_128 Depth=2
	s_and_not1_saveexec_b32 s10, s10
; %bb.3492:                             ;   in Loop: Header=BB6_128 Depth=2
	v_mov_b64_e32 v[10:11], v[54:55]
	v_bfe_u32 v14, v54, 23, 1
; %bb.3493:                             ;   in Loop: Header=BB6_128 Depth=2
	s_or_b32 exec_lo, exec_lo, s10
	s_delay_alu instid0(VALU_DEP_2) | instskip(NEXT) | instid1(VALU_DEP_2)
	v_lshrrev_b64 v[10:11], 20, v[10:11]
	v_cmp_gt_i32_e32 vcc_lo, 16, v14
	v_min_i32_e32 v15, 15, v14
	v_cmp_eq_u32_e64 s10, 0, v14
	s_delay_alu instid0(VALU_DEP_4) | instskip(NEXT) | instid1(VALU_DEP_3)
	v_cndmask_b32_e32 v11, 0, v11, vcc_lo
	v_dual_cndmask_b32 v10, 7, v10 :: v_dual_lshlrev_b32 v15, 3, v15
	s_delay_alu instid0(VALU_DEP_1) | instskip(NEXT) | instid1(VALU_DEP_2)
	v_and_b32_e32 v15, 0xf8, v15
	v_cmp_eq_u64_e32 vcc_lo, 0, v[10:11]
	s_delay_alu instid0(VALU_DEP_2)
	v_and_or_b32 v10, v10, 7, v15
	s_and_b32 s10, s10, vcc_lo
	s_delay_alu instid0(VALU_DEP_1) | instid1(SALU_CYCLE_1)
	v_cndmask_b32_e64 v10, v10, 0, s10
	s_delay_alu instid0(VALU_DEP_1)
	v_or_b32_e32 v57, v10, v60
.LBB6_3494:                             ;   in Loop: Header=BB6_128 Depth=2
	s_or_b32 exec_lo, exec_lo, s42
                                        ; implicit-def: $vgpr60
.LBB6_3495:                             ;   in Loop: Header=BB6_128 Depth=2
	s_and_not1_saveexec_b32 s10, s41
; %bb.3496:                             ;   in Loop: Header=BB6_128 Depth=2
	v_or_b32_e32 v57, 0x7e, v60
; %bb.3497:                             ;   in Loop: Header=BB6_128 Depth=2
	s_or_b32 exec_lo, exec_lo, s10
                                        ; implicit-def: $vgpr11
.LBB6_3498:                             ;   in Loop: Header=BB6_128 Depth=2
	s_and_not1_saveexec_b32 s10, s40
; %bb.3499:                             ;   in Loop: Header=BB6_128 Depth=2
	v_or_b32_e32 v57, 0x7f, v11
; %bb.3500:                             ;   in Loop: Header=BB6_128 Depth=2
	s_or_b32 exec_lo, exec_lo, s10
	v_dual_lshlrev_b32 v10, 24, v72 :: v_dual_lshlrev_b32 v11, 16, v61
	v_lshl_or_b32 v58, v58, 8, v47
	s_mov_b32 s10, exec_lo
	s_delay_alu instid0(VALU_DEP_1)
	v_or3_b32 v54, v11, v10, v58
	v_dual_mov_b32 v10, 0 :: v_dual_mov_b32 v11, 0
	v_cmpx_ne_u32_e32 0, v47
	s_cbranch_execz .LBB6_3506
; %bb.3501:                             ;   in Loop: Header=BB6_128 Depth=2
	v_bfrev_b32_e32 v11, 1
	s_mov_b32 s40, exec_lo
	v_cmpx_ne_u32_e32 0x80, v47
	s_cbranch_execz .LBB6_3505
; %bb.3502:                             ;   in Loop: Header=BB6_128 Depth=2
	v_and_b32_e32 v14, 0x7f, v47
	v_mov_b32_e32 v11, 0x7f800001
	s_mov_b32 s41, exec_lo
	s_delay_alu instid0(VALU_DEP_2)
	v_cmpx_ne_u32_e32 0x7f, v14
	s_cbranch_execz .LBB6_3504
; %bb.3503:                             ;   in Loop: Header=BB6_128 Depth=2
	v_dual_lshrrev_b32 v15, 3, v14 :: v_dual_bitop2_b32 v11, 7, v47 bitop3:0x40
	v_cmp_gt_u32_e32 vcc_lo, 8, v14
	s_delay_alu instid0(VALU_DEP_2) | instskip(NEXT) | instid1(VALU_DEP_1)
	v_clz_i32_u32_e32 v11, v11
	v_min_u32_e32 v11, 32, v11
	s_delay_alu instid0(VALU_DEP_1) | instskip(NEXT) | instid1(VALU_DEP_1)
	v_subrev_nc_u32_e32 v14, 28, v11
	v_dual_cndmask_b32 v14, 0, v14 :: v_dual_sub_nc_u32 v11, 29, v11
	s_delay_alu instid0(VALU_DEP_1) | instskip(NEXT) | instid1(VALU_DEP_2)
	v_cndmask_b32_e32 v11, v15, v11, vcc_lo
	v_lshlrev_b64_e32 v[14:15], v14, v[54:55]
	v_lshlrev_b32_e32 v15, 24, v54
	s_delay_alu instid0(VALU_DEP_1) | instskip(NEXT) | instid1(VALU_DEP_3)
	v_and_b32_e32 v15, 0x80000000, v15
	v_lshlrev_b32_e32 v14, 20, v14
	v_lshl_add_u32 v11, v11, 23, 0x3c000000
	s_delay_alu instid0(VALU_DEP_2) | instskip(NEXT) | instid1(VALU_DEP_1)
	v_and_b32_e32 v14, 0x700000, v14
	v_or3_b32 v11, v14, v15, v11
.LBB6_3504:                             ;   in Loop: Header=BB6_128 Depth=2
	s_or_b32 exec_lo, exec_lo, s41
.LBB6_3505:                             ;   in Loop: Header=BB6_128 Depth=2
	s_delay_alu instid0(SALU_CYCLE_1)
	s_or_b32 exec_lo, exec_lo, s40
.LBB6_3506:                             ;   in Loop: Header=BB6_128 Depth=2
	s_delay_alu instid0(SALU_CYCLE_1) | instskip(SKIP_2) | instid1(VALU_DEP_1)
	s_or_b32 exec_lo, exec_lo, s10
	v_and_b32_e32 v14, 0xff, v13
	s_mov_b32 s10, exec_lo
	v_cmpx_ne_u16_e32 0, v14
	s_cbranch_execz .LBB6_3512
; %bb.3507:                             ;   in Loop: Header=BB6_128 Depth=2
	v_bfrev_b32_e32 v10, 1
	s_mov_b32 s40, exec_lo
	v_cmpx_ne_u16_e32 0x80, v14
	s_cbranch_execz .LBB6_3511
; %bb.3508:                             ;   in Loop: Header=BB6_128 Depth=2
	v_and_b32_e32 v14, 0x7f, v13
	v_mov_b32_e32 v10, 0x7f800001
	s_mov_b32 s41, exec_lo
	s_delay_alu instid0(VALU_DEP_2)
	v_cmpx_ne_u32_e32 0x7f, v14
	s_cbranch_execz .LBB6_3510
; %bb.3509:                             ;   in Loop: Header=BB6_128 Depth=2
	v_dual_lshrrev_b32 v47, 3, v14 :: v_dual_bitop2_b32 v10, 7, v13 bitop3:0x40
	v_cmp_gt_u32_e32 vcc_lo, 8, v14
	v_mov_b32_e32 v14, v13
	s_delay_alu instid0(VALU_DEP_3) | instskip(NEXT) | instid1(VALU_DEP_1)
	v_clz_i32_u32_e32 v10, v10
	v_min_u32_e32 v10, 32, v10
	s_delay_alu instid0(VALU_DEP_1) | instskip(SKIP_2) | instid1(VALU_DEP_2)
	v_sub_nc_u32_e32 v60, 29, v10
	v_subrev_nc_u32_e32 v10, 28, v10
	v_mov_b32_e32 v15, v55
	v_dual_cndmask_b32 v47, v47, v60 :: v_dual_cndmask_b32 v10, 0, v10
	s_delay_alu instid0(VALU_DEP_1) | instskip(SKIP_1) | instid1(VALU_DEP_3)
	v_lshlrev_b64_e32 v[60:61], v10, v[14:15]
	v_lshlrev_b32_e32 v10, 24, v14
	v_lshl_add_u32 v15, v47, 23, 0x3c000000
	s_delay_alu instid0(VALU_DEP_2) | instskip(NEXT) | instid1(VALU_DEP_4)
	v_and_b32_e32 v10, 0x80000000, v10
	v_lshlrev_b32_e32 v14, 20, v60
	s_delay_alu instid0(VALU_DEP_1) | instskip(NEXT) | instid1(VALU_DEP_1)
	v_and_b32_e32 v14, 0x700000, v14
	v_or3_b32 v10, v14, v10, v15
.LBB6_3510:                             ;   in Loop: Header=BB6_128 Depth=2
	s_or_b32 exec_lo, exec_lo, s41
.LBB6_3511:                             ;   in Loop: Header=BB6_128 Depth=2
	s_delay_alu instid0(SALU_CYCLE_1)
	s_or_b32 exec_lo, exec_lo, s40
.LBB6_3512:                             ;   in Loop: Header=BB6_128 Depth=2
	s_delay_alu instid0(SALU_CYCLE_1) | instskip(NEXT) | instid1(VALU_DEP_1)
	s_or_b32 exec_lo, exec_lo, s10
	v_add_f32_e32 v10, v11, v10
	v_mov_b32_e32 v15, v55
                                        ; implicit-def: $vgpr47
	s_mov_b32 s10, exec_lo
	s_delay_alu instid0(VALU_DEP_2) | instskip(SKIP_1) | instid1(VALU_DEP_2)
	v_and_b32_e32 v14, 0x7f800000, v10
	v_lshrrev_b32_e32 v11, 24, v10
	v_cmpx_ne_u64_e32 0x7f800000, v[14:15]
	s_xor_b32 s40, exec_lo, s10
	s_cbranch_execz .LBB6_3526
; %bb.3513:                             ;   in Loop: Header=BB6_128 Depth=2
	v_and_b32_e32 v14, 0x7fffffff, v10
	v_mov_b32_e32 v15, v55
	v_and_b32_e32 v60, 0x80, v11
                                        ; implicit-def: $vgpr47
	s_mov_b32 s10, exec_lo
	s_delay_alu instid0(VALU_DEP_2)
	v_cmpx_gt_u64_e32 0x43e00001, v[14:15]
	s_xor_b32 s41, exec_lo, s10
	s_cbranch_execz .LBB6_3523
; %bb.3514:                             ;   in Loop: Header=BB6_128 Depth=2
	v_mov_b32_e32 v47, 0
	s_mov_b32 s42, exec_lo
	v_cmpx_ne_u32_e32 0, v10
	s_cbranch_execz .LBB6_3522
; %bb.3515:                             ;   in Loop: Header=BB6_128 Depth=2
	v_bfe_u32 v47, v10, 23, 8
	v_and_b32_e32 v11, 0x7fffff, v10
	s_delay_alu instid0(VALU_DEP_2) | instskip(SKIP_2) | instid1(VALU_DEP_4)
	v_cmp_gt_u32_e64 s10, 0x7a, v47
	v_sub_nc_u32_e32 v10, 0x79, v47
	v_cmp_eq_u32_e32 vcc_lo, 0, v47
	v_or_b32_e32 v14, 0x800000, v11
	s_delay_alu instid0(VALU_DEP_3) | instskip(NEXT) | instid1(VALU_DEP_1)
	v_cndmask_b32_e64 v10, 0, v10, s10
	v_cndmask_b32_e64 v61, v10, 0x78, vcc_lo
	s_delay_alu instid0(VALU_DEP_3) | instskip(NEXT) | instid1(VALU_DEP_2)
	v_dual_cndmask_b32 v10, v14, v11 :: v_dual_mov_b32 v11, v55
	v_dual_add_nc_u32 v14, 20, v61 :: v_dual_add_nc_u32 v62, 19, v61
	s_delay_alu instid0(VALU_DEP_1) | instskip(NEXT) | instid1(VALU_DEP_2)
	v_lshlrev_b64_e64 v[14:15], v14, -1
	v_lshlrev_b64_e64 v[72:73], v62, 1
	s_delay_alu instid0(VALU_DEP_2) | instskip(SKIP_1) | instid1(VALU_DEP_4)
	v_bfi_b32 v14, v14, 0, v10
	v_lshrrev_b64 v[10:11], v61, v[10:11]
	v_bfi_b32 v15, v15, 0, 0
	s_delay_alu instid0(VALU_DEP_1) | instskip(NEXT) | instid1(VALU_DEP_3)
	v_cmp_eq_u64_e64 s10, v[14:15], v[72:73]
	v_mov_b64_e32 v[14:15], v[10:11]
	s_and_saveexec_b32 s43, s10
; %bb.3516:                             ;   in Loop: Header=BB6_128 Depth=2
	v_bfe_u32 v14, v10, 20, 1
	v_mov_b32_e32 v15, v55
	s_delay_alu instid0(VALU_DEP_1) | instskip(NEXT) | instid1(VALU_DEP_1)
	v_add_nc_u64_e32 v[14:15], v[10:11], v[14:15]
	v_add_nc_u64_e32 v[14:15], -1, v[14:15]
; %bb.3517:                             ;   in Loop: Header=BB6_128 Depth=2
	s_or_b32 exec_lo, exec_lo, s43
	v_add_nc_u32_e32 v11, 0xffffff81, v47
	v_lshrrev_b32_e32 v15, 23, v10
	s_mov_b32 s10, exec_lo
	s_delay_alu instid0(VALU_DEP_2) | instskip(NEXT) | instid1(VALU_DEP_1)
	v_cndmask_b32_e64 v11, v11, 0xffffff82, vcc_lo
	v_add3_u32 v47, v61, v11, v15
	v_and_b32_e32 v11, 0xfffff, v14
                                        ; implicit-def: $vgpr14
	s_delay_alu instid0(VALU_DEP_1) | instskip(SKIP_1) | instid1(VALU_DEP_2)
	v_dual_add_nc_u32 v15, 6, v47 :: v_dual_add_nc_u32 v10, v11, v10
	v_mov_b32_e32 v11, v55
	v_cmpx_ne_u32_e32 0, v15
	s_xor_b32 s10, exec_lo, s10
; %bb.3518:                             ;   in Loop: Header=BB6_128 Depth=2
	s_delay_alu instid0(VALU_DEP_2) | instskip(SKIP_1) | instid1(VALU_DEP_1)
	v_cmp_lt_u64_e32 vcc_lo, 0xffffff, v[10:11]
	v_add_nc_u32_e32 v14, 7, v47
	v_cndmask_b32_e32 v14, v15, v14, vcc_lo
	v_cndmask_b32_e64 v15, 0, 1, vcc_lo
	s_delay_alu instid0(VALU_DEP_1)
	v_lshrrev_b64 v[10:11], v15, v[10:11]
; %bb.3519:                             ;   in Loop: Header=BB6_128 Depth=2
	s_and_not1_saveexec_b32 s10, s10
; %bb.3520:                             ;   in Loop: Header=BB6_128 Depth=2
	s_delay_alu instid0(VALU_DEP_1)
	v_bfe_u32 v14, v10, 23, 1
; %bb.3521:                             ;   in Loop: Header=BB6_128 Depth=2
	s_or_b32 exec_lo, exec_lo, s10
	s_delay_alu instid0(VALU_DEP_2) | instskip(NEXT) | instid1(VALU_DEP_2)
	v_lshrrev_b64 v[10:11], 20, v[10:11]
	v_cmp_gt_i32_e32 vcc_lo, 16, v14
	v_min_i32_e32 v15, 15, v14
	v_cmp_eq_u32_e64 s10, 0, v14
	s_delay_alu instid0(VALU_DEP_4) | instskip(NEXT) | instid1(VALU_DEP_3)
	v_cndmask_b32_e32 v11, 0, v11, vcc_lo
	v_dual_cndmask_b32 v10, 7, v10 :: v_dual_lshlrev_b32 v15, 3, v15
	s_delay_alu instid0(VALU_DEP_1) | instskip(NEXT) | instid1(VALU_DEP_2)
	v_and_b32_e32 v15, 0xf8, v15
	v_cmp_eq_u64_e32 vcc_lo, 0, v[10:11]
	s_delay_alu instid0(VALU_DEP_2)
	v_and_or_b32 v10, v10, 7, v15
	s_and_b32 s10, s10, vcc_lo
	s_delay_alu instid0(VALU_DEP_1) | instid1(SALU_CYCLE_1)
	v_cndmask_b32_e64 v10, v10, 0, s10
	s_delay_alu instid0(VALU_DEP_1)
	v_or_b32_e32 v47, v10, v60
.LBB6_3522:                             ;   in Loop: Header=BB6_128 Depth=2
	s_or_b32 exec_lo, exec_lo, s42
                                        ; implicit-def: $vgpr60
.LBB6_3523:                             ;   in Loop: Header=BB6_128 Depth=2
	s_and_not1_saveexec_b32 s10, s41
; %bb.3524:                             ;   in Loop: Header=BB6_128 Depth=2
	v_or_b32_e32 v47, 0x7e, v60
; %bb.3525:                             ;   in Loop: Header=BB6_128 Depth=2
	s_or_b32 exec_lo, exec_lo, s10
                                        ; implicit-def: $vgpr11
.LBB6_3526:                             ;   in Loop: Header=BB6_128 Depth=2
	s_and_not1_saveexec_b32 s10, s40
; %bb.3527:                             ;   in Loop: Header=BB6_128 Depth=2
	v_or_b32_e32 v47, 0x7f, v11
; %bb.3528:                             ;   in Loop: Header=BB6_128 Depth=2
	s_or_b32 exec_lo, exec_lo, s10
	v_lshrrev_b16 v10, 8, v58
	v_dual_mov_b32 v14, 0 :: v_dual_mov_b32 v15, 0
	s_mov_b32 s10, exec_lo
	s_delay_alu instid0(VALU_DEP_2)
	v_cmpx_ne_u16_e32 0, v10
	s_cbranch_execz .LBB6_3536
; %bb.3529:                             ;   in Loop: Header=BB6_128 Depth=2
	v_bfrev_b32_e32 v15, 1
	s_mov_b32 s40, exec_lo
	v_cmpx_ne_u16_e32 0x80, v10
	s_cbranch_execz .LBB6_3535
; %bb.3530:                             ;   in Loop: Header=BB6_128 Depth=2
	v_and_b32_e32 v10, 0xffff, v10
	v_mov_b32_e32 v15, 0x7f800001
	s_mov_b32 s41, exec_lo
	s_delay_alu instid0(VALU_DEP_2) | instskip(NEXT) | instid1(VALU_DEP_1)
	v_and_b32_e32 v60, 0x7f, v10
	v_cmpx_ne_u32_e32 0x7f, v60
	s_cbranch_execz .LBB6_3534
; %bb.3531:                             ;   in Loop: Header=BB6_128 Depth=2
	v_dual_mov_b32 v11, v55 :: v_dual_bitop2_b32 v10, 7, v10 bitop3:0x40
	v_lshrrev_b32_e32 v15, 3, v60
	s_mov_b32 s42, exec_lo
	v_cmpx_gt_u32_e32 8, v60
; %bb.3532:                             ;   in Loop: Header=BB6_128 Depth=2
	s_delay_alu instid0(VALU_DEP_3) | instskip(NEXT) | instid1(VALU_DEP_1)
	v_clz_i32_u32_e32 v15, v10
	v_min_u32_e32 v15, 32, v15
	s_delay_alu instid0(VALU_DEP_1) | instskip(NEXT) | instid1(VALU_DEP_1)
	v_subrev_nc_u32_e32 v60, 28, v15
	v_lshlrev_b64_e32 v[10:11], v60, v[10:11]
	s_delay_alu instid0(VALU_DEP_1)
	v_dual_sub_nc_u32 v15, 29, v15 :: v_dual_bitop2_b32 v10, 7, v10 bitop3:0x40
; %bb.3533:                             ;   in Loop: Header=BB6_128 Depth=2
	s_or_b32 exec_lo, exec_lo, s42
	v_lshlrev_b32_e32 v11, 16, v58
	s_delay_alu instid0(VALU_DEP_2) | instskip(NEXT) | instid1(VALU_DEP_3)
	v_lshlrev_b32_e32 v10, 20, v10
	v_lshl_add_u32 v15, v15, 23, 0x3c000000
	s_delay_alu instid0(VALU_DEP_3) | instskip(NEXT) | instid1(VALU_DEP_1)
	v_and_b32_e32 v11, 0x80000000, v11
	v_or3_b32 v15, v10, v11, v15
.LBB6_3534:                             ;   in Loop: Header=BB6_128 Depth=2
	s_or_b32 exec_lo, exec_lo, s41
.LBB6_3535:                             ;   in Loop: Header=BB6_128 Depth=2
	s_delay_alu instid0(SALU_CYCLE_1)
	s_or_b32 exec_lo, exec_lo, s40
.LBB6_3536:                             ;   in Loop: Header=BB6_128 Depth=2
	s_delay_alu instid0(SALU_CYCLE_1) | instskip(SKIP_2) | instid1(VALU_DEP_1)
	s_or_b32 exec_lo, exec_lo, s10
	v_lshrrev_b16 v10, 8, v13
	s_mov_b32 s10, exec_lo
	v_cmpx_ne_u16_e32 0, v10
	s_cbranch_execz .LBB6_3544
; %bb.3537:                             ;   in Loop: Header=BB6_128 Depth=2
	v_bfrev_b32_e32 v14, 1
	s_mov_b32 s40, exec_lo
	v_cmpx_ne_u16_e32 0x80, v10
	s_cbranch_execz .LBB6_3543
; %bb.3538:                             ;   in Loop: Header=BB6_128 Depth=2
	v_and_b32_e32 v10, 0xffff, v10
	v_mov_b32_e32 v14, 0x7f800001
	s_mov_b32 s41, exec_lo
	s_delay_alu instid0(VALU_DEP_2) | instskip(NEXT) | instid1(VALU_DEP_1)
	v_and_b32_e32 v58, 0x7f, v10
	v_cmpx_ne_u32_e32 0x7f, v58
	s_cbranch_execz .LBB6_3542
; %bb.3539:                             ;   in Loop: Header=BB6_128 Depth=2
	v_dual_mov_b32 v11, v55 :: v_dual_bitop2_b32 v10, 7, v10 bitop3:0x40
	v_lshrrev_b32_e32 v14, 3, v58
	s_mov_b32 s42, exec_lo
	v_cmpx_gt_u32_e32 8, v58
; %bb.3540:                             ;   in Loop: Header=BB6_128 Depth=2
	s_delay_alu instid0(VALU_DEP_3) | instskip(NEXT) | instid1(VALU_DEP_1)
	v_clz_i32_u32_e32 v14, v10
	v_min_u32_e32 v14, 32, v14
	s_delay_alu instid0(VALU_DEP_1) | instskip(SKIP_1) | instid1(VALU_DEP_2)
	v_subrev_nc_u32_e32 v58, 28, v14
	v_sub_nc_u32_e32 v14, 29, v14
	v_lshlrev_b64_e32 v[10:11], v58, v[10:11]
	s_delay_alu instid0(VALU_DEP_1)
	v_and_b32_e32 v10, 7, v10
; %bb.3541:                             ;   in Loop: Header=BB6_128 Depth=2
	s_or_b32 exec_lo, exec_lo, s42
	s_delay_alu instid0(VALU_DEP_1) | instskip(SKIP_1) | instid1(VALU_DEP_2)
	v_dual_lshlrev_b32 v11, 16, v13 :: v_dual_lshlrev_b32 v10, 20, v10
	v_lshl_add_u32 v14, v14, 23, 0x3c000000
	v_and_b32_e32 v11, 0x80000000, v11
	s_delay_alu instid0(VALU_DEP_1)
	v_or3_b32 v14, v10, v11, v14
.LBB6_3542:                             ;   in Loop: Header=BB6_128 Depth=2
	s_or_b32 exec_lo, exec_lo, s41
.LBB6_3543:                             ;   in Loop: Header=BB6_128 Depth=2
	s_delay_alu instid0(SALU_CYCLE_1)
	s_or_b32 exec_lo, exec_lo, s40
.LBB6_3544:                             ;   in Loop: Header=BB6_128 Depth=2
	s_delay_alu instid0(SALU_CYCLE_1) | instskip(NEXT) | instid1(VALU_DEP_1)
	s_or_b32 exec_lo, exec_lo, s10
	v_add_f32_e32 v10, v15, v14
	v_mov_b32_e32 v15, v55
                                        ; implicit-def: $vgpr58
	s_mov_b32 s10, exec_lo
	s_delay_alu instid0(VALU_DEP_2) | instskip(SKIP_1) | instid1(VALU_DEP_2)
	v_and_b32_e32 v14, 0x7f800000, v10
	v_lshrrev_b32_e32 v11, 24, v10
	v_cmpx_ne_u64_e32 0x7f800000, v[14:15]
	s_xor_b32 s40, exec_lo, s10
	s_cbranch_execz .LBB6_3558
; %bb.3545:                             ;   in Loop: Header=BB6_128 Depth=2
	v_and_b32_e32 v14, 0x7fffffff, v10
	v_mov_b32_e32 v15, v55
	v_and_b32_e32 v60, 0x80, v11
                                        ; implicit-def: $vgpr58
	s_mov_b32 s10, exec_lo
	s_delay_alu instid0(VALU_DEP_2)
	v_cmpx_gt_u64_e32 0x43e00001, v[14:15]
	s_xor_b32 s41, exec_lo, s10
	s_cbranch_execz .LBB6_3555
; %bb.3546:                             ;   in Loop: Header=BB6_128 Depth=2
	v_mov_b32_e32 v58, 0
	s_mov_b32 s42, exec_lo
	v_cmpx_ne_u32_e32 0, v10
	s_cbranch_execz .LBB6_3554
; %bb.3547:                             ;   in Loop: Header=BB6_128 Depth=2
	v_bfe_u32 v58, v10, 23, 8
	v_and_b32_e32 v11, 0x7fffff, v10
	s_delay_alu instid0(VALU_DEP_2) | instskip(SKIP_2) | instid1(VALU_DEP_4)
	v_cmp_gt_u32_e64 s10, 0x7a, v58
	v_sub_nc_u32_e32 v10, 0x79, v58
	v_cmp_eq_u32_e32 vcc_lo, 0, v58
	v_or_b32_e32 v14, 0x800000, v11
	s_delay_alu instid0(VALU_DEP_3) | instskip(NEXT) | instid1(VALU_DEP_1)
	v_cndmask_b32_e64 v10, 0, v10, s10
	v_cndmask_b32_e64 v61, v10, 0x78, vcc_lo
	s_delay_alu instid0(VALU_DEP_3) | instskip(NEXT) | instid1(VALU_DEP_2)
	v_dual_cndmask_b32 v10, v14, v11 :: v_dual_mov_b32 v11, v55
	v_dual_add_nc_u32 v14, 20, v61 :: v_dual_add_nc_u32 v62, 19, v61
	s_delay_alu instid0(VALU_DEP_1) | instskip(NEXT) | instid1(VALU_DEP_2)
	v_lshlrev_b64_e64 v[14:15], v14, -1
	v_lshlrev_b64_e64 v[72:73], v62, 1
	s_delay_alu instid0(VALU_DEP_2) | instskip(SKIP_1) | instid1(VALU_DEP_4)
	v_bfi_b32 v14, v14, 0, v10
	v_lshrrev_b64 v[10:11], v61, v[10:11]
	v_bfi_b32 v15, v15, 0, 0
	s_delay_alu instid0(VALU_DEP_1) | instskip(NEXT) | instid1(VALU_DEP_3)
	v_cmp_eq_u64_e64 s10, v[14:15], v[72:73]
	v_mov_b64_e32 v[14:15], v[10:11]
	s_and_saveexec_b32 s43, s10
; %bb.3548:                             ;   in Loop: Header=BB6_128 Depth=2
	v_bfe_u32 v14, v10, 20, 1
	v_mov_b32_e32 v15, v55
	s_delay_alu instid0(VALU_DEP_1) | instskip(NEXT) | instid1(VALU_DEP_1)
	v_add_nc_u64_e32 v[14:15], v[10:11], v[14:15]
	v_add_nc_u64_e32 v[14:15], -1, v[14:15]
; %bb.3549:                             ;   in Loop: Header=BB6_128 Depth=2
	s_or_b32 exec_lo, exec_lo, s43
	v_add_nc_u32_e32 v11, 0xffffff81, v58
	v_lshrrev_b32_e32 v15, 23, v10
	s_mov_b32 s10, exec_lo
	s_delay_alu instid0(VALU_DEP_2) | instskip(NEXT) | instid1(VALU_DEP_1)
	v_cndmask_b32_e64 v11, v11, 0xffffff82, vcc_lo
	v_add3_u32 v58, v61, v11, v15
	v_and_b32_e32 v11, 0xfffff, v14
                                        ; implicit-def: $vgpr14
	s_delay_alu instid0(VALU_DEP_2) | instskip(NEXT) | instid1(VALU_DEP_2)
	v_add_nc_u32_e32 v15, 6, v58
	v_add_nc_u32_e32 v10, v11, v10
	v_mov_b32_e32 v11, v55
	s_delay_alu instid0(VALU_DEP_3)
	v_cmpx_ne_u32_e32 0, v15
	s_xor_b32 s10, exec_lo, s10
; %bb.3550:                             ;   in Loop: Header=BB6_128 Depth=2
	s_delay_alu instid0(VALU_DEP_2) | instskip(SKIP_1) | instid1(VALU_DEP_1)
	v_cmp_lt_u64_e32 vcc_lo, 0xffffff, v[10:11]
	v_add_nc_u32_e32 v14, 7, v58
	v_cndmask_b32_e32 v14, v15, v14, vcc_lo
	v_cndmask_b32_e64 v15, 0, 1, vcc_lo
	s_delay_alu instid0(VALU_DEP_1)
	v_lshrrev_b64 v[10:11], v15, v[10:11]
; %bb.3551:                             ;   in Loop: Header=BB6_128 Depth=2
	s_and_not1_saveexec_b32 s10, s10
; %bb.3552:                             ;   in Loop: Header=BB6_128 Depth=2
	s_delay_alu instid0(VALU_DEP_1)
	v_bfe_u32 v14, v10, 23, 1
; %bb.3553:                             ;   in Loop: Header=BB6_128 Depth=2
	s_or_b32 exec_lo, exec_lo, s10
	s_delay_alu instid0(VALU_DEP_2) | instskip(NEXT) | instid1(VALU_DEP_2)
	v_lshrrev_b64 v[10:11], 20, v[10:11]
	v_cmp_gt_i32_e32 vcc_lo, 16, v14
	v_min_i32_e32 v15, 15, v14
	v_cmp_eq_u32_e64 s10, 0, v14
	s_delay_alu instid0(VALU_DEP_4) | instskip(NEXT) | instid1(VALU_DEP_3)
	v_cndmask_b32_e32 v11, 0, v11, vcc_lo
	v_dual_cndmask_b32 v10, 7, v10 :: v_dual_lshlrev_b32 v15, 3, v15
	s_delay_alu instid0(VALU_DEP_1) | instskip(NEXT) | instid1(VALU_DEP_2)
	v_and_b32_e32 v15, 0xf8, v15
	v_cmp_eq_u64_e32 vcc_lo, 0, v[10:11]
	s_delay_alu instid0(VALU_DEP_2)
	v_and_or_b32 v10, v10, 7, v15
	s_and_b32 s10, s10, vcc_lo
	s_delay_alu instid0(VALU_DEP_1) | instid1(SALU_CYCLE_1)
	v_cndmask_b32_e64 v10, v10, 0, s10
	s_delay_alu instid0(VALU_DEP_1)
	v_or_b32_e32 v58, v10, v60
.LBB6_3554:                             ;   in Loop: Header=BB6_128 Depth=2
	s_or_b32 exec_lo, exec_lo, s42
                                        ; implicit-def: $vgpr60
.LBB6_3555:                             ;   in Loop: Header=BB6_128 Depth=2
	s_and_not1_saveexec_b32 s10, s41
; %bb.3556:                             ;   in Loop: Header=BB6_128 Depth=2
	v_or_b32_e32 v58, 0x7e, v60
; %bb.3557:                             ;   in Loop: Header=BB6_128 Depth=2
	s_or_b32 exec_lo, exec_lo, s10
                                        ; implicit-def: $vgpr11
.LBB6_3558:                             ;   in Loop: Header=BB6_128 Depth=2
	s_and_not1_saveexec_b32 s10, s40
; %bb.3559:                             ;   in Loop: Header=BB6_128 Depth=2
	v_or_b32_e32 v58, 0x7f, v11
; %bb.3560:                             ;   in Loop: Header=BB6_128 Depth=2
	s_or_b32 exec_lo, exec_lo, s10
	v_dual_lshrrev_b32 v60, 16, v54 :: v_dual_mov_b32 v14, 0
	v_mov_b32_e32 v15, 0
	s_mov_b32 s10, exec_lo
	s_delay_alu instid0(VALU_DEP_2) | instskip(NEXT) | instid1(VALU_DEP_1)
	v_and_b32_e32 v10, 0xff, v60
	v_cmpx_ne_u16_e32 0, v10
	s_cbranch_execz .LBB6_3568
; %bb.3561:                             ;   in Loop: Header=BB6_128 Depth=2
	v_bfrev_b32_e32 v15, 1
	s_mov_b32 s40, exec_lo
	v_cmpx_ne_u16_e32 0x80, v10
	s_cbranch_execz .LBB6_3567
; %bb.3562:                             ;   in Loop: Header=BB6_128 Depth=2
	v_bfe_u32 v61, v54, 16, 7
	v_mov_b32_e32 v15, 0x7f800001
	s_mov_b32 s41, exec_lo
	s_delay_alu instid0(VALU_DEP_2)
	v_cmpx_ne_u32_e32 0x7f, v61
	s_cbranch_execz .LBB6_3566
; %bb.3563:                             ;   in Loop: Header=BB6_128 Depth=2
	v_dual_mov_b32 v11, v55 :: v_dual_bitop2_b32 v10, 7, v60 bitop3:0x40
	v_lshrrev_b32_e32 v15, 3, v61
	s_mov_b32 s42, exec_lo
	v_cmpx_gt_u32_e32 8, v61
; %bb.3564:                             ;   in Loop: Header=BB6_128 Depth=2
	s_delay_alu instid0(VALU_DEP_3) | instskip(NEXT) | instid1(VALU_DEP_1)
	v_clz_i32_u32_e32 v15, v10
	v_min_u32_e32 v15, 32, v15
	s_delay_alu instid0(VALU_DEP_1) | instskip(NEXT) | instid1(VALU_DEP_1)
	v_subrev_nc_u32_e32 v61, 28, v15
	v_lshlrev_b64_e32 v[10:11], v61, v[10:11]
	s_delay_alu instid0(VALU_DEP_1)
	v_dual_sub_nc_u32 v15, 29, v15 :: v_dual_bitop2_b32 v10, 7, v10 bitop3:0x40
; %bb.3565:                             ;   in Loop: Header=BB6_128 Depth=2
	s_or_b32 exec_lo, exec_lo, s42
	s_delay_alu instid0(VALU_DEP_1) | instskip(NEXT) | instid1(VALU_DEP_2)
	v_dual_lshlrev_b32 v11, 24, v60 :: v_dual_lshlrev_b32 v10, 20, v10
	v_lshl_add_u32 v15, v15, 23, 0x3c000000
	s_delay_alu instid0(VALU_DEP_2) | instskip(NEXT) | instid1(VALU_DEP_1)
	v_and_b32_e32 v11, 0x80000000, v11
	v_or3_b32 v15, v10, v11, v15
.LBB6_3566:                             ;   in Loop: Header=BB6_128 Depth=2
	s_or_b32 exec_lo, exec_lo, s41
.LBB6_3567:                             ;   in Loop: Header=BB6_128 Depth=2
	s_delay_alu instid0(SALU_CYCLE_1)
	s_or_b32 exec_lo, exec_lo, s40
.LBB6_3568:                             ;   in Loop: Header=BB6_128 Depth=2
	s_delay_alu instid0(SALU_CYCLE_1) | instskip(SKIP_2) | instid1(VALU_DEP_1)
	s_or_b32 exec_lo, exec_lo, s10
	v_lshrrev_b32_e32 v10, 16, v13
	s_mov_b32 s10, exec_lo
	v_and_b32_e32 v11, 0xff, v10
	s_delay_alu instid0(VALU_DEP_1)
	v_cmpx_ne_u16_e32 0, v11
	s_cbranch_execz .LBB6_3576
; %bb.3569:                             ;   in Loop: Header=BB6_128 Depth=2
	v_bfrev_b32_e32 v14, 1
	s_mov_b32 s40, exec_lo
	v_cmpx_ne_u16_e32 0x80, v11
	s_cbranch_execz .LBB6_3575
; %bb.3570:                             ;   in Loop: Header=BB6_128 Depth=2
	v_bfe_u32 v60, v13, 16, 7
	v_mov_b32_e32 v14, 0x7f800001
	s_mov_b32 s41, exec_lo
	s_delay_alu instid0(VALU_DEP_2)
	v_cmpx_ne_u32_e32 0x7f, v60
	s_cbranch_execz .LBB6_3574
; %bb.3571:                             ;   in Loop: Header=BB6_128 Depth=2
	v_dual_mov_b32 v11, v55 :: v_dual_bitop2_b32 v10, 7, v10 bitop3:0x40
	v_lshrrev_b32_e32 v14, 3, v60
	s_mov_b32 s42, exec_lo
	v_cmpx_gt_u32_e32 8, v60
; %bb.3572:                             ;   in Loop: Header=BB6_128 Depth=2
	s_delay_alu instid0(VALU_DEP_3) | instskip(NEXT) | instid1(VALU_DEP_1)
	v_clz_i32_u32_e32 v14, v10
	v_min_u32_e32 v14, 32, v14
	s_delay_alu instid0(VALU_DEP_1) | instskip(SKIP_1) | instid1(VALU_DEP_2)
	v_subrev_nc_u32_e32 v60, 28, v14
	v_sub_nc_u32_e32 v14, 29, v14
	v_lshlrev_b64_e32 v[10:11], v60, v[10:11]
	s_delay_alu instid0(VALU_DEP_1)
	v_and_b32_e32 v10, 7, v10
; %bb.3573:                             ;   in Loop: Header=BB6_128 Depth=2
	s_or_b32 exec_lo, exec_lo, s42
	s_delay_alu instid0(VALU_DEP_1) | instskip(SKIP_1) | instid1(VALU_DEP_2)
	v_dual_lshlrev_b32 v11, 8, v13 :: v_dual_lshlrev_b32 v10, 20, v10
	v_lshl_add_u32 v14, v14, 23, 0x3c000000
	v_and_b32_e32 v11, 0x80000000, v11
	s_delay_alu instid0(VALU_DEP_1)
	v_or3_b32 v14, v10, v11, v14
.LBB6_3574:                             ;   in Loop: Header=BB6_128 Depth=2
	s_or_b32 exec_lo, exec_lo, s41
.LBB6_3575:                             ;   in Loop: Header=BB6_128 Depth=2
	s_delay_alu instid0(SALU_CYCLE_1)
	s_or_b32 exec_lo, exec_lo, s40
.LBB6_3576:                             ;   in Loop: Header=BB6_128 Depth=2
	s_delay_alu instid0(SALU_CYCLE_1) | instskip(NEXT) | instid1(VALU_DEP_1)
	s_or_b32 exec_lo, exec_lo, s10
	v_add_f32_e32 v10, v15, v14
	s_delay_alu instid0(VALU_DEP_1) | instskip(SKIP_1) | instid1(VALU_DEP_1)
	v_dual_mov_b32 v15, v55 :: v_dual_lshrrev_b32 v11, 24, v10
	v_and_b32_e32 v14, 0x7f800000, v10
	v_cmp_ne_u64_e32 vcc_lo, 0x7f800000, v[14:15]
                                        ; implicit-def: $vgpr14
	s_and_saveexec_b32 s10, vcc_lo
	s_delay_alu instid0(SALU_CYCLE_1)
	s_xor_b32 s40, exec_lo, s10
	s_cbranch_execz .LBB6_3590
; %bb.3577:                             ;   in Loop: Header=BB6_128 Depth=2
	v_and_b32_e32 v14, 0x7fffffff, v10
	v_mov_b32_e32 v15, v55
	v_and_b32_e32 v60, 0x80, v11
	s_delay_alu instid0(VALU_DEP_2) | instskip(SKIP_1) | instid1(SALU_CYCLE_1)
	v_cmp_gt_u64_e32 vcc_lo, 0x43e00001, v[14:15]
                                        ; implicit-def: $vgpr14
	s_and_saveexec_b32 s10, vcc_lo
	s_xor_b32 s41, exec_lo, s10
	s_cbranch_execz .LBB6_3587
; %bb.3578:                             ;   in Loop: Header=BB6_128 Depth=2
	v_mov_b32_e32 v14, 0
	s_mov_b32 s42, exec_lo
	v_cmpx_ne_u32_e32 0, v10
	s_cbranch_execz .LBB6_3586
; %bb.3579:                             ;   in Loop: Header=BB6_128 Depth=2
	v_bfe_u32 v61, v10, 23, 8
	v_and_b32_e32 v11, 0x7fffff, v10
	s_delay_alu instid0(VALU_DEP_2) | instskip(SKIP_2) | instid1(VALU_DEP_4)
	v_cmp_gt_u32_e64 s10, 0x7a, v61
	v_sub_nc_u32_e32 v10, 0x79, v61
	v_cmp_eq_u32_e32 vcc_lo, 0, v61
	v_or_b32_e32 v14, 0x800000, v11
	s_delay_alu instid0(VALU_DEP_3) | instskip(NEXT) | instid1(VALU_DEP_1)
	v_cndmask_b32_e64 v10, 0, v10, s10
	v_cndmask_b32_e64 v62, v10, 0x78, vcc_lo
	s_delay_alu instid0(VALU_DEP_3) | instskip(NEXT) | instid1(VALU_DEP_2)
	v_dual_cndmask_b32 v10, v14, v11 :: v_dual_mov_b32 v11, v55
	v_dual_add_nc_u32 v14, 20, v62 :: v_dual_add_nc_u32 v72, 19, v62
	s_delay_alu instid0(VALU_DEP_1) | instskip(NEXT) | instid1(VALU_DEP_2)
	v_lshlrev_b64_e64 v[14:15], v14, -1
	v_lshlrev_b64_e64 v[72:73], v72, 1
	s_delay_alu instid0(VALU_DEP_2) | instskip(SKIP_1) | instid1(VALU_DEP_4)
	v_bfi_b32 v14, v14, 0, v10
	v_lshrrev_b64 v[10:11], v62, v[10:11]
	v_bfi_b32 v15, v15, 0, 0
	s_delay_alu instid0(VALU_DEP_1) | instskip(NEXT) | instid1(VALU_DEP_3)
	v_cmp_eq_u64_e64 s10, v[14:15], v[72:73]
	v_mov_b64_e32 v[14:15], v[10:11]
	s_and_saveexec_b32 s43, s10
; %bb.3580:                             ;   in Loop: Header=BB6_128 Depth=2
	v_bfe_u32 v14, v10, 20, 1
	v_mov_b32_e32 v15, v55
	s_delay_alu instid0(VALU_DEP_1) | instskip(NEXT) | instid1(VALU_DEP_1)
	v_add_nc_u64_e32 v[14:15], v[10:11], v[14:15]
	v_add_nc_u64_e32 v[14:15], -1, v[14:15]
; %bb.3581:                             ;   in Loop: Header=BB6_128 Depth=2
	s_or_b32 exec_lo, exec_lo, s43
	v_add_nc_u32_e32 v11, 0xffffff81, v61
	v_lshrrev_b32_e32 v15, 23, v10
	s_mov_b32 s10, exec_lo
	s_delay_alu instid0(VALU_DEP_2) | instskip(NEXT) | instid1(VALU_DEP_1)
	v_cndmask_b32_e64 v11, v11, 0xffffff82, vcc_lo
	v_add3_u32 v61, v62, v11, v15
	v_and_b32_e32 v11, 0xfffff, v14
                                        ; implicit-def: $vgpr14
	s_delay_alu instid0(VALU_DEP_1) | instskip(SKIP_1) | instid1(VALU_DEP_2)
	v_dual_add_nc_u32 v15, 6, v61 :: v_dual_add_nc_u32 v10, v11, v10
	v_mov_b32_e32 v11, v55
	v_cmpx_ne_u32_e32 0, v15
	s_xor_b32 s10, exec_lo, s10
; %bb.3582:                             ;   in Loop: Header=BB6_128 Depth=2
	s_delay_alu instid0(VALU_DEP_2) | instskip(SKIP_1) | instid1(VALU_DEP_1)
	v_cmp_lt_u64_e32 vcc_lo, 0xffffff, v[10:11]
	v_add_nc_u32_e32 v14, 7, v61
	v_cndmask_b32_e32 v14, v15, v14, vcc_lo
	v_cndmask_b32_e64 v15, 0, 1, vcc_lo
	s_delay_alu instid0(VALU_DEP_1)
	v_lshrrev_b64 v[10:11], v15, v[10:11]
; %bb.3583:                             ;   in Loop: Header=BB6_128 Depth=2
	s_and_not1_saveexec_b32 s10, s10
; %bb.3584:                             ;   in Loop: Header=BB6_128 Depth=2
	s_delay_alu instid0(VALU_DEP_1)
	v_bfe_u32 v14, v10, 23, 1
; %bb.3585:                             ;   in Loop: Header=BB6_128 Depth=2
	s_or_b32 exec_lo, exec_lo, s10
	s_delay_alu instid0(VALU_DEP_2) | instskip(NEXT) | instid1(VALU_DEP_2)
	v_lshrrev_b64 v[10:11], 20, v[10:11]
	v_cmp_gt_i32_e32 vcc_lo, 16, v14
	v_min_i32_e32 v15, 15, v14
	v_cmp_eq_u32_e64 s10, 0, v14
	s_delay_alu instid0(VALU_DEP_4) | instskip(NEXT) | instid1(VALU_DEP_3)
	v_cndmask_b32_e32 v11, 0, v11, vcc_lo
	v_dual_cndmask_b32 v10, 7, v10 :: v_dual_lshlrev_b32 v15, 3, v15
	s_delay_alu instid0(VALU_DEP_1) | instskip(NEXT) | instid1(VALU_DEP_2)
	v_and_b32_e32 v15, 0xf8, v15
	v_cmp_eq_u64_e32 vcc_lo, 0, v[10:11]
	s_delay_alu instid0(VALU_DEP_2)
	v_and_or_b32 v10, v10, 7, v15
	s_and_b32 s10, s10, vcc_lo
	s_delay_alu instid0(VALU_DEP_1) | instid1(SALU_CYCLE_1)
	v_cndmask_b32_e64 v10, v10, 0, s10
	s_delay_alu instid0(VALU_DEP_1)
	v_or_b32_e32 v14, v10, v60
.LBB6_3586:                             ;   in Loop: Header=BB6_128 Depth=2
	s_or_b32 exec_lo, exec_lo, s42
                                        ; implicit-def: $vgpr60
.LBB6_3587:                             ;   in Loop: Header=BB6_128 Depth=2
	s_and_not1_saveexec_b32 s10, s41
; %bb.3588:                             ;   in Loop: Header=BB6_128 Depth=2
	v_or_b32_e32 v14, 0x7e, v60
; %bb.3589:                             ;   in Loop: Header=BB6_128 Depth=2
	s_or_b32 exec_lo, exec_lo, s10
                                        ; implicit-def: $vgpr11
.LBB6_3590:                             ;   in Loop: Header=BB6_128 Depth=2
	s_and_not1_saveexec_b32 s10, s40
; %bb.3591:                             ;   in Loop: Header=BB6_128 Depth=2
	v_or_b32_e32 v14, 0x7f, v11
; %bb.3592:                             ;   in Loop: Header=BB6_128 Depth=2
	s_or_b32 exec_lo, exec_lo, s10
	v_dual_mov_b32 v15, 0 :: v_dual_mov_b32 v60, 0
	s_mov_b32 s10, exec_lo
	v_cmpx_lt_u32_e32 0xffffff, v54
	s_cbranch_execz .LBB6_3600
; %bb.3593:                             ;   in Loop: Header=BB6_128 Depth=2
	v_lshrrev_b32_e32 v61, 24, v54
	v_bfrev_b32_e32 v60, 1
	s_mov_b32 s40, exec_lo
	s_delay_alu instid0(VALU_DEP_2)
	v_cmpx_ne_u32_e32 0x80, v61
	s_cbranch_execz .LBB6_3599
; %bb.3594:                             ;   in Loop: Header=BB6_128 Depth=2
	v_bfe_u32 v10, v54, 24, 7
	v_mov_b32_e32 v60, 0x7f800001
	s_mov_b32 s41, exec_lo
	s_delay_alu instid0(VALU_DEP_2)
	v_cmpx_ne_u32_e32 0x7f, v10
	s_cbranch_execz .LBB6_3598
; %bb.3595:                             ;   in Loop: Header=BB6_128 Depth=2
	v_dual_lshrrev_b32 v60, 3, v10 :: v_dual_bitop2_b32 v54, 7, v61 bitop3:0x40
	v_cmp_gt_u32_e32 vcc_lo, 8, v10
	s_delay_alu instid0(VALU_DEP_2)
	v_mov_b64_e32 v[10:11], v[54:55]
	s_and_saveexec_b32 s42, vcc_lo
; %bb.3596:                             ;   in Loop: Header=BB6_128 Depth=2
	v_clz_i32_u32_e32 v10, v54
	s_delay_alu instid0(VALU_DEP_1) | instskip(NEXT) | instid1(VALU_DEP_1)
	v_min_u32_e32 v60, 32, v10
	v_subrev_nc_u32_e32 v10, 28, v60
	s_delay_alu instid0(VALU_DEP_1) | instskip(NEXT) | instid1(VALU_DEP_1)
	v_lshlrev_b64_e32 v[10:11], v10, v[54:55]
	v_dual_sub_nc_u32 v60, 29, v60 :: v_dual_bitop2_b32 v10, 7, v10 bitop3:0x40
; %bb.3597:                             ;   in Loop: Header=BB6_128 Depth=2
	s_or_b32 exec_lo, exec_lo, s42
	s_delay_alu instid0(VALU_DEP_1) | instskip(NEXT) | instid1(VALU_DEP_2)
	v_dual_lshlrev_b32 v11, 24, v61 :: v_dual_lshlrev_b32 v10, 20, v10
	v_lshl_add_u32 v54, v60, 23, 0x3c000000
	s_delay_alu instid0(VALU_DEP_2) | instskip(NEXT) | instid1(VALU_DEP_1)
	v_and_b32_e32 v11, 0x80000000, v11
	v_or3_b32 v60, v10, v11, v54
.LBB6_3598:                             ;   in Loop: Header=BB6_128 Depth=2
	s_or_b32 exec_lo, exec_lo, s41
.LBB6_3599:                             ;   in Loop: Header=BB6_128 Depth=2
	s_delay_alu instid0(SALU_CYCLE_1)
	s_or_b32 exec_lo, exec_lo, s40
.LBB6_3600:                             ;   in Loop: Header=BB6_128 Depth=2
	s_delay_alu instid0(SALU_CYCLE_1) | instskip(NEXT) | instid1(SALU_CYCLE_1)
	s_or_b32 exec_lo, exec_lo, s10
	s_mov_b32 s10, exec_lo
	v_cmpx_lt_u64_e64 s[14:15], v[12:13]
	s_cbranch_execz .LBB6_3608
; %bb.3601:                             ;   in Loop: Header=BB6_128 Depth=2
	v_lshrrev_b32_e32 v12, 24, v13
	v_bfrev_b32_e32 v15, 1
	s_mov_b32 s40, exec_lo
	s_delay_alu instid0(VALU_DEP_2)
	v_cmpx_ne_u32_e32 0x80, v12
	s_cbranch_execz .LBB6_3607
; %bb.3602:                             ;   in Loop: Header=BB6_128 Depth=2
	v_bfe_u32 v10, v13, 24, 7
	v_mov_b32_e32 v15, 0x7f800001
	s_mov_b32 s41, exec_lo
	s_delay_alu instid0(VALU_DEP_2)
	v_cmpx_ne_u32_e32 0x7f, v10
	s_cbranch_execz .LBB6_3606
; %bb.3603:                             ;   in Loop: Header=BB6_128 Depth=2
	v_dual_lshrrev_b32 v13, 3, v10 :: v_dual_bitop2_b32 v54, 7, v12 bitop3:0x40
	v_cmp_gt_u32_e32 vcc_lo, 8, v10
	s_delay_alu instid0(VALU_DEP_2)
	v_mov_b64_e32 v[10:11], v[54:55]
	s_and_saveexec_b32 s42, vcc_lo
; %bb.3604:                             ;   in Loop: Header=BB6_128 Depth=2
	v_clz_i32_u32_e32 v10, v54
	s_delay_alu instid0(VALU_DEP_1) | instskip(NEXT) | instid1(VALU_DEP_1)
	v_min_u32_e32 v13, 32, v10
	v_subrev_nc_u32_e32 v10, 28, v13
	s_delay_alu instid0(VALU_DEP_1) | instskip(NEXT) | instid1(VALU_DEP_1)
	v_lshlrev_b64_e32 v[10:11], v10, v[54:55]
	v_dual_sub_nc_u32 v13, 29, v13 :: v_dual_bitop2_b32 v10, 7, v10 bitop3:0x40
; %bb.3605:                             ;   in Loop: Header=BB6_128 Depth=2
	s_or_b32 exec_lo, exec_lo, s42
	s_delay_alu instid0(VALU_DEP_1) | instskip(NEXT) | instid1(VALU_DEP_2)
	v_dual_lshlrev_b32 v11, 24, v12 :: v_dual_lshlrev_b32 v10, 20, v10
	v_lshl_add_u32 v12, v13, 23, 0x3c000000
	s_delay_alu instid0(VALU_DEP_2) | instskip(NEXT) | instid1(VALU_DEP_1)
	v_and_b32_e32 v11, 0x80000000, v11
	v_or3_b32 v15, v10, v11, v12
.LBB6_3606:                             ;   in Loop: Header=BB6_128 Depth=2
	s_or_b32 exec_lo, exec_lo, s41
.LBB6_3607:                             ;   in Loop: Header=BB6_128 Depth=2
	s_delay_alu instid0(SALU_CYCLE_1)
	s_or_b32 exec_lo, exec_lo, s40
.LBB6_3608:                             ;   in Loop: Header=BB6_128 Depth=2
	s_delay_alu instid0(SALU_CYCLE_1) | instskip(NEXT) | instid1(VALU_DEP_1)
	s_or_b32 exec_lo, exec_lo, s10
	v_add_f32_e32 v11, v60, v15
                                        ; implicit-def: $vgpr10
	s_mov_b32 s10, exec_lo
	s_delay_alu instid0(VALU_DEP_1) | instskip(SKIP_1) | instid1(VALU_DEP_2)
	v_and_b32_e32 v54, 0x7f800000, v11
	v_lshrrev_b32_e32 v12, 24, v11
	v_cmpx_ne_u64_e32 0x7f800000, v[54:55]
	s_xor_b32 s40, exec_lo, s10
	s_cbranch_execz .LBB6_3622
; %bb.3609:                             ;   in Loop: Header=BB6_128 Depth=2
	v_and_b32_e32 v54, 0x7fffffff, v11
	v_and_b32_e32 v15, 0x80, v12
                                        ; implicit-def: $vgpr10
	s_mov_b32 s10, exec_lo
	s_delay_alu instid0(VALU_DEP_2)
	v_cmpx_gt_u64_e32 0x43e00001, v[54:55]
	s_xor_b32 s41, exec_lo, s10
	s_cbranch_execz .LBB6_3619
; %bb.3610:                             ;   in Loop: Header=BB6_128 Depth=2
	v_mov_b32_e32 v10, 0
	s_mov_b32 s42, exec_lo
	v_cmpx_ne_u32_e32 0, v11
	s_cbranch_execz .LBB6_3618
; %bb.3611:                             ;   in Loop: Header=BB6_128 Depth=2
	v_and_b32_e32 v10, 0x7fffff, v11
	v_bfe_u32 v60, v11, 23, 8
	s_delay_alu instid0(VALU_DEP_2) | instskip(NEXT) | instid1(VALU_DEP_2)
	v_or_b32_e32 v12, 0x800000, v10
	v_cmp_eq_u32_e32 vcc_lo, 0, v60
	v_cmp_gt_u32_e64 s10, 0x7a, v60
	s_delay_alu instid0(VALU_DEP_3) | instskip(NEXT) | instid1(VALU_DEP_1)
	v_dual_cndmask_b32 v54, v12, v10 :: v_dual_sub_nc_u32 v11, 0x79, v60
	v_cndmask_b32_e64 v11, 0, v11, s10
	s_delay_alu instid0(VALU_DEP_1) | instskip(NEXT) | instid1(VALU_DEP_1)
	v_cndmask_b32_e64 v61, v11, 0x78, vcc_lo
	v_dual_add_nc_u32 v10, 20, v61 :: v_dual_add_nc_u32 v12, 19, v61
	s_delay_alu instid0(VALU_DEP_1) | instskip(NEXT) | instid1(VALU_DEP_2)
	v_lshlrev_b64_e64 v[10:11], v10, -1
	v_lshlrev_b64_e64 v[12:13], v12, 1
	s_delay_alu instid0(VALU_DEP_2) | instskip(NEXT) | instid1(VALU_DEP_3)
	v_bfi_b32 v11, v11, 0, 0
	v_bfi_b32 v10, v10, 0, v54
	s_delay_alu instid0(VALU_DEP_1) | instskip(SKIP_1) | instid1(VALU_DEP_1)
	v_cmp_eq_u64_e64 s10, v[10:11], v[12:13]
	v_lshrrev_b64 v[10:11], v61, v[54:55]
	v_mov_b64_e32 v[12:13], v[10:11]
	s_and_saveexec_b32 s43, s10
; %bb.3612:                             ;   in Loop: Header=BB6_128 Depth=2
	v_bfe_u32 v54, v10, 20, 1
	s_delay_alu instid0(VALU_DEP_1) | instskip(NEXT) | instid1(VALU_DEP_1)
	v_add_nc_u64_e32 v[12:13], v[10:11], v[54:55]
	v_add_nc_u64_e32 v[12:13], -1, v[12:13]
; %bb.3613:                             ;   in Loop: Header=BB6_128 Depth=2
	s_or_b32 exec_lo, exec_lo, s43
	v_add_nc_u32_e32 v11, 0xffffff81, v60
	v_lshrrev_b32_e32 v13, 23, v10
	s_mov_b32 s10, exec_lo
	s_delay_alu instid0(VALU_DEP_2) | instskip(NEXT) | instid1(VALU_DEP_1)
	v_cndmask_b32_e64 v11, v11, 0xffffff82, vcc_lo
	v_add3_u32 v60, v61, v11, v13
	v_and_b32_e32 v11, 0xfffff, v12
                                        ; implicit-def: $vgpr12
	s_delay_alu instid0(VALU_DEP_1) | instskip(NEXT) | instid1(VALU_DEP_1)
	v_dual_add_nc_u32 v13, 6, v60 :: v_dual_add_nc_u32 v54, v11, v10
                                        ; implicit-def: $vgpr10_vgpr11
	v_cmpx_ne_u32_e32 0, v13
	s_xor_b32 s10, exec_lo, s10
; %bb.3614:                             ;   in Loop: Header=BB6_128 Depth=2
	s_delay_alu instid0(VALU_DEP_2) | instskip(SKIP_1) | instid1(VALU_DEP_1)
	v_cmp_lt_u64_e32 vcc_lo, 0xffffff, v[54:55]
	v_add_nc_u32_e32 v10, 7, v60
	v_cndmask_b32_e32 v12, v13, v10, vcc_lo
	v_cndmask_b32_e64 v10, 0, 1, vcc_lo
	s_delay_alu instid0(VALU_DEP_1)
	v_lshrrev_b64 v[10:11], v10, v[54:55]
; %bb.3615:                             ;   in Loop: Header=BB6_128 Depth=2
	s_and_not1_saveexec_b32 s10, s10
; %bb.3616:                             ;   in Loop: Header=BB6_128 Depth=2
	v_mov_b64_e32 v[10:11], v[54:55]
	v_bfe_u32 v12, v54, 23, 1
; %bb.3617:                             ;   in Loop: Header=BB6_128 Depth=2
	s_or_b32 exec_lo, exec_lo, s10
	s_delay_alu instid0(VALU_DEP_2) | instskip(NEXT) | instid1(VALU_DEP_2)
	v_lshrrev_b64 v[10:11], 20, v[10:11]
	v_cmp_gt_i32_e32 vcc_lo, 16, v12
	v_min_i32_e32 v13, 15, v12
	v_cmp_eq_u32_e64 s10, 0, v12
	s_delay_alu instid0(VALU_DEP_2) | instskip(SKIP_1) | instid1(VALU_DEP_2)
	v_dual_cndmask_b32 v11, 0, v11, vcc_lo :: v_dual_lshlrev_b32 v13, 3, v13
	v_cndmask_b32_e32 v10, 7, v10, vcc_lo
	v_and_b32_e32 v13, 0xf8, v13
	s_delay_alu instid0(VALU_DEP_2) | instskip(NEXT) | instid1(VALU_DEP_2)
	v_cmp_eq_u64_e32 vcc_lo, 0, v[10:11]
	v_and_or_b32 v10, v10, 7, v13
	s_and_b32 s10, s10, vcc_lo
	s_delay_alu instid0(VALU_DEP_1) | instid1(SALU_CYCLE_1)
	v_cndmask_b32_e64 v10, v10, 0, s10
	s_delay_alu instid0(VALU_DEP_1)
	v_or_b32_e32 v10, v10, v15
.LBB6_3618:                             ;   in Loop: Header=BB6_128 Depth=2
	s_or_b32 exec_lo, exec_lo, s42
                                        ; implicit-def: $vgpr15
.LBB6_3619:                             ;   in Loop: Header=BB6_128 Depth=2
	s_and_not1_saveexec_b32 s10, s41
; %bb.3620:                             ;   in Loop: Header=BB6_128 Depth=2
	v_or_b32_e32 v10, 0x7e, v15
; %bb.3621:                             ;   in Loop: Header=BB6_128 Depth=2
	s_or_b32 exec_lo, exec_lo, s10
                                        ; implicit-def: $vgpr12
.LBB6_3622:                             ;   in Loop: Header=BB6_128 Depth=2
	s_and_not1_saveexec_b32 s10, s40
	s_cbranch_execz .LBB6_127
; %bb.3623:                             ;   in Loop: Header=BB6_128 Depth=2
	v_or_b32_e32 v10, 0x7f, v12
	s_branch .LBB6_127
.LBB6_3624:                             ;   in Loop: Header=BB6_49 Depth=1
	s_or_b32 exec_lo, exec_lo, s27
	scratch_load_b64 v[52:53], off, s33 offset:216 ; 8-byte Folded Reload
.LBB6_3625:                             ;   in Loop: Header=BB6_49 Depth=1
	s_wait_xcnt 0x0
	s_or_b32 exec_lo, exec_lo, s11
	v_and_b32_e32 v4, 0x3ffff800, v87
	v_mov_b32_e32 v2, 0
	s_mov_b32 s10, 0
	s_mov_b32 s27, exec_lo
                                        ; implicit-def: $vgpr3
                                        ; implicit-def: $vgpr20
	s_delay_alu instid0(VALU_DEP_2)
	v_cmpx_ne_u32_e64 v87, v4
	s_cbranch_execz .LBB6_4511
; %bb.3626:                             ;   in Loop: Header=BB6_49 Depth=1
	scratch_load_b32 v1, off, s33 offset:224 ; 4-byte Folded Reload
	v_lshlrev_b32_e32 v0, 5, v97
	v_bfe_u32 v7, v87, 9, 2
	v_and_b32_e32 v6, 0x7ff, v87
	s_mov_b32 s28, exec_lo
	s_wait_loadcnt 0x0
	v_sub_nc_u32_e32 v0, v1, v0
	s_delay_alu instid0(VALU_DEP_1) | instskip(NEXT) | instid1(VALU_DEP_1)
	v_ashrrev_i32_e32 v1, 31, v0
	v_lshrrev_b32_e32 v1, 27, v1
	s_delay_alu instid0(VALU_DEP_1) | instskip(NEXT) | instid1(VALU_DEP_1)
	v_add_nc_u32_e32 v1, v0, v1
	v_and_b32_e32 v2, 0xffffffe0, v1
	s_delay_alu instid0(VALU_DEP_1) | instskip(NEXT) | instid1(VALU_DEP_1)
	v_sub_nc_u32_e32 v0, v0, v2
	v_dual_lshlrev_b32 v3, 4, v0 :: v_dual_ashrrev_i32 v2, 5, v1
	v_and_b32_e32 v1, 0x1ff, v87
	s_delay_alu instid0(VALU_DEP_2) | instskip(NEXT) | instid1(VALU_DEP_2)
	v_lshl_add_u32 v5, v2, 9, v3
	v_cmp_lt_u32_e64 s10, 15, v1
	s_delay_alu instid0(VALU_DEP_2) | instskip(NEXT) | instid1(VALU_DEP_2)
	v_sub_nc_u32_e32 v3, v6, v5
	v_add_co_ci_u32_e64 v7, null, 0, v7, s10
	s_delay_alu instid0(VALU_DEP_1) | instskip(SKIP_1) | instid1(VALU_DEP_3)
	v_sub_nc_u32_e32 v2, v7, v2
	s_wait_xcnt 0x0
	v_cmpx_lt_i32_e32 15, v3
	s_cbranch_execz .LBB6_4510
; %bb.3627:                             ;   in Loop: Header=BB6_49 Depth=1
	s_trap 2
	ds_load_b64 v[6:7], v0
	v_add_nc_u32_e32 v4, v5, v4
	s_delay_alu instid0(VALU_DEP_1) | instskip(NEXT) | instid1(VALU_DEP_1)
	v_ashrrev_i32_e32 v5, 31, v4
	v_add_nc_u64_e32 v[14:15], v[4:5], v[98:99]
	v_add_nc_u64_e32 v[16:17], v[4:5], v[52:53]
	s_wait_dscnt 0x0
	v_readfirstlane_b32 s42, v6
	v_readfirstlane_b32 s43, v7
	v_add_nc_u64_e32 v[18:19], v[6:7], v[4:5]
	s_and_b32 s11, s42, 7
	s_and_b32 s12, s42, 0x7f
	s_clz_i32_u32 s11, s11
	s_bfe_u32 s29, s42, 0x40003
	s_min_u32 s11, s11, 32
	s_delay_alu instid0(SALU_CYCLE_1)
	s_sub_co_i32 s40, s11, 28
	s_sub_co_i32 s11, 29, s11
	s_cmp_lt_u32 s12, 8
	s_cselect_b32 s11, s11, s29
	s_cselect_b32 s29, s40, 0
	s_lshl_b32 s44, s42, 24
	s_lshl_b64 s[40:41], s[42:43], s29
	s_and_b32 s29, s44, 0x80000000
	s_lshl_b32 s40, s40, 20
	s_lshl_b32 s11, s11, 23
	s_and_b32 s40, s40, 0x700000
	s_add_co_i32 s11, s11, 0x3c000000
	s_or_b32 s29, s40, s29
	s_delay_alu instid0(SALU_CYCLE_1)
	s_or_b32 s11, s11, s29
	s_cmp_lg_u32 s12, 0x7f
	s_mov_b32 s29, 0
	s_cselect_b32 s40, s11, 0x7f800001
	s_and_b32 s41, s42, 0xff
	s_branch .LBB6_3629
.LBB6_3628:                             ;   in Loop: Header=BB6_3629 Depth=2
	s_or_b32 exec_lo, exec_lo, s11
	v_lshl_or_b32 v11, v25, 8, v24
	v_dual_lshlrev_b32 v12, 16, v34 :: v_dual_lshlrev_b32 v13, 24, v35
	v_lshl_or_b32 v4, v6, 8, v4
	v_dual_lshlrev_b32 v6, 16, v9 :: v_dual_lshlrev_b32 v9, 24, v28
	;; [unrolled: 2-line block ×3, first 2 shown]
	v_dual_lshlrev_b32 v10, 24, v10 :: v_dual_lshlrev_b32 v20, 16, v20
	v_lshl_or_b32 v7, v7, 8, v5
	v_or3_b32 v5, v11, v12, v13
	v_or3_b32 v4, v4, v6, v9
	;; [unrolled: 1-line block ×3, first 2 shown]
	v_dual_sub_nc_u32 v3, v3, v70 :: v_dual_sub_nc_u32 v2, v2, v64
	v_or3_b32 v7, v7, v20, v10
	v_add_nc_u64_e32 v[14:15], v[14:15], v[70:71]
	v_add_nc_u64_e32 v[18:19], v[18:19], v[70:71]
	s_delay_alu instid0(VALU_DEP_4) | instskip(SKIP_4) | instid1(SALU_CYCLE_1)
	v_cmp_gt_i32_e32 vcc_lo, 16, v3
	global_store_b128 v[16:17], v[4:7], off th:TH_STORE_NT
	s_wait_xcnt 0x0
	v_add_nc_u64_e32 v[16:17], v[16:17], v[70:71]
	s_or_b32 s29, vcc_lo, s29
	s_and_not1_b32 exec_lo, exec_lo, s29
	s_cbranch_execz .LBB6_4509
.LBB6_3629:                             ;   Parent Loop BB6_49 Depth=1
                                        ; =>  This Inner Loop Header: Depth=2
	s_cmp_lt_i32 s41, 0x80
	s_cbranch_scc1 .LBB6_3633
; %bb.3630:                             ;   in Loop: Header=BB6_3629 Depth=2
	s_and_b32 s11, 0xffff, s41
	s_delay_alu instid0(SALU_CYCLE_1)
	s_cmp_eq_u32 s11, 0x80
	s_mov_b32 s11, -1
	s_cbranch_scc0 .LBB6_3632
; %bb.3631:                             ;   in Loop: Header=BB6_3629 Depth=2
	s_mov_b32 s11, 0
.LBB6_3632:                             ;   in Loop: Header=BB6_3629 Depth=2
	s_brev_b32 s12, 1
	s_branch .LBB6_3635
.LBB6_3633:                             ;   in Loop: Header=BB6_3629 Depth=2
	s_mov_b32 s11, 0
	s_brev_b32 s12, 1
	s_cbranch_execz .LBB6_3635
; %bb.3634:                             ;   in Loop: Header=BB6_3629 Depth=2
	s_and_b32 s11, 0xffff, s41
	s_mov_b32 s12, 0
	s_cmp_lg_u32 s11, 0
	s_cselect_b32 s11, -1, 0
.LBB6_3635:                             ;   in Loop: Header=BB6_3629 Depth=2
	s_delay_alu instid0(SALU_CYCLE_1)
	s_and_not1_b32 vcc_lo, exec_lo, s11
	s_cbranch_vccnz .LBB6_3637
; %bb.3636:                             ;   in Loop: Header=BB6_3629 Depth=2
	s_mov_b32 s12, s40
.LBB6_3637:                             ;   in Loop: Header=BB6_3629 Depth=2
	global_load_b128 v[10:13], v[14:15], off th:TH_LOAD_NT
	v_mov_b32_e32 v4, 0
	s_mov_b32 s11, exec_lo
	s_wait_loadcnt 0x0
	v_and_b32_e32 v5, 0xff, v10
	s_wait_xcnt 0x0
	s_delay_alu instid0(VALU_DEP_1)
	v_cmpx_ne_u16_e32 0, v5
	s_cbranch_execz .LBB6_3643
; %bb.3638:                             ;   in Loop: Header=BB6_3629 Depth=2
	v_bfrev_b32_e32 v4, 1
	s_mov_b32 s42, exec_lo
	v_cmpx_ne_u16_e32 0x80, v5
	s_cbranch_execz .LBB6_3642
; %bb.3639:                             ;   in Loop: Header=BB6_3629 Depth=2
	v_and_b32_e32 v5, 0x7f, v10
	v_mov_b32_e32 v4, 0x7f800001
	s_mov_b32 s43, exec_lo
	s_delay_alu instid0(VALU_DEP_2)
	v_cmpx_ne_u32_e32 0x7f, v5
	s_cbranch_execz .LBB6_3641
; %bb.3640:                             ;   in Loop: Header=BB6_3629 Depth=2
	v_dual_lshrrev_b32 v6, 3, v5 :: v_dual_bitop2_b32 v4, 7, v10 bitop3:0x40
	v_cmp_gt_u32_e32 vcc_lo, 8, v5
	s_delay_alu instid0(VALU_DEP_2) | instskip(NEXT) | instid1(VALU_DEP_1)
	v_clz_i32_u32_e32 v4, v4
	v_min_u32_e32 v4, 32, v4
	s_delay_alu instid0(VALU_DEP_1) | instskip(SKIP_1) | instid1(VALU_DEP_1)
	v_subrev_nc_u32_e32 v7, 28, v4
	v_sub_nc_u32_e32 v4, 29, v4
	v_dual_cndmask_b32 v6, v6, v4, vcc_lo :: v_dual_cndmask_b32 v4, 0, v7, vcc_lo
	s_delay_alu instid0(VALU_DEP_1) | instskip(NEXT) | instid1(VALU_DEP_2)
	v_lshl_add_u32 v6, v6, 23, 0x3c000000
	v_lshlrev_b64_e32 v[4:5], v4, v[10:11]
	v_lshlrev_b32_e32 v5, 24, v10
	s_delay_alu instid0(VALU_DEP_1) | instskip(NEXT) | instid1(VALU_DEP_3)
	v_and_b32_e32 v5, 0x80000000, v5
	v_lshlrev_b32_e32 v4, 20, v4
	s_delay_alu instid0(VALU_DEP_1) | instskip(NEXT) | instid1(VALU_DEP_1)
	v_and_b32_e32 v4, 0x700000, v4
	v_or3_b32 v4, v4, v5, v6
.LBB6_3641:                             ;   in Loop: Header=BB6_3629 Depth=2
	s_or_b32 exec_lo, exec_lo, s43
.LBB6_3642:                             ;   in Loop: Header=BB6_3629 Depth=2
	s_delay_alu instid0(SALU_CYCLE_1)
	s_or_b32 exec_lo, exec_lo, s42
.LBB6_3643:                             ;   in Loop: Header=BB6_3629 Depth=2
	s_delay_alu instid0(SALU_CYCLE_1) | instskip(NEXT) | instid1(VALU_DEP_1)
	s_or_b32 exec_lo, exec_lo, s11
	v_mul_f32_e32 v6, s12, v4
                                        ; implicit-def: $vgpr4
	s_mov_b32 s11, exec_lo
	s_delay_alu instid0(VALU_DEP_1) | instskip(SKIP_1) | instid1(VALU_DEP_2)
	v_and_b32_e32 v54, 0x7f800000, v6
	v_lshrrev_b32_e32 v5, 24, v6
	v_cmpx_ne_u64_e32 0x7f800000, v[54:55]
	s_xor_b32 s42, exec_lo, s11
	s_cbranch_execz .LBB6_3657
; %bb.3644:                             ;   in Loop: Header=BB6_3629 Depth=2
	v_and_b32_e32 v54, 0x7fffffff, v6
	v_and_b32_e32 v5, 0x80, v5
                                        ; implicit-def: $vgpr4
	s_mov_b32 s11, exec_lo
	s_delay_alu instid0(VALU_DEP_2)
	v_cmpx_gt_u64_e32 0x43e00001, v[54:55]
	s_xor_b32 s43, exec_lo, s11
	s_cbranch_execz .LBB6_3654
; %bb.3645:                             ;   in Loop: Header=BB6_3629 Depth=2
	v_mov_b32_e32 v4, 0
	s_mov_b32 s44, exec_lo
	v_cmpx_ne_u32_e32 0, v6
	s_cbranch_execz .LBB6_3653
; %bb.3646:                             ;   in Loop: Header=BB6_3629 Depth=2
	v_bfe_u32 v4, v6, 23, 8
	v_and_b32_e32 v6, 0x7fffff, v6
	s_delay_alu instid0(VALU_DEP_2) | instskip(NEXT) | instid1(VALU_DEP_2)
	v_cmp_gt_u32_e32 vcc_lo, 0x7a, v4
	v_or_b32_e32 v20, 0x800000, v6
	v_sub_nc_u32_e32 v7, 0x79, v4
	s_delay_alu instid0(VALU_DEP_1) | instskip(SKIP_1) | instid1(VALU_DEP_2)
	v_cndmask_b32_e32 v7, 0, v7, vcc_lo
	v_cmp_eq_u32_e32 vcc_lo, 0, v4
	v_cndmask_b32_e64 v7, v7, 0x78, vcc_lo
	s_delay_alu instid0(VALU_DEP_1) | instskip(SKIP_1) | instid1(VALU_DEP_2)
	v_dual_cndmask_b32 v54, v20, v6, vcc_lo :: v_dual_add_nc_u32 v8, 20, v7
	v_add_nc_u32_e32 v21, 19, v7
	v_lshlrev_b64_e64 v[8:9], v8, -1
	s_delay_alu instid0(VALU_DEP_2) | instskip(NEXT) | instid1(VALU_DEP_4)
	v_lshlrev_b64_e64 v[22:23], v21, 1
	v_lshrrev_b64 v[20:21], v7, v[54:55]
	s_delay_alu instid0(VALU_DEP_3) | instskip(NEXT) | instid1(VALU_DEP_4)
	v_bfi_b32 v9, v9, 0, 0
	v_bfi_b32 v8, v8, 0, v54
	s_delay_alu instid0(VALU_DEP_1) | instskip(NEXT) | instid1(VALU_DEP_4)
	v_cmp_eq_u64_e64 s11, v[8:9], v[22:23]
	v_mov_b64_e32 v[22:23], v[20:21]
	s_and_saveexec_b32 s45, s11
; %bb.3647:                             ;   in Loop: Header=BB6_3629 Depth=2
	v_bfe_u32 v54, v20, 20, 1
	s_delay_alu instid0(VALU_DEP_1) | instskip(NEXT) | instid1(VALU_DEP_1)
	v_add_nc_u64_e32 v[8:9], v[20:21], v[54:55]
	v_add_nc_u64_e32 v[22:23], -1, v[8:9]
; %bb.3648:                             ;   in Loop: Header=BB6_3629 Depth=2
	s_or_b32 exec_lo, exec_lo, s45
	v_add_nc_u32_e32 v4, 0xffffff81, v4
	v_lshrrev_b32_e32 v6, 23, v20
	s_mov_b32 s11, exec_lo
	s_delay_alu instid0(VALU_DEP_2) | instskip(NEXT) | instid1(VALU_DEP_1)
	v_cndmask_b32_e64 v4, v4, 0xffffff82, vcc_lo
	v_add3_u32 v6, v7, v4, v6
	v_and_b32_e32 v4, 0xfffff, v22
	s_delay_alu instid0(VALU_DEP_1) | instskip(NEXT) | instid1(VALU_DEP_1)
	v_dual_add_nc_u32 v7, 6, v6 :: v_dual_add_nc_u32 v54, v4, v20
                                        ; implicit-def: $vgpr20_vgpr21
                                        ; implicit-def: $vgpr4
	v_cmpx_ne_u32_e32 0, v7
	s_xor_b32 s11, exec_lo, s11
; %bb.3649:                             ;   in Loop: Header=BB6_3629 Depth=2
	s_delay_alu instid0(VALU_DEP_2) | instskip(SKIP_2) | instid1(VALU_DEP_2)
	v_cmp_lt_u64_e32 vcc_lo, 0xffffff, v[54:55]
	v_add_nc_u32_e32 v4, 7, v6
	v_cndmask_b32_e64 v6, 0, 1, vcc_lo
	v_cndmask_b32_e32 v4, v7, v4, vcc_lo
	s_delay_alu instid0(VALU_DEP_2)
	v_lshrrev_b64 v[20:21], v6, v[54:55]
; %bb.3650:                             ;   in Loop: Header=BB6_3629 Depth=2
	s_and_not1_saveexec_b32 s11, s11
; %bb.3651:                             ;   in Loop: Header=BB6_3629 Depth=2
	v_mov_b64_e32 v[20:21], v[54:55]
	v_bfe_u32 v4, v54, 23, 1
; %bb.3652:                             ;   in Loop: Header=BB6_3629 Depth=2
	s_or_b32 exec_lo, exec_lo, s11
	s_delay_alu instid0(VALU_DEP_2) | instskip(NEXT) | instid1(VALU_DEP_2)
	v_lshrrev_b64 v[6:7], 20, v[20:21]
	v_cmp_gt_i32_e32 vcc_lo, 16, v4
	v_min_i32_e32 v8, 15, v4
	v_cmp_eq_u32_e64 s11, 0, v4
	s_delay_alu instid0(VALU_DEP_2) | instskip(SKIP_1) | instid1(VALU_DEP_2)
	v_dual_cndmask_b32 v7, 0, v7 :: v_dual_lshlrev_b32 v8, 3, v8
	v_cndmask_b32_e32 v6, 7, v6, vcc_lo
	v_and_b32_e32 v8, 0xf8, v8
	s_delay_alu instid0(VALU_DEP_2) | instskip(NEXT) | instid1(VALU_DEP_2)
	v_cmp_eq_u64_e32 vcc_lo, 0, v[6:7]
	v_and_or_b32 v4, v6, 7, v8
	s_and_b32 s11, s11, vcc_lo
	s_delay_alu instid0(VALU_DEP_1) | instid1(SALU_CYCLE_1)
	v_cndmask_b32_e64 v4, v4, 0, s11
	s_delay_alu instid0(VALU_DEP_1)
	v_or_b32_e32 v4, v4, v5
.LBB6_3653:                             ;   in Loop: Header=BB6_3629 Depth=2
	s_or_b32 exec_lo, exec_lo, s44
                                        ; implicit-def: $vgpr5
.LBB6_3654:                             ;   in Loop: Header=BB6_3629 Depth=2
	s_and_not1_saveexec_b32 s11, s43
; %bb.3655:                             ;   in Loop: Header=BB6_3629 Depth=2
	v_or_b32_e32 v4, 0x7e, v5
; %bb.3656:                             ;   in Loop: Header=BB6_3629 Depth=2
	s_or_b32 exec_lo, exec_lo, s11
                                        ; implicit-def: $vgpr5
.LBB6_3657:                             ;   in Loop: Header=BB6_3629 Depth=2
	s_and_not1_saveexec_b32 s11, s42
; %bb.3658:                             ;   in Loop: Header=BB6_3629 Depth=2
	v_or_b32_e32 v4, 0x7f, v5
; %bb.3659:                             ;   in Loop: Header=BB6_3629 Depth=2
	s_or_b32 exec_lo, exec_lo, s11
	v_lshrrev_b16 v6, 8, v10
	v_mov_b32_e32 v5, 0
	s_mov_b32 s11, exec_lo
	s_delay_alu instid0(VALU_DEP_2)
	v_cmpx_ne_u16_e32 0, v6
	s_cbranch_execz .LBB6_3667
; %bb.3660:                             ;   in Loop: Header=BB6_3629 Depth=2
	v_bfrev_b32_e32 v5, 1
	s_mov_b32 s42, exec_lo
	v_cmpx_ne_u16_e32 0x80, v6
	s_cbranch_execz .LBB6_3666
; %bb.3661:                             ;   in Loop: Header=BB6_3629 Depth=2
	v_and_b32_e32 v7, 0xffff, v6
	v_mov_b32_e32 v5, 0x7f800001
	s_mov_b32 s43, exec_lo
	s_delay_alu instid0(VALU_DEP_2) | instskip(NEXT) | instid1(VALU_DEP_1)
	v_and_b32_e32 v6, 0x7f, v7
	v_cmpx_ne_u32_e32 0x7f, v6
	s_cbranch_execz .LBB6_3665
; %bb.3662:                             ;   in Loop: Header=BB6_3629 Depth=2
	v_dual_lshrrev_b32 v5, 3, v6 :: v_dual_bitop2_b32 v54, 7, v7 bitop3:0x40
	s_mov_b32 s44, exec_lo
	s_delay_alu instid0(VALU_DEP_1)
	v_mov_b64_e32 v[20:21], v[54:55]
	v_cmpx_gt_u32_e32 8, v6
; %bb.3663:                             ;   in Loop: Header=BB6_3629 Depth=2
	v_clz_i32_u32_e32 v5, v54
	s_delay_alu instid0(VALU_DEP_1) | instskip(NEXT) | instid1(VALU_DEP_1)
	v_min_u32_e32 v5, 32, v5
	v_subrev_nc_u32_e32 v6, 28, v5
	s_delay_alu instid0(VALU_DEP_1) | instskip(NEXT) | instid1(VALU_DEP_1)
	v_lshlrev_b64_e32 v[6:7], v6, v[54:55]
	v_dual_sub_nc_u32 v5, 29, v5 :: v_dual_bitop2_b32 v20, 7, v6 bitop3:0x40
; %bb.3664:                             ;   in Loop: Header=BB6_3629 Depth=2
	s_or_b32 exec_lo, exec_lo, s44
	s_delay_alu instid0(VALU_DEP_1) | instskip(NEXT) | instid1(VALU_DEP_2)
	v_dual_lshlrev_b32 v6, 16, v10 :: v_dual_lshlrev_b32 v7, 20, v20
	v_lshl_add_u32 v5, v5, 23, 0x3c000000
	s_delay_alu instid0(VALU_DEP_2) | instskip(NEXT) | instid1(VALU_DEP_1)
	v_and_b32_e32 v6, 0x80000000, v6
	v_or3_b32 v5, v7, v6, v5
.LBB6_3665:                             ;   in Loop: Header=BB6_3629 Depth=2
	s_or_b32 exec_lo, exec_lo, s43
.LBB6_3666:                             ;   in Loop: Header=BB6_3629 Depth=2
	s_delay_alu instid0(SALU_CYCLE_1)
	s_or_b32 exec_lo, exec_lo, s42
.LBB6_3667:                             ;   in Loop: Header=BB6_3629 Depth=2
	s_delay_alu instid0(SALU_CYCLE_1) | instskip(NEXT) | instid1(VALU_DEP_1)
	s_or_b32 exec_lo, exec_lo, s11
	v_mul_f32_e32 v7, s12, v5
                                        ; implicit-def: $vgpr6
	s_mov_b32 s11, exec_lo
	s_delay_alu instid0(VALU_DEP_1) | instskip(SKIP_1) | instid1(VALU_DEP_2)
	v_and_b32_e32 v54, 0x7f800000, v7
	v_lshrrev_b32_e32 v5, 24, v7
	v_cmpx_ne_u64_e32 0x7f800000, v[54:55]
	s_xor_b32 s42, exec_lo, s11
	s_cbranch_execz .LBB6_3681
; %bb.3668:                             ;   in Loop: Header=BB6_3629 Depth=2
	v_and_b32_e32 v54, 0x7fffffff, v7
	v_and_b32_e32 v5, 0x80, v5
                                        ; implicit-def: $vgpr6
	s_mov_b32 s11, exec_lo
	s_delay_alu instid0(VALU_DEP_2)
	v_cmpx_gt_u64_e32 0x43e00001, v[54:55]
	s_xor_b32 s43, exec_lo, s11
	s_cbranch_execz .LBB6_3678
; %bb.3669:                             ;   in Loop: Header=BB6_3629 Depth=2
	v_mov_b32_e32 v6, 0
	s_mov_b32 s44, exec_lo
	v_cmpx_ne_u32_e32 0, v7
	s_cbranch_execz .LBB6_3677
; %bb.3670:                             ;   in Loop: Header=BB6_3629 Depth=2
	v_bfe_u32 v6, v7, 23, 8
	v_and_b32_e32 v7, 0x7fffff, v7
	s_delay_alu instid0(VALU_DEP_2) | instskip(SKIP_1) | instid1(VALU_DEP_3)
	v_sub_nc_u32_e32 v8, 0x79, v6
	v_cmp_gt_u32_e32 vcc_lo, 0x7a, v6
	v_or_b32_e32 v22, 0x800000, v7
	s_delay_alu instid0(VALU_DEP_3) | instskip(SKIP_1) | instid1(VALU_DEP_3)
	v_cndmask_b32_e32 v8, 0, v8, vcc_lo
	v_cmp_eq_u32_e32 vcc_lo, 0, v6
	v_cndmask_b32_e32 v54, v22, v7, vcc_lo
	s_delay_alu instid0(VALU_DEP_3) | instskip(NEXT) | instid1(VALU_DEP_1)
	v_cndmask_b32_e64 v8, v8, 0x78, vcc_lo
	v_add_nc_u32_e32 v9, 20, v8
	s_delay_alu instid0(VALU_DEP_1) | instskip(SKIP_1) | instid1(VALU_DEP_1)
	v_lshlrev_b64_e64 v[20:21], v9, -1
	v_add_nc_u32_e32 v9, 19, v8
	v_lshlrev_b64_e64 v[22:23], v9, 1
	s_delay_alu instid0(VALU_DEP_3) | instskip(NEXT) | instid1(VALU_DEP_4)
	v_bfi_b32 v25, v21, 0, 0
	v_bfi_b32 v24, v20, 0, v54
	v_lshrrev_b64 v[20:21], v8, v[54:55]
	s_delay_alu instid0(VALU_DEP_2) | instskip(NEXT) | instid1(VALU_DEP_2)
	v_cmp_eq_u64_e64 s11, v[24:25], v[22:23]
	v_mov_b64_e32 v[22:23], v[20:21]
	s_and_saveexec_b32 s45, s11
; %bb.3671:                             ;   in Loop: Header=BB6_3629 Depth=2
	v_bfe_u32 v54, v20, 20, 1
	s_delay_alu instid0(VALU_DEP_1) | instskip(NEXT) | instid1(VALU_DEP_1)
	v_add_nc_u64_e32 v[22:23], v[20:21], v[54:55]
	v_add_nc_u64_e32 v[22:23], -1, v[22:23]
; %bb.3672:                             ;   in Loop: Header=BB6_3629 Depth=2
	s_or_b32 exec_lo, exec_lo, s45
	v_add_nc_u32_e32 v6, 0xffffff81, v6
	v_lshrrev_b32_e32 v7, 23, v20
	s_mov_b32 s11, exec_lo
	s_delay_alu instid0(VALU_DEP_2) | instskip(NEXT) | instid1(VALU_DEP_1)
	v_cndmask_b32_e64 v6, v6, 0xffffff82, vcc_lo
	v_add3_u32 v7, v8, v6, v7
	v_and_b32_e32 v6, 0xfffff, v22
	s_delay_alu instid0(VALU_DEP_1) | instskip(NEXT) | instid1(VALU_DEP_1)
	v_dual_add_nc_u32 v8, 6, v7 :: v_dual_add_nc_u32 v54, v6, v20
                                        ; implicit-def: $vgpr20_vgpr21
                                        ; implicit-def: $vgpr6
	v_cmpx_ne_u32_e32 0, v8
	s_xor_b32 s11, exec_lo, s11
; %bb.3673:                             ;   in Loop: Header=BB6_3629 Depth=2
	s_delay_alu instid0(VALU_DEP_2) | instskip(SKIP_2) | instid1(VALU_DEP_2)
	v_cmp_lt_u64_e32 vcc_lo, 0xffffff, v[54:55]
	v_add_nc_u32_e32 v6, 7, v7
	v_cndmask_b32_e64 v7, 0, 1, vcc_lo
	v_cndmask_b32_e32 v6, v8, v6, vcc_lo
	s_delay_alu instid0(VALU_DEP_2)
	v_lshrrev_b64 v[20:21], v7, v[54:55]
; %bb.3674:                             ;   in Loop: Header=BB6_3629 Depth=2
	s_and_not1_saveexec_b32 s11, s11
; %bb.3675:                             ;   in Loop: Header=BB6_3629 Depth=2
	v_mov_b64_e32 v[20:21], v[54:55]
	v_bfe_u32 v6, v54, 23, 1
; %bb.3676:                             ;   in Loop: Header=BB6_3629 Depth=2
	s_or_b32 exec_lo, exec_lo, s11
	s_delay_alu instid0(VALU_DEP_2) | instskip(NEXT) | instid1(VALU_DEP_2)
	v_lshrrev_b64 v[8:9], 20, v[20:21]
	v_cmp_gt_i32_e32 vcc_lo, 16, v6
	v_min_i32_e32 v7, 15, v6
	v_cmp_eq_u32_e64 s11, 0, v6
	s_delay_alu instid0(VALU_DEP_2) | instskip(SKIP_1) | instid1(VALU_DEP_2)
	v_dual_cndmask_b32 v9, 0, v9, vcc_lo :: v_dual_lshlrev_b32 v7, 3, v7
	v_cndmask_b32_e32 v8, 7, v8, vcc_lo
	v_and_b32_e32 v7, 0xf8, v7
	s_delay_alu instid0(VALU_DEP_2) | instskip(NEXT) | instid1(VALU_DEP_2)
	v_cmp_eq_u64_e32 vcc_lo, 0, v[8:9]
	v_and_or_b32 v6, v8, 7, v7
	s_and_b32 s11, s11, vcc_lo
	s_delay_alu instid0(VALU_DEP_1) | instid1(SALU_CYCLE_1)
	v_cndmask_b32_e64 v6, v6, 0, s11
	s_delay_alu instid0(VALU_DEP_1)
	v_or_b32_e32 v6, v6, v5
.LBB6_3677:                             ;   in Loop: Header=BB6_3629 Depth=2
	s_or_b32 exec_lo, exec_lo, s44
                                        ; implicit-def: $vgpr5
.LBB6_3678:                             ;   in Loop: Header=BB6_3629 Depth=2
	s_and_not1_saveexec_b32 s11, s43
; %bb.3679:                             ;   in Loop: Header=BB6_3629 Depth=2
	v_or_b32_e32 v6, 0x7e, v5
; %bb.3680:                             ;   in Loop: Header=BB6_3629 Depth=2
	s_or_b32 exec_lo, exec_lo, s11
                                        ; implicit-def: $vgpr5
.LBB6_3681:                             ;   in Loop: Header=BB6_3629 Depth=2
	s_and_not1_saveexec_b32 s11, s42
; %bb.3682:                             ;   in Loop: Header=BB6_3629 Depth=2
	v_or_b32_e32 v6, 0x7f, v5
; %bb.3683:                             ;   in Loop: Header=BB6_3629 Depth=2
	s_or_b32 exec_lo, exec_lo, s11
	v_dual_lshrrev_b32 v5, 16, v10 :: v_dual_mov_b32 v7, 0
	s_mov_b32 s11, exec_lo
	s_delay_alu instid0(VALU_DEP_1) | instskip(NEXT) | instid1(VALU_DEP_1)
	v_and_b32_e32 v8, 0xff, v5
	v_cmpx_ne_u16_e32 0, v8
	s_cbranch_execz .LBB6_3691
; %bb.3684:                             ;   in Loop: Header=BB6_3629 Depth=2
	v_bfrev_b32_e32 v7, 1
	s_mov_b32 s42, exec_lo
	v_cmpx_ne_u16_e32 0x80, v8
	s_cbranch_execz .LBB6_3690
; %bb.3685:                             ;   in Loop: Header=BB6_3629 Depth=2
	v_bfe_u32 v8, v10, 16, 7
	v_mov_b32_e32 v7, 0x7f800001
	s_mov_b32 s43, exec_lo
	s_delay_alu instid0(VALU_DEP_2)
	v_cmpx_ne_u32_e32 0x7f, v8
	s_cbranch_execz .LBB6_3689
; %bb.3686:                             ;   in Loop: Header=BB6_3629 Depth=2
	v_dual_lshrrev_b32 v7, 3, v8 :: v_dual_bitop2_b32 v54, 7, v5 bitop3:0x40
	s_mov_b32 s44, exec_lo
	s_delay_alu instid0(VALU_DEP_1)
	v_mov_b64_e32 v[20:21], v[54:55]
	v_cmpx_gt_u32_e32 8, v8
; %bb.3687:                             ;   in Loop: Header=BB6_3629 Depth=2
	v_clz_i32_u32_e32 v7, v54
	s_delay_alu instid0(VALU_DEP_1) | instskip(NEXT) | instid1(VALU_DEP_1)
	v_min_u32_e32 v7, 32, v7
	v_subrev_nc_u32_e32 v8, 28, v7
	s_delay_alu instid0(VALU_DEP_1) | instskip(NEXT) | instid1(VALU_DEP_1)
	v_lshlrev_b64_e32 v[8:9], v8, v[54:55]
	v_dual_sub_nc_u32 v7, 29, v7 :: v_dual_bitop2_b32 v20, 7, v8 bitop3:0x40
; %bb.3688:                             ;   in Loop: Header=BB6_3629 Depth=2
	s_or_b32 exec_lo, exec_lo, s44
	s_delay_alu instid0(VALU_DEP_1) | instskip(NEXT) | instid1(VALU_DEP_2)
	v_dual_lshlrev_b32 v5, 24, v5 :: v_dual_lshlrev_b32 v8, 20, v20
	v_lshl_add_u32 v7, v7, 23, 0x3c000000
	s_delay_alu instid0(VALU_DEP_2) | instskip(NEXT) | instid1(VALU_DEP_1)
	v_and_b32_e32 v5, 0x80000000, v5
	v_or3_b32 v7, v8, v5, v7
.LBB6_3689:                             ;   in Loop: Header=BB6_3629 Depth=2
	s_or_b32 exec_lo, exec_lo, s43
.LBB6_3690:                             ;   in Loop: Header=BB6_3629 Depth=2
	s_delay_alu instid0(SALU_CYCLE_1)
	s_or_b32 exec_lo, exec_lo, s42
.LBB6_3691:                             ;   in Loop: Header=BB6_3629 Depth=2
	s_delay_alu instid0(SALU_CYCLE_1) | instskip(NEXT) | instid1(VALU_DEP_1)
	s_or_b32 exec_lo, exec_lo, s11
	v_mul_f32_e32 v7, s12, v7
                                        ; implicit-def: $vgpr9
	s_mov_b32 s11, exec_lo
	s_delay_alu instid0(VALU_DEP_1) | instskip(SKIP_1) | instid1(VALU_DEP_2)
	v_and_b32_e32 v54, 0x7f800000, v7
	v_lshrrev_b32_e32 v5, 24, v7
	v_cmpx_ne_u64_e32 0x7f800000, v[54:55]
	s_xor_b32 s42, exec_lo, s11
	s_cbranch_execz .LBB6_3705
; %bb.3692:                             ;   in Loop: Header=BB6_3629 Depth=2
	v_and_b32_e32 v54, 0x7fffffff, v7
	v_and_b32_e32 v5, 0x80, v5
                                        ; implicit-def: $vgpr9
	s_mov_b32 s11, exec_lo
	s_delay_alu instid0(VALU_DEP_2)
	v_cmpx_gt_u64_e32 0x43e00001, v[54:55]
	s_xor_b32 s43, exec_lo, s11
	s_cbranch_execz .LBB6_3702
; %bb.3693:                             ;   in Loop: Header=BB6_3629 Depth=2
	v_mov_b32_e32 v9, 0
	s_mov_b32 s44, exec_lo
	v_cmpx_ne_u32_e32 0, v7
	s_cbranch_execz .LBB6_3701
; %bb.3694:                             ;   in Loop: Header=BB6_3629 Depth=2
	v_bfe_u32 v8, v7, 23, 8
	v_and_b32_e32 v7, 0x7fffff, v7
	s_delay_alu instid0(VALU_DEP_2) | instskip(NEXT) | instid1(VALU_DEP_2)
	v_cmp_gt_u32_e32 vcc_lo, 0x7a, v8
	v_or_b32_e32 v22, 0x800000, v7
	v_sub_nc_u32_e32 v9, 0x79, v8
	s_delay_alu instid0(VALU_DEP_1) | instskip(SKIP_1) | instid1(VALU_DEP_2)
	v_cndmask_b32_e32 v9, 0, v9, vcc_lo
	v_cmp_eq_u32_e32 vcc_lo, 0, v8
	v_cndmask_b32_e64 v9, v9, 0x78, vcc_lo
	s_delay_alu instid0(VALU_DEP_1) | instskip(SKIP_1) | instid1(VALU_DEP_2)
	v_dual_cndmask_b32 v54, v22, v7, vcc_lo :: v_dual_add_nc_u32 v20, 20, v9
	v_add_nc_u32_e32 v23, 19, v9
	v_lshlrev_b64_e64 v[20:21], v20, -1
	s_delay_alu instid0(VALU_DEP_2) | instskip(NEXT) | instid1(VALU_DEP_2)
	v_lshlrev_b64_e64 v[22:23], v23, 1
	v_bfi_b32 v25, v21, 0, 0
	s_delay_alu instid0(VALU_DEP_3) | instskip(SKIP_1) | instid1(VALU_DEP_2)
	v_bfi_b32 v24, v20, 0, v54
	v_lshrrev_b64 v[20:21], v9, v[54:55]
	v_cmp_eq_u64_e64 s11, v[24:25], v[22:23]
	s_delay_alu instid0(VALU_DEP_2)
	v_mov_b64_e32 v[22:23], v[20:21]
	s_and_saveexec_b32 s45, s11
; %bb.3695:                             ;   in Loop: Header=BB6_3629 Depth=2
	v_bfe_u32 v54, v20, 20, 1
	s_delay_alu instid0(VALU_DEP_1) | instskip(NEXT) | instid1(VALU_DEP_1)
	v_add_nc_u64_e32 v[22:23], v[20:21], v[54:55]
	v_add_nc_u64_e32 v[22:23], -1, v[22:23]
; %bb.3696:                             ;   in Loop: Header=BB6_3629 Depth=2
	s_or_b32 exec_lo, exec_lo, s45
	v_add_nc_u32_e32 v7, 0xffffff81, v8
	v_lshrrev_b32_e32 v8, 23, v20
	s_mov_b32 s11, exec_lo
	s_delay_alu instid0(VALU_DEP_2) | instskip(NEXT) | instid1(VALU_DEP_1)
	v_cndmask_b32_e64 v7, v7, 0xffffff82, vcc_lo
	v_add3_u32 v8, v9, v7, v8
	v_and_b32_e32 v7, 0xfffff, v22
	s_delay_alu instid0(VALU_DEP_2) | instskip(NEXT) | instid1(VALU_DEP_2)
	v_add_nc_u32_e32 v9, 6, v8
	v_add_nc_u32_e32 v54, v7, v20
                                        ; implicit-def: $vgpr20_vgpr21
                                        ; implicit-def: $vgpr7
	s_delay_alu instid0(VALU_DEP_2)
	v_cmpx_ne_u32_e32 0, v9
	s_xor_b32 s11, exec_lo, s11
; %bb.3697:                             ;   in Loop: Header=BB6_3629 Depth=2
	s_delay_alu instid0(VALU_DEP_2) | instskip(SKIP_2) | instid1(VALU_DEP_2)
	v_cmp_lt_u64_e32 vcc_lo, 0xffffff, v[54:55]
	v_add_nc_u32_e32 v7, 7, v8
	v_cndmask_b32_e64 v8, 0, 1, vcc_lo
	v_cndmask_b32_e32 v7, v9, v7, vcc_lo
	s_delay_alu instid0(VALU_DEP_2)
	v_lshrrev_b64 v[20:21], v8, v[54:55]
; %bb.3698:                             ;   in Loop: Header=BB6_3629 Depth=2
	s_and_not1_saveexec_b32 s11, s11
; %bb.3699:                             ;   in Loop: Header=BB6_3629 Depth=2
	v_mov_b64_e32 v[20:21], v[54:55]
	v_bfe_u32 v7, v54, 23, 1
; %bb.3700:                             ;   in Loop: Header=BB6_3629 Depth=2
	s_or_b32 exec_lo, exec_lo, s11
	s_delay_alu instid0(VALU_DEP_2) | instskip(NEXT) | instid1(VALU_DEP_2)
	v_lshrrev_b64 v[8:9], 20, v[20:21]
	v_cmp_gt_i32_e32 vcc_lo, 16, v7
	v_min_i32_e32 v20, 15, v7
	v_cmp_eq_u32_e64 s11, 0, v7
	s_delay_alu instid0(VALU_DEP_2) | instskip(SKIP_1) | instid1(VALU_DEP_2)
	v_dual_cndmask_b32 v9, 0, v9 :: v_dual_lshlrev_b32 v20, 3, v20
	v_cndmask_b32_e32 v8, 7, v8, vcc_lo
	v_and_b32_e32 v20, 0xf8, v20
	s_delay_alu instid0(VALU_DEP_2) | instskip(NEXT) | instid1(VALU_DEP_2)
	v_cmp_eq_u64_e32 vcc_lo, 0, v[8:9]
	v_and_or_b32 v7, v8, 7, v20
	s_and_b32 s11, s11, vcc_lo
	s_delay_alu instid0(VALU_DEP_1) | instid1(SALU_CYCLE_1)
	v_cndmask_b32_e64 v7, v7, 0, s11
	s_delay_alu instid0(VALU_DEP_1)
	v_or_b32_e32 v9, v7, v5
.LBB6_3701:                             ;   in Loop: Header=BB6_3629 Depth=2
	s_or_b32 exec_lo, exec_lo, s44
                                        ; implicit-def: $vgpr5
.LBB6_3702:                             ;   in Loop: Header=BB6_3629 Depth=2
	s_and_not1_saveexec_b32 s11, s43
; %bb.3703:                             ;   in Loop: Header=BB6_3629 Depth=2
	v_or_b32_e32 v9, 0x7e, v5
; %bb.3704:                             ;   in Loop: Header=BB6_3629 Depth=2
	s_or_b32 exec_lo, exec_lo, s11
                                        ; implicit-def: $vgpr5
.LBB6_3705:                             ;   in Loop: Header=BB6_3629 Depth=2
	s_and_not1_saveexec_b32 s11, s42
; %bb.3706:                             ;   in Loop: Header=BB6_3629 Depth=2
	v_or_b32_e32 v9, 0x7f, v5
; %bb.3707:                             ;   in Loop: Header=BB6_3629 Depth=2
	s_or_b32 exec_lo, exec_lo, s11
	v_mov_b32_e32 v7, 0
	s_mov_b32 s11, exec_lo
	v_cmpx_lt_u32_e32 0xffffff, v10
	s_cbranch_execz .LBB6_3715
; %bb.3708:                             ;   in Loop: Header=BB6_3629 Depth=2
	v_lshrrev_b32_e32 v5, 24, v10
	v_bfrev_b32_e32 v7, 1
	s_mov_b32 s42, exec_lo
	s_delay_alu instid0(VALU_DEP_2)
	v_cmpx_ne_u32_e32 0x80, v5
	s_cbranch_execz .LBB6_3714
; %bb.3709:                             ;   in Loop: Header=BB6_3629 Depth=2
	v_bfe_u32 v8, v10, 24, 7
	v_mov_b32_e32 v7, 0x7f800001
	s_mov_b32 s43, exec_lo
	s_delay_alu instid0(VALU_DEP_2)
	v_cmpx_ne_u32_e32 0x7f, v8
	s_cbranch_execz .LBB6_3713
; %bb.3710:                             ;   in Loop: Header=BB6_3629 Depth=2
	v_dual_lshrrev_b32 v7, 3, v8 :: v_dual_bitop2_b32 v54, 7, v5 bitop3:0x40
	s_mov_b32 s44, exec_lo
	s_delay_alu instid0(VALU_DEP_1)
	v_mov_b64_e32 v[20:21], v[54:55]
	v_cmpx_gt_u32_e32 8, v8
; %bb.3711:                             ;   in Loop: Header=BB6_3629 Depth=2
	v_clz_i32_u32_e32 v7, v54
	s_delay_alu instid0(VALU_DEP_1) | instskip(NEXT) | instid1(VALU_DEP_1)
	v_min_u32_e32 v7, 32, v7
	v_subrev_nc_u32_e32 v8, 28, v7
	s_delay_alu instid0(VALU_DEP_1) | instskip(NEXT) | instid1(VALU_DEP_1)
	v_lshlrev_b64_e32 v[20:21], v8, v[54:55]
	v_dual_sub_nc_u32 v7, 29, v7 :: v_dual_bitop2_b32 v20, 7, v20 bitop3:0x40
; %bb.3712:                             ;   in Loop: Header=BB6_3629 Depth=2
	s_or_b32 exec_lo, exec_lo, s44
	s_delay_alu instid0(VALU_DEP_1) | instskip(NEXT) | instid1(VALU_DEP_2)
	v_dual_lshlrev_b32 v5, 24, v5 :: v_dual_lshlrev_b32 v8, 20, v20
	v_lshl_add_u32 v7, v7, 23, 0x3c000000
	s_delay_alu instid0(VALU_DEP_2) | instskip(NEXT) | instid1(VALU_DEP_1)
	v_and_b32_e32 v5, 0x80000000, v5
	v_or3_b32 v7, v8, v5, v7
.LBB6_3713:                             ;   in Loop: Header=BB6_3629 Depth=2
	s_or_b32 exec_lo, exec_lo, s43
.LBB6_3714:                             ;   in Loop: Header=BB6_3629 Depth=2
	s_delay_alu instid0(SALU_CYCLE_1)
	s_or_b32 exec_lo, exec_lo, s42
.LBB6_3715:                             ;   in Loop: Header=BB6_3629 Depth=2
	s_delay_alu instid0(SALU_CYCLE_1) | instskip(NEXT) | instid1(VALU_DEP_1)
	s_or_b32 exec_lo, exec_lo, s11
	v_mul_f32_e32 v7, s12, v7
                                        ; implicit-def: $vgpr28
	s_mov_b32 s11, exec_lo
	s_delay_alu instid0(VALU_DEP_1) | instskip(SKIP_1) | instid1(VALU_DEP_2)
	v_and_b32_e32 v54, 0x7f800000, v7
	v_lshrrev_b32_e32 v5, 24, v7
	v_cmpx_ne_u64_e32 0x7f800000, v[54:55]
	s_xor_b32 s42, exec_lo, s11
	s_cbranch_execz .LBB6_3729
; %bb.3716:                             ;   in Loop: Header=BB6_3629 Depth=2
	v_and_b32_e32 v54, 0x7fffffff, v7
	v_and_b32_e32 v5, 0x80, v5
                                        ; implicit-def: $vgpr28
	s_mov_b32 s11, exec_lo
	s_delay_alu instid0(VALU_DEP_2)
	v_cmpx_gt_u64_e32 0x43e00001, v[54:55]
	s_xor_b32 s43, exec_lo, s11
	s_cbranch_execz .LBB6_3726
; %bb.3717:                             ;   in Loop: Header=BB6_3629 Depth=2
	v_mov_b32_e32 v28, 0
	s_mov_b32 s44, exec_lo
	v_cmpx_ne_u32_e32 0, v7
	s_cbranch_execz .LBB6_3725
; %bb.3718:                             ;   in Loop: Header=BB6_3629 Depth=2
	v_bfe_u32 v8, v7, 23, 8
	v_and_b32_e32 v7, 0x7fffff, v7
	s_delay_alu instid0(VALU_DEP_2) | instskip(SKIP_1) | instid1(VALU_DEP_3)
	v_sub_nc_u32_e32 v20, 0x79, v8
	v_cmp_gt_u32_e32 vcc_lo, 0x7a, v8
	v_or_b32_e32 v22, 0x800000, v7
	s_delay_alu instid0(VALU_DEP_3) | instskip(SKIP_1) | instid1(VALU_DEP_3)
	v_cndmask_b32_e32 v20, 0, v20, vcc_lo
	v_cmp_eq_u32_e32 vcc_lo, 0, v8
	v_cndmask_b32_e32 v54, v22, v7, vcc_lo
	s_delay_alu instid0(VALU_DEP_3) | instskip(NEXT) | instid1(VALU_DEP_1)
	v_cndmask_b32_e64 v24, v20, 0x78, vcc_lo
	v_dual_add_nc_u32 v20, 20, v24 :: v_dual_add_nc_u32 v23, 19, v24
	s_delay_alu instid0(VALU_DEP_1) | instskip(NEXT) | instid1(VALU_DEP_2)
	v_lshlrev_b64_e64 v[20:21], v20, -1
	v_lshlrev_b64_e64 v[22:23], v23, 1
	s_delay_alu instid0(VALU_DEP_2) | instskip(NEXT) | instid1(VALU_DEP_3)
	v_bfi_b32 v27, v21, 0, 0
	v_bfi_b32 v26, v20, 0, v54
	v_lshrrev_b64 v[20:21], v24, v[54:55]
	s_delay_alu instid0(VALU_DEP_2) | instskip(NEXT) | instid1(VALU_DEP_2)
	v_cmp_eq_u64_e64 s11, v[26:27], v[22:23]
	v_mov_b64_e32 v[22:23], v[20:21]
	s_and_saveexec_b32 s45, s11
; %bb.3719:                             ;   in Loop: Header=BB6_3629 Depth=2
	v_bfe_u32 v54, v20, 20, 1
	s_delay_alu instid0(VALU_DEP_1) | instskip(NEXT) | instid1(VALU_DEP_1)
	v_add_nc_u64_e32 v[22:23], v[20:21], v[54:55]
	v_add_nc_u64_e32 v[22:23], -1, v[22:23]
; %bb.3720:                             ;   in Loop: Header=BB6_3629 Depth=2
	s_or_b32 exec_lo, exec_lo, s45
	v_add_nc_u32_e32 v7, 0xffffff81, v8
	v_lshrrev_b32_e32 v8, 23, v20
	s_mov_b32 s11, exec_lo
	s_delay_alu instid0(VALU_DEP_2) | instskip(NEXT) | instid1(VALU_DEP_1)
	v_cndmask_b32_e64 v7, v7, 0xffffff82, vcc_lo
	v_add3_u32 v8, v24, v7, v8
	v_and_b32_e32 v7, 0xfffff, v22
	s_delay_alu instid0(VALU_DEP_2) | instskip(NEXT) | instid1(VALU_DEP_2)
	v_add_nc_u32_e32 v22, 6, v8
	v_add_nc_u32_e32 v54, v7, v20
                                        ; implicit-def: $vgpr20_vgpr21
                                        ; implicit-def: $vgpr7
	s_delay_alu instid0(VALU_DEP_2)
	v_cmpx_ne_u32_e32 0, v22
	s_xor_b32 s11, exec_lo, s11
; %bb.3721:                             ;   in Loop: Header=BB6_3629 Depth=2
	s_delay_alu instid0(VALU_DEP_2) | instskip(SKIP_2) | instid1(VALU_DEP_2)
	v_cmp_lt_u64_e32 vcc_lo, 0xffffff, v[54:55]
	v_add_nc_u32_e32 v7, 7, v8
	v_cndmask_b32_e64 v8, 0, 1, vcc_lo
	v_cndmask_b32_e32 v7, v22, v7, vcc_lo
	s_delay_alu instid0(VALU_DEP_2)
	v_lshrrev_b64 v[20:21], v8, v[54:55]
; %bb.3722:                             ;   in Loop: Header=BB6_3629 Depth=2
	s_and_not1_saveexec_b32 s11, s11
; %bb.3723:                             ;   in Loop: Header=BB6_3629 Depth=2
	v_mov_b64_e32 v[20:21], v[54:55]
	v_bfe_u32 v7, v54, 23, 1
; %bb.3724:                             ;   in Loop: Header=BB6_3629 Depth=2
	s_or_b32 exec_lo, exec_lo, s11
	s_delay_alu instid0(VALU_DEP_2) | instskip(NEXT) | instid1(VALU_DEP_2)
	v_lshrrev_b64 v[20:21], 20, v[20:21]
	v_cmp_gt_i32_e32 vcc_lo, 16, v7
	v_min_i32_e32 v8, 15, v7
	v_cmp_eq_u32_e64 s11, 0, v7
	s_delay_alu instid0(VALU_DEP_2) | instskip(SKIP_1) | instid1(VALU_DEP_2)
	v_dual_cndmask_b32 v21, 0, v21 :: v_dual_lshlrev_b32 v8, 3, v8
	v_cndmask_b32_e32 v20, 7, v20, vcc_lo
	v_and_b32_e32 v8, 0xf8, v8
	s_delay_alu instid0(VALU_DEP_2) | instskip(NEXT) | instid1(VALU_DEP_2)
	v_cmp_eq_u64_e32 vcc_lo, 0, v[20:21]
	v_and_or_b32 v7, v20, 7, v8
	s_and_b32 s11, s11, vcc_lo
	s_delay_alu instid0(VALU_DEP_1) | instid1(SALU_CYCLE_1)
	v_cndmask_b32_e64 v7, v7, 0, s11
	s_delay_alu instid0(VALU_DEP_1)
	v_or_b32_e32 v28, v7, v5
.LBB6_3725:                             ;   in Loop: Header=BB6_3629 Depth=2
	s_or_b32 exec_lo, exec_lo, s44
                                        ; implicit-def: $vgpr5
.LBB6_3726:                             ;   in Loop: Header=BB6_3629 Depth=2
	s_and_not1_saveexec_b32 s11, s43
; %bb.3727:                             ;   in Loop: Header=BB6_3629 Depth=2
	v_or_b32_e32 v28, 0x7e, v5
; %bb.3728:                             ;   in Loop: Header=BB6_3629 Depth=2
	s_or_b32 exec_lo, exec_lo, s11
                                        ; implicit-def: $vgpr5
.LBB6_3729:                             ;   in Loop: Header=BB6_3629 Depth=2
	s_and_not1_saveexec_b32 s11, s42
; %bb.3730:                             ;   in Loop: Header=BB6_3629 Depth=2
	v_or_b32_e32 v28, 0x7f, v5
; %bb.3731:                             ;   in Loop: Header=BB6_3629 Depth=2
	s_or_b32 exec_lo, exec_lo, s11
	v_and_b32_e32 v7, 0xff, v11
	v_dual_mov_b32 v54, v11 :: v_dual_mov_b32 v5, 0
	s_mov_b32 s11, exec_lo
	s_delay_alu instid0(VALU_DEP_2)
	v_cmpx_ne_u16_e32 0, v7
	s_cbranch_execz .LBB6_3737
; %bb.3732:                             ;   in Loop: Header=BB6_3629 Depth=2
	v_bfrev_b32_e32 v5, 1
	s_mov_b32 s42, exec_lo
	v_cmpx_ne_u16_e32 0x80, v7
	s_cbranch_execz .LBB6_3736
; %bb.3733:                             ;   in Loop: Header=BB6_3629 Depth=2
	v_and_b32_e32 v7, 0x7f, v11
	v_mov_b32_e32 v5, 0x7f800001
	s_mov_b32 s43, exec_lo
	s_delay_alu instid0(VALU_DEP_2)
	v_cmpx_ne_u32_e32 0x7f, v7
	s_cbranch_execz .LBB6_3735
; %bb.3734:                             ;   in Loop: Header=BB6_3629 Depth=2
	v_cmp_gt_u32_e32 vcc_lo, 8, v7
	v_and_b32_e32 v5, 7, v11
	s_delay_alu instid0(VALU_DEP_1) | instskip(NEXT) | instid1(VALU_DEP_1)
	v_clz_i32_u32_e32 v5, v5
	v_min_u32_e32 v5, 32, v5
	v_lshrrev_b32_e32 v8, 3, v7
	s_delay_alu instid0(VALU_DEP_2) | instskip(NEXT) | instid1(VALU_DEP_1)
	v_subrev_nc_u32_e32 v20, 28, v5
	v_dual_sub_nc_u32 v5, 29, v5 :: v_dual_cndmask_b32 v7, 0, v20, vcc_lo
	s_delay_alu instid0(VALU_DEP_1) | instskip(NEXT) | instid1(VALU_DEP_2)
	v_cndmask_b32_e32 v5, v8, v5, vcc_lo
	v_lshlrev_b64_e32 v[20:21], v7, v[54:55]
	v_lshlrev_b32_e32 v7, 24, v54
	s_delay_alu instid0(VALU_DEP_3) | instskip(NEXT) | instid1(VALU_DEP_2)
	v_lshl_add_u32 v5, v5, 23, 0x3c000000
	v_and_b32_e32 v7, 0x80000000, v7
	s_delay_alu instid0(VALU_DEP_4) | instskip(NEXT) | instid1(VALU_DEP_1)
	v_lshlrev_b32_e32 v8, 20, v20
	v_and_b32_e32 v8, 0x700000, v8
	s_delay_alu instid0(VALU_DEP_1)
	v_or3_b32 v5, v8, v7, v5
.LBB6_3735:                             ;   in Loop: Header=BB6_3629 Depth=2
	s_or_b32 exec_lo, exec_lo, s43
.LBB6_3736:                             ;   in Loop: Header=BB6_3629 Depth=2
	s_delay_alu instid0(SALU_CYCLE_1)
	s_or_b32 exec_lo, exec_lo, s42
.LBB6_3737:                             ;   in Loop: Header=BB6_3629 Depth=2
	s_delay_alu instid0(SALU_CYCLE_1) | instskip(NEXT) | instid1(VALU_DEP_1)
	s_or_b32 exec_lo, exec_lo, s11
	v_dual_mul_f32 v7, s12, v5 :: v_dual_mov_b32 v21, v55
                                        ; implicit-def: $vgpr24
	s_mov_b32 s11, exec_lo
	s_delay_alu instid0(VALU_DEP_1) | instskip(SKIP_1) | instid1(VALU_DEP_2)
	v_and_b32_e32 v20, 0x7f800000, v7
	v_lshrrev_b32_e32 v5, 24, v7
	v_cmpx_ne_u64_e32 0x7f800000, v[20:21]
	s_xor_b32 s42, exec_lo, s11
	s_cbranch_execz .LBB6_3751
; %bb.3738:                             ;   in Loop: Header=BB6_3629 Depth=2
	v_and_b32_e32 v20, 0x7fffffff, v7
	v_mov_b32_e32 v21, v55
	v_and_b32_e32 v5, 0x80, v5
                                        ; implicit-def: $vgpr24
	s_mov_b32 s11, exec_lo
	s_delay_alu instid0(VALU_DEP_2)
	v_cmpx_gt_u64_e32 0x43e00001, v[20:21]
	s_xor_b32 s43, exec_lo, s11
	s_cbranch_execz .LBB6_3748
; %bb.3739:                             ;   in Loop: Header=BB6_3629 Depth=2
	v_mov_b32_e32 v24, 0
	s_mov_b32 s44, exec_lo
	v_cmpx_ne_u32_e32 0, v7
	s_cbranch_execz .LBB6_3747
; %bb.3740:                             ;   in Loop: Header=BB6_3629 Depth=2
	v_bfe_u32 v8, v7, 23, 8
	v_and_b32_e32 v7, 0x7fffff, v7
	s_mov_b32 s45, exec_lo
	s_delay_alu instid0(VALU_DEP_2) | instskip(SKIP_1) | instid1(VALU_DEP_3)
	v_dual_mov_b32 v23, v55 :: v_dual_sub_nc_u32 v20, 0x79, v8
	v_cmp_gt_u32_e32 vcc_lo, 0x7a, v8
	v_or_b32_e32 v22, 0x800000, v7
	s_delay_alu instid0(VALU_DEP_3) | instskip(SKIP_1) | instid1(VALU_DEP_3)
	v_cndmask_b32_e32 v20, 0, v20, vcc_lo
	v_cmp_eq_u32_e32 vcc_lo, 0, v8
	v_cndmask_b32_e32 v22, v22, v7, vcc_lo
	s_delay_alu instid0(VALU_DEP_3) | instskip(NEXT) | instid1(VALU_DEP_1)
	v_cndmask_b32_e64 v24, v20, 0x78, vcc_lo
	v_dual_add_nc_u32 v20, 20, v24 :: v_dual_add_nc_u32 v25, 19, v24
	s_delay_alu instid0(VALU_DEP_1) | instskip(NEXT) | instid1(VALU_DEP_2)
	v_lshlrev_b64_e64 v[20:21], v20, -1
	v_lshlrev_b64_e64 v[26:27], v25, 1
	s_delay_alu instid0(VALU_DEP_2) | instskip(NEXT) | instid1(VALU_DEP_3)
	v_bfi_b32 v31, v21, 0, 0
	v_bfi_b32 v30, v20, 0, v22
	v_lshrrev_b64 v[20:21], v24, v[22:23]
	s_delay_alu instid0(VALU_DEP_1) | instskip(NEXT) | instid1(VALU_DEP_3)
	v_mov_b64_e32 v[22:23], v[20:21]
	v_cmpx_eq_u64_e64 v[30:31], v[26:27]
; %bb.3741:                             ;   in Loop: Header=BB6_3629 Depth=2
	v_bfe_u32 v22, v20, 20, 1
	v_mov_b32_e32 v23, v55
	s_delay_alu instid0(VALU_DEP_1) | instskip(NEXT) | instid1(VALU_DEP_1)
	v_add_nc_u64_e32 v[22:23], v[20:21], v[22:23]
	v_add_nc_u64_e32 v[22:23], -1, v[22:23]
; %bb.3742:                             ;   in Loop: Header=BB6_3629 Depth=2
	s_or_b32 exec_lo, exec_lo, s45
	v_add_nc_u32_e32 v7, 0xffffff81, v8
	v_lshrrev_b32_e32 v8, 23, v20
	s_mov_b32 s11, exec_lo
	v_mov_b32_e32 v21, v55
	s_delay_alu instid0(VALU_DEP_3) | instskip(NEXT) | instid1(VALU_DEP_1)
	v_cndmask_b32_e64 v7, v7, 0xffffff82, vcc_lo
	v_add3_u32 v8, v24, v7, v8
	v_and_b32_e32 v7, 0xfffff, v22
	s_delay_alu instid0(VALU_DEP_2) | instskip(NEXT) | instid1(VALU_DEP_2)
	v_add_nc_u32_e32 v22, 6, v8
	v_add_nc_u32_e32 v20, v7, v20
                                        ; implicit-def: $vgpr7
	s_delay_alu instid0(VALU_DEP_2)
	v_cmpx_ne_u32_e32 0, v22
	s_xor_b32 s11, exec_lo, s11
; %bb.3743:                             ;   in Loop: Header=BB6_3629 Depth=2
	s_delay_alu instid0(VALU_DEP_2) | instskip(SKIP_2) | instid1(VALU_DEP_2)
	v_cmp_lt_u64_e32 vcc_lo, 0xffffff, v[20:21]
	v_add_nc_u32_e32 v7, 7, v8
	v_cndmask_b32_e64 v8, 0, 1, vcc_lo
	v_cndmask_b32_e32 v7, v22, v7, vcc_lo
	s_delay_alu instid0(VALU_DEP_2)
	v_lshrrev_b64 v[20:21], v8, v[20:21]
; %bb.3744:                             ;   in Loop: Header=BB6_3629 Depth=2
	s_and_not1_saveexec_b32 s11, s11
; %bb.3745:                             ;   in Loop: Header=BB6_3629 Depth=2
	s_delay_alu instid0(VALU_DEP_1)
	v_bfe_u32 v7, v20, 23, 1
; %bb.3746:                             ;   in Loop: Header=BB6_3629 Depth=2
	s_or_b32 exec_lo, exec_lo, s11
	s_delay_alu instid0(VALU_DEP_2) | instskip(NEXT) | instid1(VALU_DEP_2)
	v_lshrrev_b64 v[20:21], 20, v[20:21]
	v_cmp_gt_i32_e32 vcc_lo, 16, v7
	v_min_i32_e32 v8, 15, v7
	v_cmp_eq_u32_e64 s11, 0, v7
	s_delay_alu instid0(VALU_DEP_2) | instskip(SKIP_1) | instid1(VALU_DEP_2)
	v_dual_cndmask_b32 v21, 0, v21 :: v_dual_lshlrev_b32 v8, 3, v8
	v_cndmask_b32_e32 v20, 7, v20, vcc_lo
	v_and_b32_e32 v8, 0xf8, v8
	s_delay_alu instid0(VALU_DEP_2) | instskip(NEXT) | instid1(VALU_DEP_2)
	v_cmp_eq_u64_e32 vcc_lo, 0, v[20:21]
	v_and_or_b32 v7, v20, 7, v8
	s_and_b32 s11, s11, vcc_lo
	s_delay_alu instid0(VALU_DEP_1) | instid1(SALU_CYCLE_1)
	v_cndmask_b32_e64 v7, v7, 0, s11
	s_delay_alu instid0(VALU_DEP_1)
	v_or_b32_e32 v24, v7, v5
.LBB6_3747:                             ;   in Loop: Header=BB6_3629 Depth=2
	s_or_b32 exec_lo, exec_lo, s44
                                        ; implicit-def: $vgpr5
.LBB6_3748:                             ;   in Loop: Header=BB6_3629 Depth=2
	s_and_not1_saveexec_b32 s11, s43
; %bb.3749:                             ;   in Loop: Header=BB6_3629 Depth=2
	v_or_b32_e32 v24, 0x7e, v5
; %bb.3750:                             ;   in Loop: Header=BB6_3629 Depth=2
	s_or_b32 exec_lo, exec_lo, s11
                                        ; implicit-def: $vgpr5
.LBB6_3751:                             ;   in Loop: Header=BB6_3629 Depth=2
	s_and_not1_saveexec_b32 s11, s42
; %bb.3752:                             ;   in Loop: Header=BB6_3629 Depth=2
	v_or_b32_e32 v24, 0x7f, v5
; %bb.3753:                             ;   in Loop: Header=BB6_3629 Depth=2
	s_or_b32 exec_lo, exec_lo, s11
	v_lshrrev_b16 v7, 8, v54
	v_mov_b32_e32 v5, 0
	s_mov_b32 s11, exec_lo
	s_delay_alu instid0(VALU_DEP_2)
	v_cmpx_ne_u16_e32 0, v7
	s_cbranch_execz .LBB6_3761
; %bb.3754:                             ;   in Loop: Header=BB6_3629 Depth=2
	v_bfrev_b32_e32 v5, 1
	s_mov_b32 s42, exec_lo
	v_cmpx_ne_u16_e32 0x80, v7
	s_cbranch_execz .LBB6_3760
; %bb.3755:                             ;   in Loop: Header=BB6_3629 Depth=2
	v_and_b32_e32 v8, 0xffff, v7
	v_mov_b32_e32 v5, 0x7f800001
	s_mov_b32 s43, exec_lo
	s_delay_alu instid0(VALU_DEP_2) | instskip(NEXT) | instid1(VALU_DEP_1)
	v_and_b32_e32 v7, 0x7f, v8
	v_cmpx_ne_u32_e32 0x7f, v7
	s_cbranch_execz .LBB6_3759
; %bb.3756:                             ;   in Loop: Header=BB6_3629 Depth=2
	v_dual_mov_b32 v21, v55 :: v_dual_bitop2_b32 v20, 7, v8 bitop3:0x40
	v_lshrrev_b32_e32 v5, 3, v7
	s_mov_b32 s44, exec_lo
	v_cmpx_gt_u32_e32 8, v7
; %bb.3757:                             ;   in Loop: Header=BB6_3629 Depth=2
	s_delay_alu instid0(VALU_DEP_3) | instskip(NEXT) | instid1(VALU_DEP_1)
	v_clz_i32_u32_e32 v5, v20
	v_min_u32_e32 v5, 32, v5
	s_delay_alu instid0(VALU_DEP_1) | instskip(NEXT) | instid1(VALU_DEP_1)
	v_subrev_nc_u32_e32 v7, 28, v5
	v_lshlrev_b64_e32 v[20:21], v7, v[20:21]
	s_delay_alu instid0(VALU_DEP_1)
	v_dual_sub_nc_u32 v5, 29, v5 :: v_dual_bitop2_b32 v20, 7, v20 bitop3:0x40
; %bb.3758:                             ;   in Loop: Header=BB6_3629 Depth=2
	s_or_b32 exec_lo, exec_lo, s44
	s_delay_alu instid0(VALU_DEP_1) | instskip(NEXT) | instid1(VALU_DEP_2)
	v_dual_lshlrev_b32 v7, 16, v54 :: v_dual_lshlrev_b32 v8, 20, v20
	v_lshl_add_u32 v5, v5, 23, 0x3c000000
	s_delay_alu instid0(VALU_DEP_2) | instskip(NEXT) | instid1(VALU_DEP_1)
	v_and_b32_e32 v7, 0x80000000, v7
	v_or3_b32 v5, v8, v7, v5
.LBB6_3759:                             ;   in Loop: Header=BB6_3629 Depth=2
	s_or_b32 exec_lo, exec_lo, s43
.LBB6_3760:                             ;   in Loop: Header=BB6_3629 Depth=2
	s_delay_alu instid0(SALU_CYCLE_1)
	s_or_b32 exec_lo, exec_lo, s42
.LBB6_3761:                             ;   in Loop: Header=BB6_3629 Depth=2
	s_delay_alu instid0(SALU_CYCLE_1) | instskip(NEXT) | instid1(VALU_DEP_1)
	s_or_b32 exec_lo, exec_lo, s11
	v_mul_f32_e32 v7, s12, v5
                                        ; implicit-def: $vgpr25
	s_mov_b32 s11, exec_lo
	s_delay_alu instid0(VALU_DEP_1) | instskip(SKIP_1) | instid1(VALU_DEP_2)
	v_and_b32_e32 v54, 0x7f800000, v7
	v_lshrrev_b32_e32 v5, 24, v7
	v_cmpx_ne_u64_e32 0x7f800000, v[54:55]
	s_xor_b32 s42, exec_lo, s11
	s_cbranch_execz .LBB6_3775
; %bb.3762:                             ;   in Loop: Header=BB6_3629 Depth=2
	v_and_b32_e32 v54, 0x7fffffff, v7
	v_and_b32_e32 v5, 0x80, v5
                                        ; implicit-def: $vgpr25
	s_mov_b32 s11, exec_lo
	s_delay_alu instid0(VALU_DEP_2)
	v_cmpx_gt_u64_e32 0x43e00001, v[54:55]
	s_xor_b32 s43, exec_lo, s11
	s_cbranch_execz .LBB6_3772
; %bb.3763:                             ;   in Loop: Header=BB6_3629 Depth=2
	v_mov_b32_e32 v25, 0
	s_mov_b32 s44, exec_lo
	v_cmpx_ne_u32_e32 0, v7
	s_cbranch_execz .LBB6_3771
; %bb.3764:                             ;   in Loop: Header=BB6_3629 Depth=2
	v_bfe_u32 v8, v7, 23, 8
	v_and_b32_e32 v7, 0x7fffff, v7
	s_delay_alu instid0(VALU_DEP_2) | instskip(SKIP_1) | instid1(VALU_DEP_3)
	v_sub_nc_u32_e32 v20, 0x79, v8
	v_cmp_gt_u32_e32 vcc_lo, 0x7a, v8
	v_or_b32_e32 v22, 0x800000, v7
	s_delay_alu instid0(VALU_DEP_3) | instskip(SKIP_1) | instid1(VALU_DEP_2)
	v_cndmask_b32_e32 v20, 0, v20, vcc_lo
	v_cmp_eq_u32_e32 vcc_lo, 0, v8
	v_cndmask_b32_e64 v25, v20, 0x78, vcc_lo
	s_delay_alu instid0(VALU_DEP_1) | instskip(SKIP_1) | instid1(VALU_DEP_2)
	v_dual_cndmask_b32 v54, v22, v7, vcc_lo :: v_dual_add_nc_u32 v20, 20, v25
	v_add_nc_u32_e32 v23, 19, v25
	v_lshlrev_b64_e64 v[20:21], v20, -1
	s_delay_alu instid0(VALU_DEP_2) | instskip(NEXT) | instid1(VALU_DEP_2)
	v_lshlrev_b64_e64 v[22:23], v23, 1
	v_bfi_b32 v27, v21, 0, 0
	s_delay_alu instid0(VALU_DEP_3) | instskip(SKIP_1) | instid1(VALU_DEP_2)
	v_bfi_b32 v26, v20, 0, v54
	v_lshrrev_b64 v[20:21], v25, v[54:55]
	v_cmp_eq_u64_e64 s11, v[26:27], v[22:23]
	s_delay_alu instid0(VALU_DEP_2)
	v_mov_b64_e32 v[22:23], v[20:21]
	s_and_saveexec_b32 s45, s11
; %bb.3765:                             ;   in Loop: Header=BB6_3629 Depth=2
	v_bfe_u32 v54, v20, 20, 1
	s_delay_alu instid0(VALU_DEP_1) | instskip(NEXT) | instid1(VALU_DEP_1)
	v_add_nc_u64_e32 v[22:23], v[20:21], v[54:55]
	v_add_nc_u64_e32 v[22:23], -1, v[22:23]
; %bb.3766:                             ;   in Loop: Header=BB6_3629 Depth=2
	s_or_b32 exec_lo, exec_lo, s45
	v_add_nc_u32_e32 v7, 0xffffff81, v8
	v_lshrrev_b32_e32 v8, 23, v20
	s_mov_b32 s11, exec_lo
	s_delay_alu instid0(VALU_DEP_2) | instskip(NEXT) | instid1(VALU_DEP_1)
	v_cndmask_b32_e64 v7, v7, 0xffffff82, vcc_lo
	v_add3_u32 v8, v25, v7, v8
	v_and_b32_e32 v7, 0xfffff, v22
	s_delay_alu instid0(VALU_DEP_2) | instskip(NEXT) | instid1(VALU_DEP_2)
	v_add_nc_u32_e32 v22, 6, v8
	v_add_nc_u32_e32 v54, v7, v20
                                        ; implicit-def: $vgpr20_vgpr21
                                        ; implicit-def: $vgpr7
	s_delay_alu instid0(VALU_DEP_2)
	v_cmpx_ne_u32_e32 0, v22
	s_xor_b32 s11, exec_lo, s11
; %bb.3767:                             ;   in Loop: Header=BB6_3629 Depth=2
	s_delay_alu instid0(VALU_DEP_2) | instskip(SKIP_2) | instid1(VALU_DEP_2)
	v_cmp_lt_u64_e32 vcc_lo, 0xffffff, v[54:55]
	v_add_nc_u32_e32 v7, 7, v8
	v_cndmask_b32_e64 v8, 0, 1, vcc_lo
	v_cndmask_b32_e32 v7, v22, v7, vcc_lo
	s_delay_alu instid0(VALU_DEP_2)
	v_lshrrev_b64 v[20:21], v8, v[54:55]
; %bb.3768:                             ;   in Loop: Header=BB6_3629 Depth=2
	s_and_not1_saveexec_b32 s11, s11
; %bb.3769:                             ;   in Loop: Header=BB6_3629 Depth=2
	v_mov_b64_e32 v[20:21], v[54:55]
	v_bfe_u32 v7, v54, 23, 1
; %bb.3770:                             ;   in Loop: Header=BB6_3629 Depth=2
	s_or_b32 exec_lo, exec_lo, s11
	s_delay_alu instid0(VALU_DEP_2) | instskip(NEXT) | instid1(VALU_DEP_2)
	v_lshrrev_b64 v[20:21], 20, v[20:21]
	v_cmp_gt_i32_e32 vcc_lo, 16, v7
	v_min_i32_e32 v8, 15, v7
	v_cmp_eq_u32_e64 s11, 0, v7
	s_delay_alu instid0(VALU_DEP_2) | instskip(SKIP_1) | instid1(VALU_DEP_2)
	v_dual_cndmask_b32 v21, 0, v21 :: v_dual_lshlrev_b32 v8, 3, v8
	v_cndmask_b32_e32 v20, 7, v20, vcc_lo
	v_and_b32_e32 v8, 0xf8, v8
	s_delay_alu instid0(VALU_DEP_2) | instskip(NEXT) | instid1(VALU_DEP_2)
	v_cmp_eq_u64_e32 vcc_lo, 0, v[20:21]
	v_and_or_b32 v7, v20, 7, v8
	s_and_b32 s11, s11, vcc_lo
	s_delay_alu instid0(VALU_DEP_1) | instid1(SALU_CYCLE_1)
	v_cndmask_b32_e64 v7, v7, 0, s11
	s_delay_alu instid0(VALU_DEP_1)
	v_or_b32_e32 v25, v7, v5
.LBB6_3771:                             ;   in Loop: Header=BB6_3629 Depth=2
	s_or_b32 exec_lo, exec_lo, s44
                                        ; implicit-def: $vgpr5
.LBB6_3772:                             ;   in Loop: Header=BB6_3629 Depth=2
	s_and_not1_saveexec_b32 s11, s43
; %bb.3773:                             ;   in Loop: Header=BB6_3629 Depth=2
	v_or_b32_e32 v25, 0x7e, v5
; %bb.3774:                             ;   in Loop: Header=BB6_3629 Depth=2
	s_or_b32 exec_lo, exec_lo, s11
                                        ; implicit-def: $vgpr5
.LBB6_3775:                             ;   in Loop: Header=BB6_3629 Depth=2
	s_and_not1_saveexec_b32 s11, s42
; %bb.3776:                             ;   in Loop: Header=BB6_3629 Depth=2
	v_or_b32_e32 v25, 0x7f, v5
; %bb.3777:                             ;   in Loop: Header=BB6_3629 Depth=2
	s_or_b32 exec_lo, exec_lo, s11
	v_dual_lshrrev_b32 v5, 16, v11 :: v_dual_mov_b32 v7, 0
	s_mov_b32 s11, exec_lo
	s_delay_alu instid0(VALU_DEP_1) | instskip(NEXT) | instid1(VALU_DEP_1)
	v_and_b32_e32 v8, 0xff, v5
	v_cmpx_ne_u16_e32 0, v8
	s_cbranch_execz .LBB6_3785
; %bb.3778:                             ;   in Loop: Header=BB6_3629 Depth=2
	v_bfrev_b32_e32 v7, 1
	s_mov_b32 s42, exec_lo
	v_cmpx_ne_u16_e32 0x80, v8
	s_cbranch_execz .LBB6_3784
; %bb.3779:                             ;   in Loop: Header=BB6_3629 Depth=2
	v_bfe_u32 v8, v11, 16, 7
	v_mov_b32_e32 v7, 0x7f800001
	s_mov_b32 s43, exec_lo
	s_delay_alu instid0(VALU_DEP_2)
	v_cmpx_ne_u32_e32 0x7f, v8
	s_cbranch_execz .LBB6_3783
; %bb.3780:                             ;   in Loop: Header=BB6_3629 Depth=2
	v_dual_lshrrev_b32 v7, 3, v8 :: v_dual_bitop2_b32 v54, 7, v5 bitop3:0x40
	s_mov_b32 s44, exec_lo
	s_delay_alu instid0(VALU_DEP_1)
	v_mov_b64_e32 v[20:21], v[54:55]
	v_cmpx_gt_u32_e32 8, v8
; %bb.3781:                             ;   in Loop: Header=BB6_3629 Depth=2
	v_clz_i32_u32_e32 v7, v54
	s_delay_alu instid0(VALU_DEP_1) | instskip(NEXT) | instid1(VALU_DEP_1)
	v_min_u32_e32 v7, 32, v7
	v_subrev_nc_u32_e32 v8, 28, v7
	s_delay_alu instid0(VALU_DEP_1) | instskip(NEXT) | instid1(VALU_DEP_1)
	v_lshlrev_b64_e32 v[20:21], v8, v[54:55]
	v_dual_sub_nc_u32 v7, 29, v7 :: v_dual_bitop2_b32 v20, 7, v20 bitop3:0x40
; %bb.3782:                             ;   in Loop: Header=BB6_3629 Depth=2
	s_or_b32 exec_lo, exec_lo, s44
	s_delay_alu instid0(VALU_DEP_1) | instskip(NEXT) | instid1(VALU_DEP_2)
	v_dual_lshlrev_b32 v5, 24, v5 :: v_dual_lshlrev_b32 v8, 20, v20
	v_lshl_add_u32 v7, v7, 23, 0x3c000000
	s_delay_alu instid0(VALU_DEP_2) | instskip(NEXT) | instid1(VALU_DEP_1)
	v_and_b32_e32 v5, 0x80000000, v5
	v_or3_b32 v7, v8, v5, v7
.LBB6_3783:                             ;   in Loop: Header=BB6_3629 Depth=2
	s_or_b32 exec_lo, exec_lo, s43
.LBB6_3784:                             ;   in Loop: Header=BB6_3629 Depth=2
	s_delay_alu instid0(SALU_CYCLE_1)
	s_or_b32 exec_lo, exec_lo, s42
.LBB6_3785:                             ;   in Loop: Header=BB6_3629 Depth=2
	s_delay_alu instid0(SALU_CYCLE_1) | instskip(NEXT) | instid1(VALU_DEP_1)
	s_or_b32 exec_lo, exec_lo, s11
	v_mul_f32_e32 v7, s12, v7
                                        ; implicit-def: $vgpr34
	s_mov_b32 s11, exec_lo
	s_delay_alu instid0(VALU_DEP_1) | instskip(SKIP_1) | instid1(VALU_DEP_2)
	v_and_b32_e32 v54, 0x7f800000, v7
	v_lshrrev_b32_e32 v5, 24, v7
	v_cmpx_ne_u64_e32 0x7f800000, v[54:55]
	s_xor_b32 s42, exec_lo, s11
	s_cbranch_execz .LBB6_3799
; %bb.3786:                             ;   in Loop: Header=BB6_3629 Depth=2
	v_and_b32_e32 v54, 0x7fffffff, v7
	v_and_b32_e32 v5, 0x80, v5
                                        ; implicit-def: $vgpr34
	s_mov_b32 s11, exec_lo
	s_delay_alu instid0(VALU_DEP_2)
	v_cmpx_gt_u64_e32 0x43e00001, v[54:55]
	s_xor_b32 s43, exec_lo, s11
	s_cbranch_execz .LBB6_3796
; %bb.3787:                             ;   in Loop: Header=BB6_3629 Depth=2
	v_mov_b32_e32 v34, 0
	s_mov_b32 s44, exec_lo
	v_cmpx_ne_u32_e32 0, v7
	s_cbranch_execz .LBB6_3795
; %bb.3788:                             ;   in Loop: Header=BB6_3629 Depth=2
	v_bfe_u32 v8, v7, 23, 8
	v_and_b32_e32 v7, 0x7fffff, v7
	s_delay_alu instid0(VALU_DEP_2) | instskip(SKIP_1) | instid1(VALU_DEP_3)
	v_sub_nc_u32_e32 v20, 0x79, v8
	v_cmp_gt_u32_e32 vcc_lo, 0x7a, v8
	v_or_b32_e32 v22, 0x800000, v7
	s_delay_alu instid0(VALU_DEP_3) | instskip(SKIP_1) | instid1(VALU_DEP_2)
	v_cndmask_b32_e32 v20, 0, v20, vcc_lo
	v_cmp_eq_u32_e32 vcc_lo, 0, v8
	v_cndmask_b32_e64 v26, v20, 0x78, vcc_lo
	s_delay_alu instid0(VALU_DEP_1) | instskip(SKIP_1) | instid1(VALU_DEP_2)
	v_dual_cndmask_b32 v54, v22, v7, vcc_lo :: v_dual_add_nc_u32 v20, 20, v26
	v_add_nc_u32_e32 v23, 19, v26
	v_lshlrev_b64_e64 v[20:21], v20, -1
	s_delay_alu instid0(VALU_DEP_2) | instskip(NEXT) | instid1(VALU_DEP_2)
	v_lshlrev_b64_e64 v[22:23], v23, 1
	v_bfi_b32 v31, v21, 0, 0
	s_delay_alu instid0(VALU_DEP_3) | instskip(SKIP_1) | instid1(VALU_DEP_2)
	v_bfi_b32 v30, v20, 0, v54
	v_lshrrev_b64 v[20:21], v26, v[54:55]
	v_cmp_eq_u64_e64 s11, v[30:31], v[22:23]
	s_delay_alu instid0(VALU_DEP_2)
	v_mov_b64_e32 v[22:23], v[20:21]
	s_and_saveexec_b32 s45, s11
; %bb.3789:                             ;   in Loop: Header=BB6_3629 Depth=2
	v_bfe_u32 v54, v20, 20, 1
	s_delay_alu instid0(VALU_DEP_1) | instskip(NEXT) | instid1(VALU_DEP_1)
	v_add_nc_u64_e32 v[22:23], v[20:21], v[54:55]
	v_add_nc_u64_e32 v[22:23], -1, v[22:23]
; %bb.3790:                             ;   in Loop: Header=BB6_3629 Depth=2
	s_or_b32 exec_lo, exec_lo, s45
	v_add_nc_u32_e32 v7, 0xffffff81, v8
	v_lshrrev_b32_e32 v8, 23, v20
	s_mov_b32 s11, exec_lo
	s_delay_alu instid0(VALU_DEP_2) | instskip(NEXT) | instid1(VALU_DEP_1)
	v_cndmask_b32_e64 v7, v7, 0xffffff82, vcc_lo
	v_add3_u32 v8, v26, v7, v8
	v_and_b32_e32 v7, 0xfffff, v22
	s_delay_alu instid0(VALU_DEP_2) | instskip(NEXT) | instid1(VALU_DEP_2)
	v_add_nc_u32_e32 v22, 6, v8
	v_add_nc_u32_e32 v54, v7, v20
                                        ; implicit-def: $vgpr20_vgpr21
                                        ; implicit-def: $vgpr7
	s_delay_alu instid0(VALU_DEP_2)
	v_cmpx_ne_u32_e32 0, v22
	s_xor_b32 s11, exec_lo, s11
; %bb.3791:                             ;   in Loop: Header=BB6_3629 Depth=2
	s_delay_alu instid0(VALU_DEP_2) | instskip(SKIP_2) | instid1(VALU_DEP_2)
	v_cmp_lt_u64_e32 vcc_lo, 0xffffff, v[54:55]
	v_add_nc_u32_e32 v7, 7, v8
	v_cndmask_b32_e64 v8, 0, 1, vcc_lo
	v_cndmask_b32_e32 v7, v22, v7, vcc_lo
	s_delay_alu instid0(VALU_DEP_2)
	v_lshrrev_b64 v[20:21], v8, v[54:55]
; %bb.3792:                             ;   in Loop: Header=BB6_3629 Depth=2
	s_and_not1_saveexec_b32 s11, s11
; %bb.3793:                             ;   in Loop: Header=BB6_3629 Depth=2
	v_mov_b64_e32 v[20:21], v[54:55]
	v_bfe_u32 v7, v54, 23, 1
; %bb.3794:                             ;   in Loop: Header=BB6_3629 Depth=2
	s_or_b32 exec_lo, exec_lo, s11
	s_delay_alu instid0(VALU_DEP_2) | instskip(NEXT) | instid1(VALU_DEP_2)
	v_lshrrev_b64 v[20:21], 20, v[20:21]
	v_cmp_gt_i32_e32 vcc_lo, 16, v7
	v_min_i32_e32 v8, 15, v7
	v_cmp_eq_u32_e64 s11, 0, v7
	s_delay_alu instid0(VALU_DEP_2) | instskip(SKIP_1) | instid1(VALU_DEP_2)
	v_dual_cndmask_b32 v21, 0, v21 :: v_dual_lshlrev_b32 v8, 3, v8
	v_cndmask_b32_e32 v20, 7, v20, vcc_lo
	v_and_b32_e32 v8, 0xf8, v8
	s_delay_alu instid0(VALU_DEP_2) | instskip(NEXT) | instid1(VALU_DEP_2)
	v_cmp_eq_u64_e32 vcc_lo, 0, v[20:21]
	v_and_or_b32 v7, v20, 7, v8
	s_and_b32 s11, s11, vcc_lo
	s_delay_alu instid0(VALU_DEP_1) | instid1(SALU_CYCLE_1)
	v_cndmask_b32_e64 v7, v7, 0, s11
	s_delay_alu instid0(VALU_DEP_1)
	v_or_b32_e32 v34, v7, v5
.LBB6_3795:                             ;   in Loop: Header=BB6_3629 Depth=2
	s_or_b32 exec_lo, exec_lo, s44
                                        ; implicit-def: $vgpr5
.LBB6_3796:                             ;   in Loop: Header=BB6_3629 Depth=2
	s_and_not1_saveexec_b32 s11, s43
; %bb.3797:                             ;   in Loop: Header=BB6_3629 Depth=2
	v_or_b32_e32 v34, 0x7e, v5
; %bb.3798:                             ;   in Loop: Header=BB6_3629 Depth=2
	s_or_b32 exec_lo, exec_lo, s11
                                        ; implicit-def: $vgpr5
.LBB6_3799:                             ;   in Loop: Header=BB6_3629 Depth=2
	s_and_not1_saveexec_b32 s11, s42
; %bb.3800:                             ;   in Loop: Header=BB6_3629 Depth=2
	v_or_b32_e32 v34, 0x7f, v5
; %bb.3801:                             ;   in Loop: Header=BB6_3629 Depth=2
	s_or_b32 exec_lo, exec_lo, s11
	v_mov_b32_e32 v7, 0
	s_mov_b32 s11, exec_lo
	v_cmpx_lt_u64_e64 s[14:15], v[10:11]
	s_cbranch_execz .LBB6_3809
; %bb.3802:                             ;   in Loop: Header=BB6_3629 Depth=2
	v_lshrrev_b32_e32 v5, 24, v11
	v_bfrev_b32_e32 v7, 1
	s_mov_b32 s42, exec_lo
	s_delay_alu instid0(VALU_DEP_2)
	v_cmpx_ne_u32_e32 0x80, v5
	s_cbranch_execz .LBB6_3808
; %bb.3803:                             ;   in Loop: Header=BB6_3629 Depth=2
	v_bfe_u32 v8, v11, 24, 7
	v_mov_b32_e32 v7, 0x7f800001
	s_mov_b32 s43, exec_lo
	s_delay_alu instid0(VALU_DEP_2)
	v_cmpx_ne_u32_e32 0x7f, v8
	s_cbranch_execz .LBB6_3807
; %bb.3804:                             ;   in Loop: Header=BB6_3629 Depth=2
	v_dual_lshrrev_b32 v7, 3, v8 :: v_dual_bitop2_b32 v54, 7, v5 bitop3:0x40
	s_mov_b32 s44, exec_lo
	s_delay_alu instid0(VALU_DEP_1)
	v_mov_b64_e32 v[10:11], v[54:55]
	v_cmpx_gt_u32_e32 8, v8
; %bb.3805:                             ;   in Loop: Header=BB6_3629 Depth=2
	v_clz_i32_u32_e32 v7, v54
	s_delay_alu instid0(VALU_DEP_1) | instskip(NEXT) | instid1(VALU_DEP_1)
	v_min_u32_e32 v7, 32, v7
	v_subrev_nc_u32_e32 v8, 28, v7
	s_delay_alu instid0(VALU_DEP_1) | instskip(NEXT) | instid1(VALU_DEP_1)
	v_lshlrev_b64_e32 v[10:11], v8, v[54:55]
	v_dual_sub_nc_u32 v7, 29, v7 :: v_dual_bitop2_b32 v10, 7, v10 bitop3:0x40
; %bb.3806:                             ;   in Loop: Header=BB6_3629 Depth=2
	s_or_b32 exec_lo, exec_lo, s44
	s_delay_alu instid0(VALU_DEP_1) | instskip(NEXT) | instid1(VALU_DEP_2)
	v_dual_lshlrev_b32 v5, 24, v5 :: v_dual_lshlrev_b32 v8, 20, v10
	v_lshl_add_u32 v7, v7, 23, 0x3c000000
	s_delay_alu instid0(VALU_DEP_2) | instskip(NEXT) | instid1(VALU_DEP_1)
	v_and_b32_e32 v5, 0x80000000, v5
	v_or3_b32 v7, v8, v5, v7
.LBB6_3807:                             ;   in Loop: Header=BB6_3629 Depth=2
	s_or_b32 exec_lo, exec_lo, s43
.LBB6_3808:                             ;   in Loop: Header=BB6_3629 Depth=2
	s_delay_alu instid0(SALU_CYCLE_1)
	s_or_b32 exec_lo, exec_lo, s42
.LBB6_3809:                             ;   in Loop: Header=BB6_3629 Depth=2
	s_delay_alu instid0(SALU_CYCLE_1) | instskip(NEXT) | instid1(VALU_DEP_1)
	s_or_b32 exec_lo, exec_lo, s11
	v_mul_f32_e32 v7, s12, v7
                                        ; implicit-def: $vgpr35
	s_mov_b32 s11, exec_lo
	s_delay_alu instid0(VALU_DEP_1) | instskip(SKIP_1) | instid1(VALU_DEP_2)
	v_and_b32_e32 v54, 0x7f800000, v7
	v_lshrrev_b32_e32 v5, 24, v7
	v_cmpx_ne_u64_e32 0x7f800000, v[54:55]
	s_xor_b32 s42, exec_lo, s11
	s_cbranch_execz .LBB6_3823
; %bb.3810:                             ;   in Loop: Header=BB6_3629 Depth=2
	v_and_b32_e32 v54, 0x7fffffff, v7
	v_and_b32_e32 v5, 0x80, v5
                                        ; implicit-def: $vgpr35
	s_mov_b32 s11, exec_lo
	s_delay_alu instid0(VALU_DEP_2)
	v_cmpx_gt_u64_e32 0x43e00001, v[54:55]
	s_xor_b32 s43, exec_lo, s11
	s_cbranch_execz .LBB6_3820
; %bb.3811:                             ;   in Loop: Header=BB6_3629 Depth=2
	v_mov_b32_e32 v35, 0
	s_mov_b32 s44, exec_lo
	v_cmpx_ne_u32_e32 0, v7
	s_cbranch_execz .LBB6_3819
; %bb.3812:                             ;   in Loop: Header=BB6_3629 Depth=2
	v_bfe_u32 v8, v7, 23, 8
	v_and_b32_e32 v7, 0x7fffff, v7
	s_delay_alu instid0(VALU_DEP_2) | instskip(SKIP_1) | instid1(VALU_DEP_3)
	v_sub_nc_u32_e32 v10, 0x79, v8
	v_cmp_gt_u32_e32 vcc_lo, 0x7a, v8
	v_or_b32_e32 v20, 0x800000, v7
	s_delay_alu instid0(VALU_DEP_3) | instskip(SKIP_1) | instid1(VALU_DEP_3)
	v_cndmask_b32_e32 v10, 0, v10, vcc_lo
	v_cmp_eq_u32_e32 vcc_lo, 0, v8
	v_cndmask_b32_e32 v54, v20, v7, vcc_lo
	s_delay_alu instid0(VALU_DEP_3) | instskip(NEXT) | instid1(VALU_DEP_1)
	v_cndmask_b32_e64 v22, v10, 0x78, vcc_lo
	v_dual_add_nc_u32 v10, 20, v22 :: v_dual_add_nc_u32 v21, 19, v22
	s_delay_alu instid0(VALU_DEP_1) | instskip(NEXT) | instid1(VALU_DEP_2)
	v_lshlrev_b64_e64 v[10:11], v10, -1
	v_lshlrev_b64_e64 v[20:21], v21, 1
	s_delay_alu instid0(VALU_DEP_2) | instskip(NEXT) | instid1(VALU_DEP_3)
	v_bfi_b32 v27, v11, 0, 0
	v_bfi_b32 v26, v10, 0, v54
	v_lshrrev_b64 v[10:11], v22, v[54:55]
	s_delay_alu instid0(VALU_DEP_2) | instskip(NEXT) | instid1(VALU_DEP_2)
	v_cmp_eq_u64_e64 s11, v[26:27], v[20:21]
	v_mov_b64_e32 v[20:21], v[10:11]
	s_and_saveexec_b32 s45, s11
; %bb.3813:                             ;   in Loop: Header=BB6_3629 Depth=2
	v_bfe_u32 v54, v10, 20, 1
	s_delay_alu instid0(VALU_DEP_1) | instskip(NEXT) | instid1(VALU_DEP_1)
	v_add_nc_u64_e32 v[20:21], v[10:11], v[54:55]
	v_add_nc_u64_e32 v[20:21], -1, v[20:21]
; %bb.3814:                             ;   in Loop: Header=BB6_3629 Depth=2
	s_or_b32 exec_lo, exec_lo, s45
	v_add_nc_u32_e32 v7, 0xffffff81, v8
	v_lshrrev_b32_e32 v8, 23, v10
	s_mov_b32 s11, exec_lo
	s_delay_alu instid0(VALU_DEP_2) | instskip(NEXT) | instid1(VALU_DEP_1)
	v_cndmask_b32_e64 v7, v7, 0xffffff82, vcc_lo
	v_add3_u32 v8, v22, v7, v8
	v_and_b32_e32 v7, 0xfffff, v20
	s_delay_alu instid0(VALU_DEP_1) | instskip(NEXT) | instid1(VALU_DEP_1)
	v_dual_add_nc_u32 v20, 6, v8 :: v_dual_add_nc_u32 v54, v7, v10
                                        ; implicit-def: $vgpr10_vgpr11
                                        ; implicit-def: $vgpr7
	v_cmpx_ne_u32_e32 0, v20
	s_xor_b32 s11, exec_lo, s11
; %bb.3815:                             ;   in Loop: Header=BB6_3629 Depth=2
	s_delay_alu instid0(VALU_DEP_2) | instskip(SKIP_2) | instid1(VALU_DEP_2)
	v_cmp_lt_u64_e32 vcc_lo, 0xffffff, v[54:55]
	v_add_nc_u32_e32 v7, 7, v8
	v_cndmask_b32_e64 v8, 0, 1, vcc_lo
	v_cndmask_b32_e32 v7, v20, v7, vcc_lo
	s_delay_alu instid0(VALU_DEP_2)
	v_lshrrev_b64 v[10:11], v8, v[54:55]
; %bb.3816:                             ;   in Loop: Header=BB6_3629 Depth=2
	s_and_not1_saveexec_b32 s11, s11
; %bb.3817:                             ;   in Loop: Header=BB6_3629 Depth=2
	v_mov_b64_e32 v[10:11], v[54:55]
	v_bfe_u32 v7, v54, 23, 1
; %bb.3818:                             ;   in Loop: Header=BB6_3629 Depth=2
	s_or_b32 exec_lo, exec_lo, s11
	s_delay_alu instid0(VALU_DEP_2) | instskip(NEXT) | instid1(VALU_DEP_2)
	v_lshrrev_b64 v[10:11], 20, v[10:11]
	v_cmp_gt_i32_e32 vcc_lo, 16, v7
	v_min_i32_e32 v8, 15, v7
	v_cmp_eq_u32_e64 s11, 0, v7
	s_delay_alu instid0(VALU_DEP_2) | instskip(SKIP_1) | instid1(VALU_DEP_2)
	v_dual_cndmask_b32 v10, 7, v10, vcc_lo :: v_dual_lshlrev_b32 v8, 3, v8
	v_cndmask_b32_e32 v11, 0, v11, vcc_lo
	v_and_b32_e32 v8, 0xf8, v8
	s_delay_alu instid0(VALU_DEP_2) | instskip(NEXT) | instid1(VALU_DEP_2)
	v_cmp_eq_u64_e32 vcc_lo, 0, v[10:11]
	v_and_or_b32 v7, v10, 7, v8
	s_and_b32 s11, s11, vcc_lo
	s_delay_alu instid0(VALU_DEP_1) | instid1(SALU_CYCLE_1)
	v_cndmask_b32_e64 v7, v7, 0, s11
	s_delay_alu instid0(VALU_DEP_1)
	v_or_b32_e32 v35, v7, v5
.LBB6_3819:                             ;   in Loop: Header=BB6_3629 Depth=2
	s_or_b32 exec_lo, exec_lo, s44
                                        ; implicit-def: $vgpr5
.LBB6_3820:                             ;   in Loop: Header=BB6_3629 Depth=2
	s_and_not1_saveexec_b32 s11, s43
; %bb.3821:                             ;   in Loop: Header=BB6_3629 Depth=2
	v_or_b32_e32 v35, 0x7e, v5
; %bb.3822:                             ;   in Loop: Header=BB6_3629 Depth=2
	s_or_b32 exec_lo, exec_lo, s11
                                        ; implicit-def: $vgpr5
.LBB6_3823:                             ;   in Loop: Header=BB6_3629 Depth=2
	s_and_not1_saveexec_b32 s11, s42
; %bb.3824:                             ;   in Loop: Header=BB6_3629 Depth=2
	v_or_b32_e32 v35, 0x7f, v5
; %bb.3825:                             ;   in Loop: Header=BB6_3629 Depth=2
	s_or_b32 exec_lo, exec_lo, s11
	v_and_b32_e32 v7, 0xff, v12
	v_mov_b32_e32 v5, 0
	s_mov_b32 s11, exec_lo
	s_delay_alu instid0(VALU_DEP_2)
	v_cmpx_ne_u16_e32 0, v7
	s_cbranch_execz .LBB6_3831
; %bb.3826:                             ;   in Loop: Header=BB6_3629 Depth=2
	v_bfrev_b32_e32 v5, 1
	s_mov_b32 s42, exec_lo
	v_cmpx_ne_u16_e32 0x80, v7
	s_cbranch_execz .LBB6_3830
; %bb.3827:                             ;   in Loop: Header=BB6_3629 Depth=2
	v_and_b32_e32 v7, 0x7f, v12
	v_mov_b32_e32 v5, 0x7f800001
	s_mov_b32 s43, exec_lo
	s_delay_alu instid0(VALU_DEP_2)
	v_cmpx_ne_u32_e32 0x7f, v7
	s_cbranch_execz .LBB6_3829
; %bb.3828:                             ;   in Loop: Header=BB6_3629 Depth=2
	v_dual_lshrrev_b32 v8, 3, v7 :: v_dual_bitop2_b32 v5, 7, v12 bitop3:0x40
	v_cmp_gt_u32_e32 vcc_lo, 8, v7
	s_delay_alu instid0(VALU_DEP_2) | instskip(NEXT) | instid1(VALU_DEP_1)
	v_clz_i32_u32_e32 v5, v5
	v_min_u32_e32 v5, 32, v5
	s_delay_alu instid0(VALU_DEP_1) | instskip(NEXT) | instid1(VALU_DEP_1)
	v_subrev_nc_u32_e32 v10, 28, v5
	v_dual_sub_nc_u32 v5, 29, v5 :: v_dual_cndmask_b32 v7, 0, v10, vcc_lo
	s_delay_alu instid0(VALU_DEP_1) | instskip(NEXT) | instid1(VALU_DEP_2)
	v_cndmask_b32_e32 v5, v8, v5, vcc_lo
	v_lshlrev_b64_e32 v[10:11], v7, v[12:13]
	v_lshlrev_b32_e32 v7, 24, v12
	s_delay_alu instid0(VALU_DEP_3) | instskip(NEXT) | instid1(VALU_DEP_2)
	v_lshl_add_u32 v5, v5, 23, 0x3c000000
	v_and_b32_e32 v7, 0x80000000, v7
	s_delay_alu instid0(VALU_DEP_4) | instskip(NEXT) | instid1(VALU_DEP_1)
	v_lshlrev_b32_e32 v8, 20, v10
	v_and_b32_e32 v8, 0x700000, v8
	s_delay_alu instid0(VALU_DEP_1)
	v_or3_b32 v5, v8, v7, v5
.LBB6_3829:                             ;   in Loop: Header=BB6_3629 Depth=2
	s_or_b32 exec_lo, exec_lo, s43
.LBB6_3830:                             ;   in Loop: Header=BB6_3629 Depth=2
	s_delay_alu instid0(SALU_CYCLE_1)
	s_or_b32 exec_lo, exec_lo, s42
.LBB6_3831:                             ;   in Loop: Header=BB6_3629 Depth=2
	s_delay_alu instid0(SALU_CYCLE_1) | instskip(NEXT) | instid1(VALU_DEP_1)
	s_or_b32 exec_lo, exec_lo, s11
	v_mul_f32_e32 v7, s12, v5
                                        ; implicit-def: $vgpr8
	s_mov_b32 s11, exec_lo
	s_delay_alu instid0(VALU_DEP_1) | instskip(SKIP_1) | instid1(VALU_DEP_2)
	v_and_b32_e32 v54, 0x7f800000, v7
	v_lshrrev_b32_e32 v5, 24, v7
	v_cmpx_ne_u64_e32 0x7f800000, v[54:55]
	s_xor_b32 s42, exec_lo, s11
	s_cbranch_execz .LBB6_3845
; %bb.3832:                             ;   in Loop: Header=BB6_3629 Depth=2
	v_and_b32_e32 v54, 0x7fffffff, v7
	v_and_b32_e32 v5, 0x80, v5
                                        ; implicit-def: $vgpr8
	s_mov_b32 s11, exec_lo
	s_delay_alu instid0(VALU_DEP_2)
	v_cmpx_gt_u64_e32 0x43e00001, v[54:55]
	s_xor_b32 s43, exec_lo, s11
	s_cbranch_execz .LBB6_3842
; %bb.3833:                             ;   in Loop: Header=BB6_3629 Depth=2
	v_mov_b32_e32 v8, 0
	s_mov_b32 s44, exec_lo
	v_cmpx_ne_u32_e32 0, v7
	s_cbranch_execz .LBB6_3841
; %bb.3834:                             ;   in Loop: Header=BB6_3629 Depth=2
	v_bfe_u32 v8, v7, 23, 8
	v_and_b32_e32 v7, 0x7fffff, v7
	s_delay_alu instid0(VALU_DEP_2) | instskip(SKIP_1) | instid1(VALU_DEP_3)
	v_sub_nc_u32_e32 v10, 0x79, v8
	v_cmp_gt_u32_e32 vcc_lo, 0x7a, v8
	v_or_b32_e32 v20, 0x800000, v7
	s_delay_alu instid0(VALU_DEP_3) | instskip(SKIP_1) | instid1(VALU_DEP_3)
	v_cndmask_b32_e32 v10, 0, v10, vcc_lo
	v_cmp_eq_u32_e32 vcc_lo, 0, v8
	v_cndmask_b32_e32 v54, v20, v7, vcc_lo
	s_delay_alu instid0(VALU_DEP_3) | instskip(NEXT) | instid1(VALU_DEP_1)
	v_cndmask_b32_e64 v22, v10, 0x78, vcc_lo
	v_dual_add_nc_u32 v10, 20, v22 :: v_dual_add_nc_u32 v21, 19, v22
	s_delay_alu instid0(VALU_DEP_1) | instskip(NEXT) | instid1(VALU_DEP_2)
	v_lshlrev_b64_e64 v[10:11], v10, -1
	v_lshlrev_b64_e64 v[20:21], v21, 1
	s_delay_alu instid0(VALU_DEP_2) | instskip(NEXT) | instid1(VALU_DEP_3)
	v_bfi_b32 v27, v11, 0, 0
	v_bfi_b32 v26, v10, 0, v54
	v_lshrrev_b64 v[10:11], v22, v[54:55]
	s_delay_alu instid0(VALU_DEP_2) | instskip(NEXT) | instid1(VALU_DEP_2)
	v_cmp_eq_u64_e64 s11, v[26:27], v[20:21]
	v_mov_b64_e32 v[20:21], v[10:11]
	s_and_saveexec_b32 s45, s11
; %bb.3835:                             ;   in Loop: Header=BB6_3629 Depth=2
	v_bfe_u32 v54, v10, 20, 1
	s_delay_alu instid0(VALU_DEP_1) | instskip(NEXT) | instid1(VALU_DEP_1)
	v_add_nc_u64_e32 v[20:21], v[10:11], v[54:55]
	v_add_nc_u64_e32 v[20:21], -1, v[20:21]
; %bb.3836:                             ;   in Loop: Header=BB6_3629 Depth=2
	s_or_b32 exec_lo, exec_lo, s45
	v_add_nc_u32_e32 v7, 0xffffff81, v8
	v_lshrrev_b32_e32 v8, 23, v10
	s_mov_b32 s11, exec_lo
	s_delay_alu instid0(VALU_DEP_2) | instskip(NEXT) | instid1(VALU_DEP_1)
	v_cndmask_b32_e64 v7, v7, 0xffffff82, vcc_lo
	v_add3_u32 v8, v22, v7, v8
	v_and_b32_e32 v7, 0xfffff, v20
	s_delay_alu instid0(VALU_DEP_1) | instskip(NEXT) | instid1(VALU_DEP_1)
	v_dual_add_nc_u32 v20, 6, v8 :: v_dual_add_nc_u32 v54, v7, v10
                                        ; implicit-def: $vgpr10_vgpr11
                                        ; implicit-def: $vgpr7
	v_cmpx_ne_u32_e32 0, v20
	s_xor_b32 s11, exec_lo, s11
; %bb.3837:                             ;   in Loop: Header=BB6_3629 Depth=2
	s_delay_alu instid0(VALU_DEP_2) | instskip(SKIP_2) | instid1(VALU_DEP_2)
	v_cmp_lt_u64_e32 vcc_lo, 0xffffff, v[54:55]
	v_add_nc_u32_e32 v7, 7, v8
	v_cndmask_b32_e64 v8, 0, 1, vcc_lo
	v_cndmask_b32_e32 v7, v20, v7, vcc_lo
	s_delay_alu instid0(VALU_DEP_2)
	v_lshrrev_b64 v[10:11], v8, v[54:55]
; %bb.3838:                             ;   in Loop: Header=BB6_3629 Depth=2
	s_and_not1_saveexec_b32 s11, s11
; %bb.3839:                             ;   in Loop: Header=BB6_3629 Depth=2
	v_mov_b64_e32 v[10:11], v[54:55]
	v_bfe_u32 v7, v54, 23, 1
; %bb.3840:                             ;   in Loop: Header=BB6_3629 Depth=2
	s_or_b32 exec_lo, exec_lo, s11
	s_delay_alu instid0(VALU_DEP_2) | instskip(NEXT) | instid1(VALU_DEP_2)
	v_lshrrev_b64 v[10:11], 20, v[10:11]
	v_cmp_gt_i32_e32 vcc_lo, 16, v7
	v_min_i32_e32 v8, 15, v7
	v_cmp_eq_u32_e64 s11, 0, v7
	s_delay_alu instid0(VALU_DEP_2) | instskip(SKIP_1) | instid1(VALU_DEP_2)
	v_dual_cndmask_b32 v10, 7, v10, vcc_lo :: v_dual_lshlrev_b32 v8, 3, v8
	v_cndmask_b32_e32 v11, 0, v11, vcc_lo
	v_and_b32_e32 v8, 0xf8, v8
	s_delay_alu instid0(VALU_DEP_2) | instskip(NEXT) | instid1(VALU_DEP_2)
	v_cmp_eq_u64_e32 vcc_lo, 0, v[10:11]
	v_and_or_b32 v7, v10, 7, v8
	s_and_b32 s11, s11, vcc_lo
	s_delay_alu instid0(VALU_DEP_1) | instid1(SALU_CYCLE_1)
	v_cndmask_b32_e64 v7, v7, 0, s11
	s_delay_alu instid0(VALU_DEP_1)
	v_or_b32_e32 v8, v7, v5
.LBB6_3841:                             ;   in Loop: Header=BB6_3629 Depth=2
	s_or_b32 exec_lo, exec_lo, s44
                                        ; implicit-def: $vgpr5
.LBB6_3842:                             ;   in Loop: Header=BB6_3629 Depth=2
	s_and_not1_saveexec_b32 s11, s43
; %bb.3843:                             ;   in Loop: Header=BB6_3629 Depth=2
	v_or_b32_e32 v8, 0x7e, v5
; %bb.3844:                             ;   in Loop: Header=BB6_3629 Depth=2
	s_or_b32 exec_lo, exec_lo, s11
                                        ; implicit-def: $vgpr5
.LBB6_3845:                             ;   in Loop: Header=BB6_3629 Depth=2
	s_and_not1_saveexec_b32 s11, s42
; %bb.3846:                             ;   in Loop: Header=BB6_3629 Depth=2
	v_or_b32_e32 v8, 0x7f, v5
; %bb.3847:                             ;   in Loop: Header=BB6_3629 Depth=2
	s_or_b32 exec_lo, exec_lo, s11
	v_lshrrev_b16 v7, 8, v12
	v_mov_b32_e32 v5, 0
	s_mov_b32 s11, exec_lo
	s_delay_alu instid0(VALU_DEP_2)
	v_cmpx_ne_u16_e32 0, v7
	s_cbranch_execz .LBB6_3855
; %bb.3848:                             ;   in Loop: Header=BB6_3629 Depth=2
	v_bfrev_b32_e32 v5, 1
	s_mov_b32 s42, exec_lo
	v_cmpx_ne_u16_e32 0x80, v7
	s_cbranch_execz .LBB6_3854
; %bb.3849:                             ;   in Loop: Header=BB6_3629 Depth=2
	v_and_b32_e32 v10, 0xffff, v7
	v_mov_b32_e32 v5, 0x7f800001
	s_mov_b32 s43, exec_lo
	s_delay_alu instid0(VALU_DEP_2) | instskip(NEXT) | instid1(VALU_DEP_1)
	v_and_b32_e32 v7, 0x7f, v10
	v_cmpx_ne_u32_e32 0x7f, v7
	s_cbranch_execz .LBB6_3853
; %bb.3850:                             ;   in Loop: Header=BB6_3629 Depth=2
	v_dual_lshrrev_b32 v5, 3, v7 :: v_dual_bitop2_b32 v54, 7, v10 bitop3:0x40
	s_mov_b32 s44, exec_lo
	s_delay_alu instid0(VALU_DEP_1)
	v_mov_b64_e32 v[10:11], v[54:55]
	v_cmpx_gt_u32_e32 8, v7
; %bb.3851:                             ;   in Loop: Header=BB6_3629 Depth=2
	v_clz_i32_u32_e32 v5, v54
	s_delay_alu instid0(VALU_DEP_1) | instskip(NEXT) | instid1(VALU_DEP_1)
	v_min_u32_e32 v5, 32, v5
	v_subrev_nc_u32_e32 v7, 28, v5
	s_delay_alu instid0(VALU_DEP_1) | instskip(NEXT) | instid1(VALU_DEP_1)
	v_lshlrev_b64_e32 v[10:11], v7, v[54:55]
	v_dual_sub_nc_u32 v5, 29, v5 :: v_dual_bitop2_b32 v10, 7, v10 bitop3:0x40
; %bb.3852:                             ;   in Loop: Header=BB6_3629 Depth=2
	s_or_b32 exec_lo, exec_lo, s44
	s_delay_alu instid0(VALU_DEP_1) | instskip(NEXT) | instid1(VALU_DEP_2)
	v_dual_lshlrev_b32 v7, 16, v12 :: v_dual_lshlrev_b32 v10, 20, v10
	v_lshl_add_u32 v5, v5, 23, 0x3c000000
	s_delay_alu instid0(VALU_DEP_2) | instskip(NEXT) | instid1(VALU_DEP_1)
	v_and_b32_e32 v7, 0x80000000, v7
	v_or3_b32 v5, v10, v7, v5
.LBB6_3853:                             ;   in Loop: Header=BB6_3629 Depth=2
	s_or_b32 exec_lo, exec_lo, s43
.LBB6_3854:                             ;   in Loop: Header=BB6_3629 Depth=2
	s_delay_alu instid0(SALU_CYCLE_1)
	s_or_b32 exec_lo, exec_lo, s42
.LBB6_3855:                             ;   in Loop: Header=BB6_3629 Depth=2
	s_delay_alu instid0(SALU_CYCLE_1) | instskip(NEXT) | instid1(VALU_DEP_1)
	s_or_b32 exec_lo, exec_lo, s11
	v_mul_f32_e32 v7, s12, v5
                                        ; implicit-def: $vgpr27
	s_mov_b32 s11, exec_lo
	s_delay_alu instid0(VALU_DEP_1) | instskip(SKIP_1) | instid1(VALU_DEP_2)
	v_and_b32_e32 v54, 0x7f800000, v7
	v_lshrrev_b32_e32 v5, 24, v7
	v_cmpx_ne_u64_e32 0x7f800000, v[54:55]
	s_xor_b32 s42, exec_lo, s11
	s_cbranch_execz .LBB6_3869
; %bb.3856:                             ;   in Loop: Header=BB6_3629 Depth=2
	v_and_b32_e32 v54, 0x7fffffff, v7
	v_and_b32_e32 v5, 0x80, v5
                                        ; implicit-def: $vgpr27
	s_mov_b32 s11, exec_lo
	s_delay_alu instid0(VALU_DEP_2)
	v_cmpx_gt_u64_e32 0x43e00001, v[54:55]
	s_xor_b32 s43, exec_lo, s11
	s_cbranch_execz .LBB6_3866
; %bb.3857:                             ;   in Loop: Header=BB6_3629 Depth=2
	v_mov_b32_e32 v27, 0
	s_mov_b32 s44, exec_lo
	v_cmpx_ne_u32_e32 0, v7
	s_cbranch_execz .LBB6_3865
; %bb.3858:                             ;   in Loop: Header=BB6_3629 Depth=2
	v_bfe_u32 v22, v7, 23, 8
	v_and_b32_e32 v7, 0x7fffff, v7
	s_delay_alu instid0(VALU_DEP_2) | instskip(SKIP_1) | instid1(VALU_DEP_3)
	v_sub_nc_u32_e32 v10, 0x79, v22
	v_cmp_gt_u32_e32 vcc_lo, 0x7a, v22
	v_or_b32_e32 v20, 0x800000, v7
	s_delay_alu instid0(VALU_DEP_3) | instskip(SKIP_1) | instid1(VALU_DEP_2)
	v_cndmask_b32_e32 v10, 0, v10, vcc_lo
	v_cmp_eq_u32_e32 vcc_lo, 0, v22
	v_cndmask_b32_e64 v23, v10, 0x78, vcc_lo
	s_delay_alu instid0(VALU_DEP_4) | instskip(NEXT) | instid1(VALU_DEP_2)
	v_cndmask_b32_e32 v54, v20, v7, vcc_lo
	v_dual_add_nc_u32 v10, 20, v23 :: v_dual_add_nc_u32 v21, 19, v23
	s_delay_alu instid0(VALU_DEP_1) | instskip(NEXT) | instid1(VALU_DEP_2)
	v_lshlrev_b64_e64 v[10:11], v10, -1
	v_lshlrev_b64_e64 v[20:21], v21, 1
	s_delay_alu instid0(VALU_DEP_2) | instskip(NEXT) | instid1(VALU_DEP_3)
	v_bfi_b32 v27, v11, 0, 0
	v_bfi_b32 v26, v10, 0, v54
	v_lshrrev_b64 v[10:11], v23, v[54:55]
	s_delay_alu instid0(VALU_DEP_2) | instskip(NEXT) | instid1(VALU_DEP_2)
	v_cmp_eq_u64_e64 s11, v[26:27], v[20:21]
	v_mov_b64_e32 v[20:21], v[10:11]
	s_and_saveexec_b32 s45, s11
; %bb.3859:                             ;   in Loop: Header=BB6_3629 Depth=2
	v_bfe_u32 v54, v10, 20, 1
	s_delay_alu instid0(VALU_DEP_1) | instskip(NEXT) | instid1(VALU_DEP_1)
	v_add_nc_u64_e32 v[20:21], v[10:11], v[54:55]
	v_add_nc_u64_e32 v[20:21], -1, v[20:21]
; %bb.3860:                             ;   in Loop: Header=BB6_3629 Depth=2
	s_or_b32 exec_lo, exec_lo, s45
	v_add_nc_u32_e32 v7, 0xffffff81, v22
	v_lshrrev_b32_e32 v11, 23, v10
	s_mov_b32 s11, exec_lo
	s_delay_alu instid0(VALU_DEP_2) | instskip(NEXT) | instid1(VALU_DEP_1)
	v_cndmask_b32_e64 v7, v7, 0xffffff82, vcc_lo
	v_add3_u32 v21, v23, v7, v11
	v_and_b32_e32 v7, 0xfffff, v20
	s_delay_alu instid0(VALU_DEP_1) | instskip(NEXT) | instid1(VALU_DEP_1)
	v_dual_add_nc_u32 v20, 6, v21 :: v_dual_add_nc_u32 v54, v7, v10
                                        ; implicit-def: $vgpr10_vgpr11
                                        ; implicit-def: $vgpr7
	v_cmpx_ne_u32_e32 0, v20
	s_xor_b32 s11, exec_lo, s11
; %bb.3861:                             ;   in Loop: Header=BB6_3629 Depth=2
	s_delay_alu instid0(VALU_DEP_2) | instskip(SKIP_2) | instid1(VALU_DEP_2)
	v_cmp_lt_u64_e32 vcc_lo, 0xffffff, v[54:55]
	v_add_nc_u32_e32 v7, 7, v21
	v_cndmask_b32_e64 v10, 0, 1, vcc_lo
	v_cndmask_b32_e32 v7, v20, v7, vcc_lo
	s_delay_alu instid0(VALU_DEP_2)
	v_lshrrev_b64 v[10:11], v10, v[54:55]
; %bb.3862:                             ;   in Loop: Header=BB6_3629 Depth=2
	s_and_not1_saveexec_b32 s11, s11
; %bb.3863:                             ;   in Loop: Header=BB6_3629 Depth=2
	v_mov_b64_e32 v[10:11], v[54:55]
	v_bfe_u32 v7, v54, 23, 1
; %bb.3864:                             ;   in Loop: Header=BB6_3629 Depth=2
	s_or_b32 exec_lo, exec_lo, s11
	s_delay_alu instid0(VALU_DEP_2) | instskip(NEXT) | instid1(VALU_DEP_2)
	v_lshrrev_b64 v[10:11], 20, v[10:11]
	v_cmp_gt_i32_e32 vcc_lo, 16, v7
	v_min_i32_e32 v20, 15, v7
	v_cmp_eq_u32_e64 s11, 0, v7
	s_delay_alu instid0(VALU_DEP_2) | instskip(SKIP_1) | instid1(VALU_DEP_2)
	v_dual_cndmask_b32 v10, 7, v10, vcc_lo :: v_dual_lshlrev_b32 v20, 3, v20
	v_cndmask_b32_e32 v11, 0, v11, vcc_lo
	v_and_b32_e32 v20, 0xf8, v20
	s_delay_alu instid0(VALU_DEP_2) | instskip(NEXT) | instid1(VALU_DEP_2)
	v_cmp_eq_u64_e32 vcc_lo, 0, v[10:11]
	v_and_or_b32 v7, v10, 7, v20
	s_and_b32 s11, s11, vcc_lo
	s_delay_alu instid0(VALU_DEP_1) | instid1(SALU_CYCLE_1)
	v_cndmask_b32_e64 v7, v7, 0, s11
	s_delay_alu instid0(VALU_DEP_1)
	v_or_b32_e32 v27, v7, v5
.LBB6_3865:                             ;   in Loop: Header=BB6_3629 Depth=2
	s_or_b32 exec_lo, exec_lo, s44
                                        ; implicit-def: $vgpr5
.LBB6_3866:                             ;   in Loop: Header=BB6_3629 Depth=2
	s_and_not1_saveexec_b32 s11, s43
; %bb.3867:                             ;   in Loop: Header=BB6_3629 Depth=2
	v_or_b32_e32 v27, 0x7e, v5
; %bb.3868:                             ;   in Loop: Header=BB6_3629 Depth=2
	s_or_b32 exec_lo, exec_lo, s11
                                        ; implicit-def: $vgpr5
.LBB6_3869:                             ;   in Loop: Header=BB6_3629 Depth=2
	s_and_not1_saveexec_b32 s11, s42
; %bb.3870:                             ;   in Loop: Header=BB6_3629 Depth=2
	v_or_b32_e32 v27, 0x7f, v5
; %bb.3871:                             ;   in Loop: Header=BB6_3629 Depth=2
	s_or_b32 exec_lo, exec_lo, s11
	v_dual_lshrrev_b32 v5, 16, v12 :: v_dual_mov_b32 v7, 0
	s_mov_b32 s11, exec_lo
	s_delay_alu instid0(VALU_DEP_1) | instskip(NEXT) | instid1(VALU_DEP_1)
	v_and_b32_e32 v10, 0xff, v5
	v_cmpx_ne_u16_e32 0, v10
	s_cbranch_execz .LBB6_3879
; %bb.3872:                             ;   in Loop: Header=BB6_3629 Depth=2
	v_bfrev_b32_e32 v7, 1
	s_mov_b32 s42, exec_lo
	v_cmpx_ne_u16_e32 0x80, v10
	s_cbranch_execz .LBB6_3878
; %bb.3873:                             ;   in Loop: Header=BB6_3629 Depth=2
	v_bfe_u32 v10, v12, 16, 7
	v_mov_b32_e32 v7, 0x7f800001
	s_mov_b32 s43, exec_lo
	s_delay_alu instid0(VALU_DEP_2)
	v_cmpx_ne_u32_e32 0x7f, v10
	s_cbranch_execz .LBB6_3877
; %bb.3874:                             ;   in Loop: Header=BB6_3629 Depth=2
	v_dual_lshrrev_b32 v7, 3, v10 :: v_dual_bitop2_b32 v54, 7, v5 bitop3:0x40
	v_cmp_gt_u32_e32 vcc_lo, 8, v10
	s_delay_alu instid0(VALU_DEP_2)
	v_mov_b64_e32 v[10:11], v[54:55]
	s_and_saveexec_b32 s44, vcc_lo
; %bb.3875:                             ;   in Loop: Header=BB6_3629 Depth=2
	v_clz_i32_u32_e32 v7, v54
	s_delay_alu instid0(VALU_DEP_1) | instskip(NEXT) | instid1(VALU_DEP_1)
	v_min_u32_e32 v7, 32, v7
	v_subrev_nc_u32_e32 v10, 28, v7
	s_delay_alu instid0(VALU_DEP_1) | instskip(NEXT) | instid1(VALU_DEP_1)
	v_lshlrev_b64_e32 v[10:11], v10, v[54:55]
	v_dual_sub_nc_u32 v7, 29, v7 :: v_dual_bitop2_b32 v10, 7, v10 bitop3:0x40
; %bb.3876:                             ;   in Loop: Header=BB6_3629 Depth=2
	s_or_b32 exec_lo, exec_lo, s44
	s_delay_alu instid0(VALU_DEP_1) | instskip(NEXT) | instid1(VALU_DEP_2)
	v_dual_lshlrev_b32 v5, 24, v5 :: v_dual_lshlrev_b32 v10, 20, v10
	v_lshl_add_u32 v7, v7, 23, 0x3c000000
	s_delay_alu instid0(VALU_DEP_2) | instskip(NEXT) | instid1(VALU_DEP_1)
	v_and_b32_e32 v5, 0x80000000, v5
	v_or3_b32 v7, v10, v5, v7
.LBB6_3877:                             ;   in Loop: Header=BB6_3629 Depth=2
	s_or_b32 exec_lo, exec_lo, s43
.LBB6_3878:                             ;   in Loop: Header=BB6_3629 Depth=2
	s_delay_alu instid0(SALU_CYCLE_1)
	s_or_b32 exec_lo, exec_lo, s42
.LBB6_3879:                             ;   in Loop: Header=BB6_3629 Depth=2
	s_delay_alu instid0(SALU_CYCLE_1) | instskip(NEXT) | instid1(VALU_DEP_1)
	s_or_b32 exec_lo, exec_lo, s11
	v_mul_f32_e32 v7, s12, v7
                                        ; implicit-def: $vgpr30
	s_mov_b32 s11, exec_lo
	s_delay_alu instid0(VALU_DEP_1) | instskip(SKIP_1) | instid1(VALU_DEP_2)
	v_and_b32_e32 v54, 0x7f800000, v7
	v_lshrrev_b32_e32 v5, 24, v7
	v_cmpx_ne_u64_e32 0x7f800000, v[54:55]
	s_xor_b32 s42, exec_lo, s11
	s_cbranch_execz .LBB6_3893
; %bb.3880:                             ;   in Loop: Header=BB6_3629 Depth=2
	v_and_b32_e32 v54, 0x7fffffff, v7
	v_and_b32_e32 v5, 0x80, v5
                                        ; implicit-def: $vgpr30
	s_mov_b32 s11, exec_lo
	s_delay_alu instid0(VALU_DEP_2)
	v_cmpx_gt_u64_e32 0x43e00001, v[54:55]
	s_xor_b32 s43, exec_lo, s11
	s_cbranch_execz .LBB6_3890
; %bb.3881:                             ;   in Loop: Header=BB6_3629 Depth=2
	v_mov_b32_e32 v30, 0
	s_mov_b32 s44, exec_lo
	v_cmpx_ne_u32_e32 0, v7
	s_cbranch_execz .LBB6_3889
; %bb.3882:                             ;   in Loop: Header=BB6_3629 Depth=2
	v_bfe_u32 v22, v7, 23, 8
	v_and_b32_e32 v7, 0x7fffff, v7
	s_delay_alu instid0(VALU_DEP_2) | instskip(SKIP_1) | instid1(VALU_DEP_3)
	v_sub_nc_u32_e32 v10, 0x79, v22
	v_cmp_gt_u32_e32 vcc_lo, 0x7a, v22
	v_or_b32_e32 v20, 0x800000, v7
	s_delay_alu instid0(VALU_DEP_3) | instskip(SKIP_1) | instid1(VALU_DEP_2)
	v_cndmask_b32_e32 v10, 0, v10, vcc_lo
	v_cmp_eq_u32_e32 vcc_lo, 0, v22
	v_cndmask_b32_e64 v23, v10, 0x78, vcc_lo
	s_delay_alu instid0(VALU_DEP_4) | instskip(NEXT) | instid1(VALU_DEP_2)
	v_cndmask_b32_e32 v54, v20, v7, vcc_lo
	v_dual_add_nc_u32 v10, 20, v23 :: v_dual_add_nc_u32 v21, 19, v23
	s_delay_alu instid0(VALU_DEP_1) | instskip(NEXT) | instid1(VALU_DEP_2)
	v_lshlrev_b64_e64 v[10:11], v10, -1
	v_lshlrev_b64_e64 v[20:21], v21, 1
	s_delay_alu instid0(VALU_DEP_2) | instskip(NEXT) | instid1(VALU_DEP_3)
	v_bfi_b32 v31, v11, 0, 0
	v_bfi_b32 v30, v10, 0, v54
	v_lshrrev_b64 v[10:11], v23, v[54:55]
	s_delay_alu instid0(VALU_DEP_2) | instskip(NEXT) | instid1(VALU_DEP_2)
	v_cmp_eq_u64_e64 s11, v[30:31], v[20:21]
	v_mov_b64_e32 v[20:21], v[10:11]
	s_and_saveexec_b32 s45, s11
; %bb.3883:                             ;   in Loop: Header=BB6_3629 Depth=2
	v_bfe_u32 v54, v10, 20, 1
	s_delay_alu instid0(VALU_DEP_1) | instskip(NEXT) | instid1(VALU_DEP_1)
	v_add_nc_u64_e32 v[20:21], v[10:11], v[54:55]
	v_add_nc_u64_e32 v[20:21], -1, v[20:21]
; %bb.3884:                             ;   in Loop: Header=BB6_3629 Depth=2
	s_or_b32 exec_lo, exec_lo, s45
	v_add_nc_u32_e32 v7, 0xffffff81, v22
	v_lshrrev_b32_e32 v11, 23, v10
	s_mov_b32 s11, exec_lo
	s_delay_alu instid0(VALU_DEP_2) | instskip(NEXT) | instid1(VALU_DEP_1)
	v_cndmask_b32_e64 v7, v7, 0xffffff82, vcc_lo
	v_add3_u32 v21, v23, v7, v11
	v_and_b32_e32 v7, 0xfffff, v20
	s_delay_alu instid0(VALU_DEP_1) | instskip(NEXT) | instid1(VALU_DEP_1)
	v_dual_add_nc_u32 v20, 6, v21 :: v_dual_add_nc_u32 v54, v7, v10
                                        ; implicit-def: $vgpr10_vgpr11
                                        ; implicit-def: $vgpr7
	v_cmpx_ne_u32_e32 0, v20
	s_xor_b32 s11, exec_lo, s11
; %bb.3885:                             ;   in Loop: Header=BB6_3629 Depth=2
	s_delay_alu instid0(VALU_DEP_2) | instskip(SKIP_2) | instid1(VALU_DEP_2)
	v_cmp_lt_u64_e32 vcc_lo, 0xffffff, v[54:55]
	v_add_nc_u32_e32 v7, 7, v21
	v_cndmask_b32_e64 v10, 0, 1, vcc_lo
	v_cndmask_b32_e32 v7, v20, v7, vcc_lo
	s_delay_alu instid0(VALU_DEP_2)
	v_lshrrev_b64 v[10:11], v10, v[54:55]
; %bb.3886:                             ;   in Loop: Header=BB6_3629 Depth=2
	s_and_not1_saveexec_b32 s11, s11
; %bb.3887:                             ;   in Loop: Header=BB6_3629 Depth=2
	v_mov_b64_e32 v[10:11], v[54:55]
	v_bfe_u32 v7, v54, 23, 1
; %bb.3888:                             ;   in Loop: Header=BB6_3629 Depth=2
	s_or_b32 exec_lo, exec_lo, s11
	s_delay_alu instid0(VALU_DEP_2) | instskip(NEXT) | instid1(VALU_DEP_2)
	v_lshrrev_b64 v[10:11], 20, v[10:11]
	v_cmp_gt_i32_e32 vcc_lo, 16, v7
	v_min_i32_e32 v20, 15, v7
	v_cmp_eq_u32_e64 s11, 0, v7
	s_delay_alu instid0(VALU_DEP_2) | instskip(SKIP_1) | instid1(VALU_DEP_2)
	v_dual_cndmask_b32 v10, 7, v10, vcc_lo :: v_dual_lshlrev_b32 v20, 3, v20
	v_cndmask_b32_e32 v11, 0, v11, vcc_lo
	v_and_b32_e32 v20, 0xf8, v20
	s_delay_alu instid0(VALU_DEP_2) | instskip(NEXT) | instid1(VALU_DEP_2)
	v_cmp_eq_u64_e32 vcc_lo, 0, v[10:11]
	v_and_or_b32 v7, v10, 7, v20
	s_and_b32 s11, s11, vcc_lo
	s_delay_alu instid0(VALU_DEP_1) | instid1(SALU_CYCLE_1)
	v_cndmask_b32_e64 v7, v7, 0, s11
	s_delay_alu instid0(VALU_DEP_1)
	v_or_b32_e32 v30, v7, v5
.LBB6_3889:                             ;   in Loop: Header=BB6_3629 Depth=2
	s_or_b32 exec_lo, exec_lo, s44
                                        ; implicit-def: $vgpr5
.LBB6_3890:                             ;   in Loop: Header=BB6_3629 Depth=2
	s_and_not1_saveexec_b32 s11, s43
; %bb.3891:                             ;   in Loop: Header=BB6_3629 Depth=2
	v_or_b32_e32 v30, 0x7e, v5
; %bb.3892:                             ;   in Loop: Header=BB6_3629 Depth=2
	s_or_b32 exec_lo, exec_lo, s11
                                        ; implicit-def: $vgpr5
.LBB6_3893:                             ;   in Loop: Header=BB6_3629 Depth=2
	s_and_not1_saveexec_b32 s11, s42
; %bb.3894:                             ;   in Loop: Header=BB6_3629 Depth=2
	v_or_b32_e32 v30, 0x7f, v5
; %bb.3895:                             ;   in Loop: Header=BB6_3629 Depth=2
	s_or_b32 exec_lo, exec_lo, s11
	v_mov_b32_e32 v7, 0
	s_mov_b32 s11, exec_lo
	v_cmpx_lt_u32_e32 0xffffff, v12
	s_cbranch_execz .LBB6_3903
; %bb.3896:                             ;   in Loop: Header=BB6_3629 Depth=2
	v_lshrrev_b32_e32 v5, 24, v12
	v_bfrev_b32_e32 v7, 1
	s_mov_b32 s42, exec_lo
	s_delay_alu instid0(VALU_DEP_2)
	v_cmpx_ne_u32_e32 0x80, v5
	s_cbranch_execz .LBB6_3902
; %bb.3897:                             ;   in Loop: Header=BB6_3629 Depth=2
	v_bfe_u32 v10, v12, 24, 7
	v_mov_b32_e32 v7, 0x7f800001
	s_mov_b32 s43, exec_lo
	s_delay_alu instid0(VALU_DEP_2)
	v_cmpx_ne_u32_e32 0x7f, v10
	s_cbranch_execz .LBB6_3901
; %bb.3898:                             ;   in Loop: Header=BB6_3629 Depth=2
	v_dual_lshrrev_b32 v7, 3, v10 :: v_dual_bitop2_b32 v54, 7, v5 bitop3:0x40
	v_cmp_gt_u32_e32 vcc_lo, 8, v10
	s_delay_alu instid0(VALU_DEP_2)
	v_mov_b64_e32 v[10:11], v[54:55]
	s_and_saveexec_b32 s44, vcc_lo
; %bb.3899:                             ;   in Loop: Header=BB6_3629 Depth=2
	v_clz_i32_u32_e32 v7, v54
	s_delay_alu instid0(VALU_DEP_1) | instskip(NEXT) | instid1(VALU_DEP_1)
	v_min_u32_e32 v7, 32, v7
	v_subrev_nc_u32_e32 v10, 28, v7
	s_delay_alu instid0(VALU_DEP_1) | instskip(NEXT) | instid1(VALU_DEP_1)
	v_lshlrev_b64_e32 v[10:11], v10, v[54:55]
	v_dual_sub_nc_u32 v7, 29, v7 :: v_dual_bitop2_b32 v10, 7, v10 bitop3:0x40
; %bb.3900:                             ;   in Loop: Header=BB6_3629 Depth=2
	s_or_b32 exec_lo, exec_lo, s44
	s_delay_alu instid0(VALU_DEP_1) | instskip(NEXT) | instid1(VALU_DEP_2)
	v_dual_lshlrev_b32 v5, 24, v5 :: v_dual_lshlrev_b32 v10, 20, v10
	v_lshl_add_u32 v7, v7, 23, 0x3c000000
	s_delay_alu instid0(VALU_DEP_2) | instskip(NEXT) | instid1(VALU_DEP_1)
	v_and_b32_e32 v5, 0x80000000, v5
	v_or3_b32 v7, v10, v5, v7
.LBB6_3901:                             ;   in Loop: Header=BB6_3629 Depth=2
	s_or_b32 exec_lo, exec_lo, s43
.LBB6_3902:                             ;   in Loop: Header=BB6_3629 Depth=2
	s_delay_alu instid0(SALU_CYCLE_1)
	s_or_b32 exec_lo, exec_lo, s42
.LBB6_3903:                             ;   in Loop: Header=BB6_3629 Depth=2
	s_delay_alu instid0(SALU_CYCLE_1) | instskip(NEXT) | instid1(VALU_DEP_1)
	s_or_b32 exec_lo, exec_lo, s11
	v_mul_f32_e32 v7, s12, v7
                                        ; implicit-def: $vgpr31
	s_mov_b32 s11, exec_lo
	s_delay_alu instid0(VALU_DEP_1) | instskip(SKIP_1) | instid1(VALU_DEP_2)
	v_and_b32_e32 v54, 0x7f800000, v7
	v_lshrrev_b32_e32 v5, 24, v7
	v_cmpx_ne_u64_e32 0x7f800000, v[54:55]
	s_xor_b32 s42, exec_lo, s11
	s_cbranch_execz .LBB6_3917
; %bb.3904:                             ;   in Loop: Header=BB6_3629 Depth=2
	v_and_b32_e32 v54, 0x7fffffff, v7
	v_and_b32_e32 v5, 0x80, v5
                                        ; implicit-def: $vgpr31
	s_mov_b32 s11, exec_lo
	s_delay_alu instid0(VALU_DEP_2)
	v_cmpx_gt_u64_e32 0x43e00001, v[54:55]
	s_xor_b32 s43, exec_lo, s11
	s_cbranch_execz .LBB6_3914
; %bb.3905:                             ;   in Loop: Header=BB6_3629 Depth=2
	v_mov_b32_e32 v31, 0
	s_mov_b32 s44, exec_lo
	v_cmpx_ne_u32_e32 0, v7
	s_cbranch_execz .LBB6_3913
; %bb.3906:                             ;   in Loop: Header=BB6_3629 Depth=2
	v_bfe_u32 v22, v7, 23, 8
	v_and_b32_e32 v7, 0x7fffff, v7
	s_delay_alu instid0(VALU_DEP_2) | instskip(SKIP_1) | instid1(VALU_DEP_3)
	v_sub_nc_u32_e32 v10, 0x79, v22
	v_cmp_gt_u32_e32 vcc_lo, 0x7a, v22
	v_or_b32_e32 v20, 0x800000, v7
	s_delay_alu instid0(VALU_DEP_3) | instskip(SKIP_1) | instid1(VALU_DEP_2)
	v_cndmask_b32_e32 v10, 0, v10, vcc_lo
	v_cmp_eq_u32_e32 vcc_lo, 0, v22
	v_cndmask_b32_e64 v23, v10, 0x78, vcc_lo
	s_delay_alu instid0(VALU_DEP_4) | instskip(NEXT) | instid1(VALU_DEP_2)
	v_cndmask_b32_e32 v54, v20, v7, vcc_lo
	v_dual_add_nc_u32 v10, 20, v23 :: v_dual_add_nc_u32 v21, 19, v23
	s_delay_alu instid0(VALU_DEP_1) | instskip(NEXT) | instid1(VALU_DEP_2)
	v_lshlrev_b64_e64 v[10:11], v10, -1
	v_lshlrev_b64_e64 v[20:21], v21, 1
	s_delay_alu instid0(VALU_DEP_2) | instskip(NEXT) | instid1(VALU_DEP_3)
	v_bfi_b32 v37, v11, 0, 0
	v_bfi_b32 v36, v10, 0, v54
	v_lshrrev_b64 v[10:11], v23, v[54:55]
	s_delay_alu instid0(VALU_DEP_2) | instskip(NEXT) | instid1(VALU_DEP_2)
	v_cmp_eq_u64_e64 s11, v[36:37], v[20:21]
	v_mov_b64_e32 v[20:21], v[10:11]
	s_and_saveexec_b32 s45, s11
; %bb.3907:                             ;   in Loop: Header=BB6_3629 Depth=2
	v_bfe_u32 v54, v10, 20, 1
	s_delay_alu instid0(VALU_DEP_1) | instskip(NEXT) | instid1(VALU_DEP_1)
	v_add_nc_u64_e32 v[20:21], v[10:11], v[54:55]
	v_add_nc_u64_e32 v[20:21], -1, v[20:21]
; %bb.3908:                             ;   in Loop: Header=BB6_3629 Depth=2
	s_or_b32 exec_lo, exec_lo, s45
	v_add_nc_u32_e32 v7, 0xffffff81, v22
	v_lshrrev_b32_e32 v11, 23, v10
	s_mov_b32 s11, exec_lo
	s_delay_alu instid0(VALU_DEP_2) | instskip(NEXT) | instid1(VALU_DEP_1)
	v_cndmask_b32_e64 v7, v7, 0xffffff82, vcc_lo
	v_add3_u32 v21, v23, v7, v11
	v_and_b32_e32 v7, 0xfffff, v20
	s_delay_alu instid0(VALU_DEP_1) | instskip(NEXT) | instid1(VALU_DEP_1)
	v_dual_add_nc_u32 v20, 6, v21 :: v_dual_add_nc_u32 v54, v7, v10
                                        ; implicit-def: $vgpr10_vgpr11
                                        ; implicit-def: $vgpr7
	v_cmpx_ne_u32_e32 0, v20
	s_xor_b32 s11, exec_lo, s11
; %bb.3909:                             ;   in Loop: Header=BB6_3629 Depth=2
	s_delay_alu instid0(VALU_DEP_2) | instskip(SKIP_2) | instid1(VALU_DEP_2)
	v_cmp_lt_u64_e32 vcc_lo, 0xffffff, v[54:55]
	v_add_nc_u32_e32 v7, 7, v21
	v_cndmask_b32_e64 v10, 0, 1, vcc_lo
	v_cndmask_b32_e32 v7, v20, v7, vcc_lo
	s_delay_alu instid0(VALU_DEP_2)
	v_lshrrev_b64 v[10:11], v10, v[54:55]
; %bb.3910:                             ;   in Loop: Header=BB6_3629 Depth=2
	s_and_not1_saveexec_b32 s11, s11
; %bb.3911:                             ;   in Loop: Header=BB6_3629 Depth=2
	v_mov_b64_e32 v[10:11], v[54:55]
	v_bfe_u32 v7, v54, 23, 1
; %bb.3912:                             ;   in Loop: Header=BB6_3629 Depth=2
	s_or_b32 exec_lo, exec_lo, s11
	s_delay_alu instid0(VALU_DEP_2) | instskip(NEXT) | instid1(VALU_DEP_2)
	v_lshrrev_b64 v[10:11], 20, v[10:11]
	v_cmp_gt_i32_e32 vcc_lo, 16, v7
	v_min_i32_e32 v20, 15, v7
	v_cmp_eq_u32_e64 s11, 0, v7
	s_delay_alu instid0(VALU_DEP_2) | instskip(SKIP_1) | instid1(VALU_DEP_2)
	v_dual_cndmask_b32 v10, 7, v10, vcc_lo :: v_dual_lshlrev_b32 v20, 3, v20
	v_cndmask_b32_e32 v11, 0, v11, vcc_lo
	v_and_b32_e32 v20, 0xf8, v20
	s_delay_alu instid0(VALU_DEP_2) | instskip(NEXT) | instid1(VALU_DEP_2)
	v_cmp_eq_u64_e32 vcc_lo, 0, v[10:11]
	v_and_or_b32 v7, v10, 7, v20
	s_and_b32 s11, s11, vcc_lo
	s_delay_alu instid0(VALU_DEP_1) | instid1(SALU_CYCLE_1)
	v_cndmask_b32_e64 v7, v7, 0, s11
	s_delay_alu instid0(VALU_DEP_1)
	v_or_b32_e32 v31, v7, v5
.LBB6_3913:                             ;   in Loop: Header=BB6_3629 Depth=2
	s_or_b32 exec_lo, exec_lo, s44
                                        ; implicit-def: $vgpr5
.LBB6_3914:                             ;   in Loop: Header=BB6_3629 Depth=2
	s_and_not1_saveexec_b32 s11, s43
; %bb.3915:                             ;   in Loop: Header=BB6_3629 Depth=2
	v_or_b32_e32 v31, 0x7e, v5
; %bb.3916:                             ;   in Loop: Header=BB6_3629 Depth=2
	s_or_b32 exec_lo, exec_lo, s11
                                        ; implicit-def: $vgpr5
.LBB6_3917:                             ;   in Loop: Header=BB6_3629 Depth=2
	s_and_not1_saveexec_b32 s11, s42
; %bb.3918:                             ;   in Loop: Header=BB6_3629 Depth=2
	v_or_b32_e32 v31, 0x7f, v5
; %bb.3919:                             ;   in Loop: Header=BB6_3629 Depth=2
	s_or_b32 exec_lo, exec_lo, s11
	v_and_b32_e32 v7, 0xff, v13
	v_dual_mov_b32 v54, v13 :: v_dual_mov_b32 v5, 0
	s_mov_b32 s11, exec_lo
	s_delay_alu instid0(VALU_DEP_2)
	v_cmpx_ne_u16_e32 0, v7
	s_cbranch_execz .LBB6_3925
; %bb.3920:                             ;   in Loop: Header=BB6_3629 Depth=2
	v_bfrev_b32_e32 v5, 1
	s_mov_b32 s42, exec_lo
	v_cmpx_ne_u16_e32 0x80, v7
	s_cbranch_execz .LBB6_3924
; %bb.3921:                             ;   in Loop: Header=BB6_3629 Depth=2
	v_and_b32_e32 v7, 0x7f, v13
	v_mov_b32_e32 v5, 0x7f800001
	s_mov_b32 s43, exec_lo
	s_delay_alu instid0(VALU_DEP_2)
	v_cmpx_ne_u32_e32 0x7f, v7
	s_cbranch_execz .LBB6_3923
; %bb.3922:                             ;   in Loop: Header=BB6_3629 Depth=2
	v_dual_lshrrev_b32 v10, 3, v7 :: v_dual_bitop2_b32 v5, 7, v13 bitop3:0x40
	v_cmp_gt_u32_e32 vcc_lo, 8, v7
	s_delay_alu instid0(VALU_DEP_2) | instskip(NEXT) | instid1(VALU_DEP_1)
	v_clz_i32_u32_e32 v5, v5
	v_min_u32_e32 v5, 32, v5
	s_delay_alu instid0(VALU_DEP_1) | instskip(NEXT) | instid1(VALU_DEP_1)
	v_subrev_nc_u32_e32 v11, 28, v5
	v_dual_sub_nc_u32 v5, 29, v5 :: v_dual_cndmask_b32 v7, 0, v11, vcc_lo
	s_delay_alu instid0(VALU_DEP_1) | instskip(NEXT) | instid1(VALU_DEP_2)
	v_cndmask_b32_e32 v5, v10, v5, vcc_lo
	v_lshlrev_b64_e32 v[10:11], v7, v[54:55]
	v_lshlrev_b32_e32 v7, 24, v54
	s_delay_alu instid0(VALU_DEP_3) | instskip(NEXT) | instid1(VALU_DEP_2)
	v_lshl_add_u32 v5, v5, 23, 0x3c000000
	v_and_b32_e32 v7, 0x80000000, v7
	s_delay_alu instid0(VALU_DEP_4) | instskip(NEXT) | instid1(VALU_DEP_1)
	v_lshlrev_b32_e32 v10, 20, v10
	v_and_b32_e32 v10, 0x700000, v10
	s_delay_alu instid0(VALU_DEP_1)
	v_or3_b32 v5, v10, v7, v5
.LBB6_3923:                             ;   in Loop: Header=BB6_3629 Depth=2
	s_or_b32 exec_lo, exec_lo, s43
.LBB6_3924:                             ;   in Loop: Header=BB6_3629 Depth=2
	s_delay_alu instid0(SALU_CYCLE_1)
	s_or_b32 exec_lo, exec_lo, s42
.LBB6_3925:                             ;   in Loop: Header=BB6_3629 Depth=2
	s_delay_alu instid0(SALU_CYCLE_1) | instskip(NEXT) | instid1(VALU_DEP_1)
	s_or_b32 exec_lo, exec_lo, s11
	v_dual_mul_f32 v10, s12, v5 :: v_dual_mov_b32 v21, v55
                                        ; implicit-def: $vgpr5
	s_mov_b32 s11, exec_lo
	s_delay_alu instid0(VALU_DEP_1) | instskip(SKIP_1) | instid1(VALU_DEP_2)
	v_and_b32_e32 v20, 0x7f800000, v10
	v_lshrrev_b32_e32 v7, 24, v10
	v_cmpx_ne_u64_e32 0x7f800000, v[20:21]
	s_xor_b32 s42, exec_lo, s11
	s_cbranch_execz .LBB6_3939
; %bb.3926:                             ;   in Loop: Header=BB6_3629 Depth=2
	v_and_b32_e32 v20, 0x7fffffff, v10
	v_mov_b32_e32 v21, v55
	v_and_b32_e32 v7, 0x80, v7
                                        ; implicit-def: $vgpr5
	s_mov_b32 s11, exec_lo
	s_delay_alu instid0(VALU_DEP_2)
	v_cmpx_gt_u64_e32 0x43e00001, v[20:21]
	s_xor_b32 s43, exec_lo, s11
	s_cbranch_execz .LBB6_3936
; %bb.3927:                             ;   in Loop: Header=BB6_3629 Depth=2
	v_mov_b32_e32 v5, 0
	s_mov_b32 s44, exec_lo
	v_cmpx_ne_u32_e32 0, v10
	s_cbranch_execz .LBB6_3935
; %bb.3928:                             ;   in Loop: Header=BB6_3629 Depth=2
	v_bfe_u32 v5, v10, 23, 8
	v_and_b32_e32 v20, 0x7fffff, v10
	s_mov_b32 s45, exec_lo
	s_delay_alu instid0(VALU_DEP_2) | instskip(NEXT) | instid1(VALU_DEP_2)
	v_cmp_gt_u32_e32 vcc_lo, 0x7a, v5
	v_or_b32_e32 v21, 0x800000, v20
	v_sub_nc_u32_e32 v11, 0x79, v5
	s_delay_alu instid0(VALU_DEP_1) | instskip(SKIP_1) | instid1(VALU_DEP_2)
	v_cndmask_b32_e32 v11, 0, v11, vcc_lo
	v_cmp_eq_u32_e32 vcc_lo, 0, v5
	v_cndmask_b32_e64 v22, v11, 0x78, vcc_lo
	v_dual_cndmask_b32 v20, v21, v20 :: v_dual_mov_b32 v21, v55
	s_delay_alu instid0(VALU_DEP_2) | instskip(NEXT) | instid1(VALU_DEP_1)
	v_dual_add_nc_u32 v23, 19, v22 :: v_dual_add_nc_u32 v10, 20, v22
	v_lshlrev_b64_e64 v[36:37], v23, 1
	s_delay_alu instid0(VALU_DEP_2) | instskip(NEXT) | instid1(VALU_DEP_1)
	v_lshlrev_b64_e64 v[10:11], v10, -1
	v_bfi_b32 v39, v11, 0, 0
	s_delay_alu instid0(VALU_DEP_2) | instskip(SKIP_1) | instid1(VALU_DEP_1)
	v_bfi_b32 v38, v10, 0, v20
	v_lshrrev_b64 v[10:11], v22, v[20:21]
	v_mov_b64_e32 v[20:21], v[10:11]
	s_delay_alu instid0(VALU_DEP_3)
	v_cmpx_eq_u64_e64 v[38:39], v[36:37]
; %bb.3929:                             ;   in Loop: Header=BB6_3629 Depth=2
	v_bfe_u32 v20, v10, 20, 1
	v_mov_b32_e32 v21, v55
	s_delay_alu instid0(VALU_DEP_1) | instskip(NEXT) | instid1(VALU_DEP_1)
	v_add_nc_u64_e32 v[20:21], v[10:11], v[20:21]
	v_add_nc_u64_e32 v[20:21], -1, v[20:21]
; %bb.3930:                             ;   in Loop: Header=BB6_3629 Depth=2
	s_or_b32 exec_lo, exec_lo, s45
	v_add_nc_u32_e32 v5, 0xffffff81, v5
	v_lshrrev_b32_e32 v11, 23, v10
	s_mov_b32 s11, exec_lo
	s_delay_alu instid0(VALU_DEP_2) | instskip(NEXT) | instid1(VALU_DEP_1)
	v_cndmask_b32_e64 v5, v5, 0xffffff82, vcc_lo
	v_add3_u32 v21, v22, v5, v11
	v_and_b32_e32 v5, 0xfffff, v20
	s_delay_alu instid0(VALU_DEP_2) | instskip(NEXT) | instid1(VALU_DEP_2)
	v_dual_mov_b32 v11, v55 :: v_dual_add_nc_u32 v20, 6, v21
	v_add_nc_u32_e32 v10, v5, v10
                                        ; implicit-def: $vgpr5
	s_delay_alu instid0(VALU_DEP_2)
	v_cmpx_ne_u32_e32 0, v20
	s_xor_b32 s11, exec_lo, s11
; %bb.3931:                             ;   in Loop: Header=BB6_3629 Depth=2
	s_delay_alu instid0(VALU_DEP_2) | instskip(SKIP_1) | instid1(VALU_DEP_1)
	v_cmp_lt_u64_e32 vcc_lo, 0xffffff, v[10:11]
	v_add_nc_u32_e32 v5, 7, v21
	v_cndmask_b32_e32 v5, v20, v5, vcc_lo
	v_cndmask_b32_e64 v20, 0, 1, vcc_lo
	s_delay_alu instid0(VALU_DEP_1)
	v_lshrrev_b64 v[10:11], v20, v[10:11]
; %bb.3932:                             ;   in Loop: Header=BB6_3629 Depth=2
	s_and_not1_saveexec_b32 s11, s11
; %bb.3933:                             ;   in Loop: Header=BB6_3629 Depth=2
	s_delay_alu instid0(VALU_DEP_1)
	v_bfe_u32 v5, v10, 23, 1
; %bb.3934:                             ;   in Loop: Header=BB6_3629 Depth=2
	s_or_b32 exec_lo, exec_lo, s11
	s_delay_alu instid0(VALU_DEP_2) | instskip(NEXT) | instid1(VALU_DEP_2)
	v_lshrrev_b64 v[10:11], 20, v[10:11]
	v_cmp_gt_i32_e32 vcc_lo, 16, v5
	v_min_i32_e32 v20, 15, v5
	v_cmp_eq_u32_e64 s11, 0, v5
	s_delay_alu instid0(VALU_DEP_2) | instskip(SKIP_1) | instid1(VALU_DEP_2)
	v_dual_cndmask_b32 v11, 0, v11 :: v_dual_lshlrev_b32 v20, 3, v20
	v_cndmask_b32_e32 v10, 7, v10, vcc_lo
	v_and_b32_e32 v20, 0xf8, v20
	s_delay_alu instid0(VALU_DEP_2) | instskip(NEXT) | instid1(VALU_DEP_2)
	v_cmp_eq_u64_e32 vcc_lo, 0, v[10:11]
	v_and_or_b32 v5, v10, 7, v20
	s_and_b32 s11, s11, vcc_lo
	s_delay_alu instid0(VALU_DEP_1) | instid1(SALU_CYCLE_1)
	v_cndmask_b32_e64 v5, v5, 0, s11
	s_delay_alu instid0(VALU_DEP_1)
	v_or_b32_e32 v5, v5, v7
.LBB6_3935:                             ;   in Loop: Header=BB6_3629 Depth=2
	s_or_b32 exec_lo, exec_lo, s44
                                        ; implicit-def: $vgpr7
.LBB6_3936:                             ;   in Loop: Header=BB6_3629 Depth=2
	s_and_not1_saveexec_b32 s11, s43
; %bb.3937:                             ;   in Loop: Header=BB6_3629 Depth=2
	v_or_b32_e32 v5, 0x7e, v7
; %bb.3938:                             ;   in Loop: Header=BB6_3629 Depth=2
	s_or_b32 exec_lo, exec_lo, s11
                                        ; implicit-def: $vgpr7
.LBB6_3939:                             ;   in Loop: Header=BB6_3629 Depth=2
	s_and_not1_saveexec_b32 s11, s42
; %bb.3940:                             ;   in Loop: Header=BB6_3629 Depth=2
	v_or_b32_e32 v5, 0x7f, v7
; %bb.3941:                             ;   in Loop: Header=BB6_3629 Depth=2
	s_or_b32 exec_lo, exec_lo, s11
	v_lshrrev_b16 v10, 8, v54
	v_mov_b32_e32 v7, 0
	s_mov_b32 s11, exec_lo
	s_delay_alu instid0(VALU_DEP_2)
	v_cmpx_ne_u16_e32 0, v10
	s_cbranch_execz .LBB6_3949
; %bb.3942:                             ;   in Loop: Header=BB6_3629 Depth=2
	v_bfrev_b32_e32 v7, 1
	s_mov_b32 s42, exec_lo
	v_cmpx_ne_u16_e32 0x80, v10
	s_cbranch_execz .LBB6_3948
; %bb.3943:                             ;   in Loop: Header=BB6_3629 Depth=2
	v_and_b32_e32 v10, 0xffff, v10
	v_mov_b32_e32 v7, 0x7f800001
	s_mov_b32 s43, exec_lo
	s_delay_alu instid0(VALU_DEP_2) | instskip(NEXT) | instid1(VALU_DEP_1)
	v_and_b32_e32 v20, 0x7f, v10
	v_cmpx_ne_u32_e32 0x7f, v20
	s_cbranch_execz .LBB6_3947
; %bb.3944:                             ;   in Loop: Header=BB6_3629 Depth=2
	v_dual_mov_b32 v11, v55 :: v_dual_bitop2_b32 v10, 7, v10 bitop3:0x40
	v_lshrrev_b32_e32 v7, 3, v20
	s_mov_b32 s44, exec_lo
	v_cmpx_gt_u32_e32 8, v20
; %bb.3945:                             ;   in Loop: Header=BB6_3629 Depth=2
	s_delay_alu instid0(VALU_DEP_3) | instskip(NEXT) | instid1(VALU_DEP_1)
	v_clz_i32_u32_e32 v7, v10
	v_min_u32_e32 v7, 32, v7
	s_delay_alu instid0(VALU_DEP_1) | instskip(NEXT) | instid1(VALU_DEP_1)
	v_subrev_nc_u32_e32 v20, 28, v7
	v_lshlrev_b64_e32 v[10:11], v20, v[10:11]
	s_delay_alu instid0(VALU_DEP_1)
	v_dual_sub_nc_u32 v7, 29, v7 :: v_dual_bitop2_b32 v10, 7, v10 bitop3:0x40
; %bb.3946:                             ;   in Loop: Header=BB6_3629 Depth=2
	s_or_b32 exec_lo, exec_lo, s44
	v_lshlrev_b32_e32 v11, 16, v54
	s_delay_alu instid0(VALU_DEP_2) | instskip(NEXT) | instid1(VALU_DEP_3)
	v_lshlrev_b32_e32 v10, 20, v10
	v_lshl_add_u32 v7, v7, 23, 0x3c000000
	s_delay_alu instid0(VALU_DEP_3) | instskip(NEXT) | instid1(VALU_DEP_1)
	v_and_b32_e32 v11, 0x80000000, v11
	v_or3_b32 v7, v10, v11, v7
.LBB6_3947:                             ;   in Loop: Header=BB6_3629 Depth=2
	s_or_b32 exec_lo, exec_lo, s43
.LBB6_3948:                             ;   in Loop: Header=BB6_3629 Depth=2
	s_delay_alu instid0(SALU_CYCLE_1)
	s_or_b32 exec_lo, exec_lo, s42
.LBB6_3949:                             ;   in Loop: Header=BB6_3629 Depth=2
	s_delay_alu instid0(SALU_CYCLE_1) | instskip(NEXT) | instid1(VALU_DEP_1)
	s_or_b32 exec_lo, exec_lo, s11
	v_mul_f32_e32 v10, s12, v7
                                        ; implicit-def: $vgpr7
	s_mov_b32 s11, exec_lo
	s_delay_alu instid0(VALU_DEP_1) | instskip(SKIP_1) | instid1(VALU_DEP_2)
	v_and_b32_e32 v54, 0x7f800000, v10
	v_lshrrev_b32_e32 v11, 24, v10
	v_cmpx_ne_u64_e32 0x7f800000, v[54:55]
	s_xor_b32 s42, exec_lo, s11
	s_cbranch_execz .LBB6_3963
; %bb.3950:                             ;   in Loop: Header=BB6_3629 Depth=2
	v_and_b32_e32 v54, 0x7fffffff, v10
	v_and_b32_e32 v22, 0x80, v11
                                        ; implicit-def: $vgpr7
	s_mov_b32 s11, exec_lo
	s_delay_alu instid0(VALU_DEP_2)
	v_cmpx_gt_u64_e32 0x43e00001, v[54:55]
	s_xor_b32 s43, exec_lo, s11
	s_cbranch_execz .LBB6_3960
; %bb.3951:                             ;   in Loop: Header=BB6_3629 Depth=2
	v_mov_b32_e32 v7, 0
	s_mov_b32 s44, exec_lo
	v_cmpx_ne_u32_e32 0, v10
	s_cbranch_execz .LBB6_3959
; %bb.3952:                             ;   in Loop: Header=BB6_3629 Depth=2
	v_bfe_u32 v7, v10, 23, 8
	v_and_b32_e32 v20, 0x7fffff, v10
	s_delay_alu instid0(VALU_DEP_2) | instskip(NEXT) | instid1(VALU_DEP_2)
	v_cmp_gt_u32_e32 vcc_lo, 0x7a, v7
	v_or_b32_e32 v21, 0x800000, v20
	v_sub_nc_u32_e32 v11, 0x79, v7
	s_delay_alu instid0(VALU_DEP_1) | instskip(SKIP_1) | instid1(VALU_DEP_2)
	v_cndmask_b32_e32 v11, 0, v11, vcc_lo
	v_cmp_eq_u32_e32 vcc_lo, 0, v7
	v_cndmask_b32_e64 v23, v11, 0x78, vcc_lo
	s_delay_alu instid0(VALU_DEP_1) | instskip(SKIP_1) | instid1(VALU_DEP_2)
	v_dual_cndmask_b32 v54, v21, v20, vcc_lo :: v_dual_add_nc_u32 v10, 20, v23
	v_add_nc_u32_e32 v26, 19, v23
	v_lshlrev_b64_e64 v[10:11], v10, -1
	s_delay_alu instid0(VALU_DEP_2) | instskip(NEXT) | instid1(VALU_DEP_2)
	v_lshlrev_b64_e64 v[20:21], v26, 1
	v_bfi_b32 v37, v11, 0, 0
	s_delay_alu instid0(VALU_DEP_3) | instskip(SKIP_1) | instid1(VALU_DEP_2)
	v_bfi_b32 v36, v10, 0, v54
	v_lshrrev_b64 v[10:11], v23, v[54:55]
	v_cmp_eq_u64_e64 s11, v[36:37], v[20:21]
	s_delay_alu instid0(VALU_DEP_2)
	v_mov_b64_e32 v[20:21], v[10:11]
	s_and_saveexec_b32 s45, s11
; %bb.3953:                             ;   in Loop: Header=BB6_3629 Depth=2
	v_bfe_u32 v54, v10, 20, 1
	s_delay_alu instid0(VALU_DEP_1) | instskip(NEXT) | instid1(VALU_DEP_1)
	v_add_nc_u64_e32 v[20:21], v[10:11], v[54:55]
	v_add_nc_u64_e32 v[20:21], -1, v[20:21]
; %bb.3954:                             ;   in Loop: Header=BB6_3629 Depth=2
	s_or_b32 exec_lo, exec_lo, s45
	v_add_nc_u32_e32 v7, 0xffffff81, v7
	v_lshrrev_b32_e32 v11, 23, v10
	s_mov_b32 s11, exec_lo
	s_delay_alu instid0(VALU_DEP_2) | instskip(NEXT) | instid1(VALU_DEP_1)
	v_cndmask_b32_e64 v7, v7, 0xffffff82, vcc_lo
	v_add3_u32 v21, v23, v7, v11
	v_and_b32_e32 v7, 0xfffff, v20
	s_delay_alu instid0(VALU_DEP_1) | instskip(NEXT) | instid1(VALU_DEP_1)
	v_dual_add_nc_u32 v20, 6, v21 :: v_dual_add_nc_u32 v54, v7, v10
                                        ; implicit-def: $vgpr10_vgpr11
                                        ; implicit-def: $vgpr7
	v_cmpx_ne_u32_e32 0, v20
	s_xor_b32 s11, exec_lo, s11
; %bb.3955:                             ;   in Loop: Header=BB6_3629 Depth=2
	s_delay_alu instid0(VALU_DEP_2) | instskip(SKIP_2) | instid1(VALU_DEP_2)
	v_cmp_lt_u64_e32 vcc_lo, 0xffffff, v[54:55]
	v_add_nc_u32_e32 v7, 7, v21
	v_cndmask_b32_e64 v10, 0, 1, vcc_lo
	v_cndmask_b32_e32 v7, v20, v7, vcc_lo
	s_delay_alu instid0(VALU_DEP_2)
	v_lshrrev_b64 v[10:11], v10, v[54:55]
; %bb.3956:                             ;   in Loop: Header=BB6_3629 Depth=2
	s_and_not1_saveexec_b32 s11, s11
; %bb.3957:                             ;   in Loop: Header=BB6_3629 Depth=2
	v_mov_b64_e32 v[10:11], v[54:55]
	v_bfe_u32 v7, v54, 23, 1
; %bb.3958:                             ;   in Loop: Header=BB6_3629 Depth=2
	s_or_b32 exec_lo, exec_lo, s11
	s_delay_alu instid0(VALU_DEP_2) | instskip(NEXT) | instid1(VALU_DEP_2)
	v_lshrrev_b64 v[10:11], 20, v[10:11]
	v_cmp_gt_i32_e32 vcc_lo, 16, v7
	v_min_i32_e32 v20, 15, v7
	v_cmp_eq_u32_e64 s11, 0, v7
	s_delay_alu instid0(VALU_DEP_2) | instskip(SKIP_1) | instid1(VALU_DEP_2)
	v_dual_cndmask_b32 v10, 7, v10, vcc_lo :: v_dual_lshlrev_b32 v20, 3, v20
	v_cndmask_b32_e32 v11, 0, v11, vcc_lo
	v_and_b32_e32 v20, 0xf8, v20
	s_delay_alu instid0(VALU_DEP_2) | instskip(NEXT) | instid1(VALU_DEP_2)
	v_cmp_eq_u64_e32 vcc_lo, 0, v[10:11]
	v_and_or_b32 v7, v10, 7, v20
	s_and_b32 s11, s11, vcc_lo
	s_delay_alu instid0(VALU_DEP_1) | instid1(SALU_CYCLE_1)
	v_cndmask_b32_e64 v7, v7, 0, s11
	s_delay_alu instid0(VALU_DEP_1)
	v_or_b32_e32 v7, v7, v22
.LBB6_3959:                             ;   in Loop: Header=BB6_3629 Depth=2
	s_or_b32 exec_lo, exec_lo, s44
                                        ; implicit-def: $vgpr22
.LBB6_3960:                             ;   in Loop: Header=BB6_3629 Depth=2
	s_and_not1_saveexec_b32 s11, s43
; %bb.3961:                             ;   in Loop: Header=BB6_3629 Depth=2
	v_or_b32_e32 v7, 0x7e, v22
; %bb.3962:                             ;   in Loop: Header=BB6_3629 Depth=2
	s_or_b32 exec_lo, exec_lo, s11
                                        ; implicit-def: $vgpr11
.LBB6_3963:                             ;   in Loop: Header=BB6_3629 Depth=2
	s_and_not1_saveexec_b32 s11, s42
; %bb.3964:                             ;   in Loop: Header=BB6_3629 Depth=2
	v_or_b32_e32 v7, 0x7f, v11
; %bb.3965:                             ;   in Loop: Header=BB6_3629 Depth=2
	s_or_b32 exec_lo, exec_lo, s11
	v_dual_lshrrev_b32 v20, 16, v13 :: v_dual_mov_b32 v10, 0
	s_mov_b32 s11, exec_lo
	s_delay_alu instid0(VALU_DEP_1) | instskip(NEXT) | instid1(VALU_DEP_1)
	v_and_b32_e32 v11, 0xff, v20
	v_cmpx_ne_u16_e32 0, v11
	s_cbranch_execz .LBB6_3973
; %bb.3966:                             ;   in Loop: Header=BB6_3629 Depth=2
	v_bfrev_b32_e32 v10, 1
	s_mov_b32 s42, exec_lo
	v_cmpx_ne_u16_e32 0x80, v11
	s_cbranch_execz .LBB6_3972
; %bb.3967:                             ;   in Loop: Header=BB6_3629 Depth=2
	v_bfe_u32 v11, v13, 16, 7
	v_mov_b32_e32 v10, 0x7f800001
	s_mov_b32 s43, exec_lo
	s_delay_alu instid0(VALU_DEP_2)
	v_cmpx_ne_u32_e32 0x7f, v11
	s_cbranch_execz .LBB6_3971
; %bb.3968:                             ;   in Loop: Header=BB6_3629 Depth=2
	v_dual_lshrrev_b32 v21, 3, v11 :: v_dual_bitop2_b32 v54, 7, v20 bitop3:0x40
	v_cmp_gt_u32_e32 vcc_lo, 8, v11
	s_delay_alu instid0(VALU_DEP_2)
	v_mov_b64_e32 v[10:11], v[54:55]
	s_and_saveexec_b32 s44, vcc_lo
; %bb.3969:                             ;   in Loop: Header=BB6_3629 Depth=2
	v_clz_i32_u32_e32 v10, v54
	s_delay_alu instid0(VALU_DEP_1) | instskip(NEXT) | instid1(VALU_DEP_1)
	v_min_u32_e32 v21, 32, v10
	v_subrev_nc_u32_e32 v10, 28, v21
	s_delay_alu instid0(VALU_DEP_1) | instskip(NEXT) | instid1(VALU_DEP_1)
	v_lshlrev_b64_e32 v[10:11], v10, v[54:55]
	v_dual_sub_nc_u32 v21, 29, v21 :: v_dual_bitop2_b32 v10, 7, v10 bitop3:0x40
; %bb.3970:                             ;   in Loop: Header=BB6_3629 Depth=2
	s_or_b32 exec_lo, exec_lo, s44
	s_delay_alu instid0(VALU_DEP_1) | instskip(NEXT) | instid1(VALU_DEP_2)
	v_dual_lshlrev_b32 v11, 24, v20 :: v_dual_lshlrev_b32 v10, 20, v10
	v_lshl_add_u32 v20, v21, 23, 0x3c000000
	s_delay_alu instid0(VALU_DEP_2) | instskip(NEXT) | instid1(VALU_DEP_1)
	v_and_b32_e32 v11, 0x80000000, v11
	v_or3_b32 v10, v10, v11, v20
.LBB6_3971:                             ;   in Loop: Header=BB6_3629 Depth=2
	s_or_b32 exec_lo, exec_lo, s43
.LBB6_3972:                             ;   in Loop: Header=BB6_3629 Depth=2
	s_delay_alu instid0(SALU_CYCLE_1)
	s_or_b32 exec_lo, exec_lo, s42
.LBB6_3973:                             ;   in Loop: Header=BB6_3629 Depth=2
	s_delay_alu instid0(SALU_CYCLE_1) | instskip(NEXT) | instid1(VALU_DEP_1)
	s_or_b32 exec_lo, exec_lo, s11
	v_mul_f32_e32 v10, s12, v10
                                        ; implicit-def: $vgpr26
	s_mov_b32 s11, exec_lo
	s_delay_alu instid0(VALU_DEP_1) | instskip(SKIP_1) | instid1(VALU_DEP_2)
	v_and_b32_e32 v54, 0x7f800000, v10
	v_lshrrev_b32_e32 v11, 24, v10
	v_cmpx_ne_u64_e32 0x7f800000, v[54:55]
	s_xor_b32 s42, exec_lo, s11
	s_cbranch_execz .LBB6_3987
; %bb.3974:                             ;   in Loop: Header=BB6_3629 Depth=2
	v_and_b32_e32 v54, 0x7fffffff, v10
	v_and_b32_e32 v22, 0x80, v11
                                        ; implicit-def: $vgpr26
	s_mov_b32 s11, exec_lo
	s_delay_alu instid0(VALU_DEP_2)
	v_cmpx_gt_u64_e32 0x43e00001, v[54:55]
	s_xor_b32 s43, exec_lo, s11
	s_cbranch_execz .LBB6_3984
; %bb.3975:                             ;   in Loop: Header=BB6_3629 Depth=2
	v_mov_b32_e32 v26, 0
	s_mov_b32 s44, exec_lo
	v_cmpx_ne_u32_e32 0, v10
	s_cbranch_execz .LBB6_3983
; %bb.3976:                             ;   in Loop: Header=BB6_3629 Depth=2
	v_bfe_u32 v23, v10, 23, 8
	v_and_b32_e32 v20, 0x7fffff, v10
	s_delay_alu instid0(VALU_DEP_2) | instskip(NEXT) | instid1(VALU_DEP_2)
	v_cmp_gt_u32_e32 vcc_lo, 0x7a, v23
	v_or_b32_e32 v21, 0x800000, v20
	v_sub_nc_u32_e32 v11, 0x79, v23
	s_delay_alu instid0(VALU_DEP_1) | instskip(SKIP_1) | instid1(VALU_DEP_2)
	v_cndmask_b32_e32 v11, 0, v11, vcc_lo
	v_cmp_eq_u32_e32 vcc_lo, 0, v23
	v_cndmask_b32_e64 v26, v11, 0x78, vcc_lo
	s_delay_alu instid0(VALU_DEP_1) | instskip(SKIP_1) | instid1(VALU_DEP_2)
	v_dual_cndmask_b32 v54, v21, v20, vcc_lo :: v_dual_add_nc_u32 v10, 20, v26
	v_add_nc_u32_e32 v29, 19, v26
	v_lshlrev_b64_e64 v[10:11], v10, -1
	s_delay_alu instid0(VALU_DEP_2) | instskip(NEXT) | instid1(VALU_DEP_2)
	v_lshlrev_b64_e64 v[20:21], v29, 1
	v_bfi_b32 v37, v11, 0, 0
	s_delay_alu instid0(VALU_DEP_3) | instskip(SKIP_1) | instid1(VALU_DEP_2)
	v_bfi_b32 v36, v10, 0, v54
	v_lshrrev_b64 v[10:11], v26, v[54:55]
	v_cmp_eq_u64_e64 s11, v[36:37], v[20:21]
	s_delay_alu instid0(VALU_DEP_2)
	v_mov_b64_e32 v[20:21], v[10:11]
	s_and_saveexec_b32 s45, s11
; %bb.3977:                             ;   in Loop: Header=BB6_3629 Depth=2
	v_bfe_u32 v54, v10, 20, 1
	s_delay_alu instid0(VALU_DEP_1) | instskip(NEXT) | instid1(VALU_DEP_1)
	v_add_nc_u64_e32 v[20:21], v[10:11], v[54:55]
	v_add_nc_u64_e32 v[20:21], -1, v[20:21]
; %bb.3978:                             ;   in Loop: Header=BB6_3629 Depth=2
	s_or_b32 exec_lo, exec_lo, s45
	v_add_nc_u32_e32 v11, 0xffffff81, v23
	v_lshrrev_b32_e32 v21, 23, v10
	s_mov_b32 s11, exec_lo
	s_delay_alu instid0(VALU_DEP_2) | instskip(NEXT) | instid1(VALU_DEP_1)
	v_cndmask_b32_e64 v11, v11, 0xffffff82, vcc_lo
	v_add3_u32 v21, v26, v11, v21
	v_and_b32_e32 v11, 0xfffff, v20
                                        ; implicit-def: $vgpr20
	s_delay_alu instid0(VALU_DEP_1) | instskip(NEXT) | instid1(VALU_DEP_1)
	v_dual_add_nc_u32 v23, 6, v21 :: v_dual_add_nc_u32 v54, v11, v10
                                        ; implicit-def: $vgpr10_vgpr11
	v_cmpx_ne_u32_e32 0, v23
	s_xor_b32 s11, exec_lo, s11
; %bb.3979:                             ;   in Loop: Header=BB6_3629 Depth=2
	s_delay_alu instid0(VALU_DEP_2) | instskip(SKIP_1) | instid1(VALU_DEP_1)
	v_cmp_lt_u64_e32 vcc_lo, 0xffffff, v[54:55]
	v_add_nc_u32_e32 v10, 7, v21
	v_cndmask_b32_e32 v20, v23, v10, vcc_lo
	v_cndmask_b32_e64 v10, 0, 1, vcc_lo
	s_delay_alu instid0(VALU_DEP_1)
	v_lshrrev_b64 v[10:11], v10, v[54:55]
; %bb.3980:                             ;   in Loop: Header=BB6_3629 Depth=2
	s_and_not1_saveexec_b32 s11, s11
; %bb.3981:                             ;   in Loop: Header=BB6_3629 Depth=2
	v_mov_b64_e32 v[10:11], v[54:55]
	v_bfe_u32 v20, v54, 23, 1
; %bb.3982:                             ;   in Loop: Header=BB6_3629 Depth=2
	s_or_b32 exec_lo, exec_lo, s11
	s_delay_alu instid0(VALU_DEP_2) | instskip(NEXT) | instid1(VALU_DEP_2)
	v_lshrrev_b64 v[10:11], 20, v[10:11]
	v_cmp_gt_i32_e32 vcc_lo, 16, v20
	v_min_i32_e32 v21, 15, v20
	v_cmp_eq_u32_e64 s11, 0, v20
	s_delay_alu instid0(VALU_DEP_2) | instskip(SKIP_1) | instid1(VALU_DEP_2)
	v_dual_cndmask_b32 v11, 0, v11, vcc_lo :: v_dual_lshlrev_b32 v21, 3, v21
	v_cndmask_b32_e32 v10, 7, v10, vcc_lo
	v_and_b32_e32 v21, 0xf8, v21
	s_delay_alu instid0(VALU_DEP_2) | instskip(NEXT) | instid1(VALU_DEP_2)
	v_cmp_eq_u64_e32 vcc_lo, 0, v[10:11]
	v_and_or_b32 v10, v10, 7, v21
	s_and_b32 s11, s11, vcc_lo
	s_delay_alu instid0(VALU_DEP_1) | instid1(SALU_CYCLE_1)
	v_cndmask_b32_e64 v10, v10, 0, s11
	s_delay_alu instid0(VALU_DEP_1)
	v_or_b32_e32 v26, v10, v22
.LBB6_3983:                             ;   in Loop: Header=BB6_3629 Depth=2
	s_or_b32 exec_lo, exec_lo, s44
                                        ; implicit-def: $vgpr22
.LBB6_3984:                             ;   in Loop: Header=BB6_3629 Depth=2
	s_and_not1_saveexec_b32 s11, s43
; %bb.3985:                             ;   in Loop: Header=BB6_3629 Depth=2
	v_or_b32_e32 v26, 0x7e, v22
; %bb.3986:                             ;   in Loop: Header=BB6_3629 Depth=2
	s_or_b32 exec_lo, exec_lo, s11
                                        ; implicit-def: $vgpr11
.LBB6_3987:                             ;   in Loop: Header=BB6_3629 Depth=2
	s_and_not1_saveexec_b32 s11, s42
; %bb.3988:                             ;   in Loop: Header=BB6_3629 Depth=2
	v_or_b32_e32 v26, 0x7f, v11
; %bb.3989:                             ;   in Loop: Header=BB6_3629 Depth=2
	s_or_b32 exec_lo, exec_lo, s11
	v_mov_b32_e32 v10, 0
	s_mov_b32 s11, exec_lo
	v_cmpx_lt_u64_e64 s[14:15], v[12:13]
	s_cbranch_execz .LBB6_3997
; %bb.3990:                             ;   in Loop: Header=BB6_3629 Depth=2
	v_lshrrev_b32_e32 v12, 24, v13
	v_bfrev_b32_e32 v10, 1
	s_mov_b32 s42, exec_lo
	s_delay_alu instid0(VALU_DEP_2)
	v_cmpx_ne_u32_e32 0x80, v12
	s_cbranch_execz .LBB6_3996
; %bb.3991:                             ;   in Loop: Header=BB6_3629 Depth=2
	v_bfe_u32 v11, v13, 24, 7
	v_mov_b32_e32 v10, 0x7f800001
	s_mov_b32 s43, exec_lo
	s_delay_alu instid0(VALU_DEP_2)
	v_cmpx_ne_u32_e32 0x7f, v11
	s_cbranch_execz .LBB6_3995
; %bb.3992:                             ;   in Loop: Header=BB6_3629 Depth=2
	v_dual_lshrrev_b32 v13, 3, v11 :: v_dual_bitop2_b32 v54, 7, v12 bitop3:0x40
	v_cmp_gt_u32_e32 vcc_lo, 8, v11
	s_delay_alu instid0(VALU_DEP_2)
	v_mov_b64_e32 v[10:11], v[54:55]
	s_and_saveexec_b32 s44, vcc_lo
; %bb.3993:                             ;   in Loop: Header=BB6_3629 Depth=2
	v_clz_i32_u32_e32 v10, v54
	s_delay_alu instid0(VALU_DEP_1) | instskip(NEXT) | instid1(VALU_DEP_1)
	v_min_u32_e32 v13, 32, v10
	v_subrev_nc_u32_e32 v10, 28, v13
	s_delay_alu instid0(VALU_DEP_1) | instskip(NEXT) | instid1(VALU_DEP_1)
	v_lshlrev_b64_e32 v[10:11], v10, v[54:55]
	v_dual_sub_nc_u32 v13, 29, v13 :: v_dual_bitop2_b32 v10, 7, v10 bitop3:0x40
; %bb.3994:                             ;   in Loop: Header=BB6_3629 Depth=2
	s_or_b32 exec_lo, exec_lo, s44
	s_delay_alu instid0(VALU_DEP_1) | instskip(NEXT) | instid1(VALU_DEP_2)
	v_dual_lshlrev_b32 v11, 24, v12 :: v_dual_lshlrev_b32 v10, 20, v10
	v_lshl_add_u32 v12, v13, 23, 0x3c000000
	s_delay_alu instid0(VALU_DEP_2) | instskip(NEXT) | instid1(VALU_DEP_1)
	v_and_b32_e32 v11, 0x80000000, v11
	v_or3_b32 v10, v10, v11, v12
.LBB6_3995:                             ;   in Loop: Header=BB6_3629 Depth=2
	s_or_b32 exec_lo, exec_lo, s43
.LBB6_3996:                             ;   in Loop: Header=BB6_3629 Depth=2
	s_delay_alu instid0(SALU_CYCLE_1)
	s_or_b32 exec_lo, exec_lo, s42
.LBB6_3997:                             ;   in Loop: Header=BB6_3629 Depth=2
	s_delay_alu instid0(SALU_CYCLE_1) | instskip(NEXT) | instid1(VALU_DEP_1)
	s_or_b32 exec_lo, exec_lo, s11
	v_mul_f32_e32 v10, s12, v10
                                        ; implicit-def: $vgpr29
	s_mov_b32 s11, exec_lo
	s_delay_alu instid0(VALU_DEP_1) | instskip(SKIP_1) | instid1(VALU_DEP_2)
	v_and_b32_e32 v54, 0x7f800000, v10
	v_lshrrev_b32_e32 v11, 24, v10
	v_cmpx_ne_u64_e32 0x7f800000, v[54:55]
	s_xor_b32 s12, exec_lo, s11
	s_cbranch_execz .LBB6_4011
; %bb.3998:                             ;   in Loop: Header=BB6_3629 Depth=2
	v_and_b32_e32 v54, 0x7fffffff, v10
	v_and_b32_e32 v20, 0x80, v11
                                        ; implicit-def: $vgpr29
	s_mov_b32 s11, exec_lo
	s_delay_alu instid0(VALU_DEP_2)
	v_cmpx_gt_u64_e32 0x43e00001, v[54:55]
	s_xor_b32 s42, exec_lo, s11
	s_cbranch_execz .LBB6_4008
; %bb.3999:                             ;   in Loop: Header=BB6_3629 Depth=2
	v_mov_b32_e32 v29, 0
	s_mov_b32 s43, exec_lo
	v_cmpx_ne_u32_e32 0, v10
	s_cbranch_execz .LBB6_4007
; %bb.4000:                             ;   in Loop: Header=BB6_3629 Depth=2
	v_bfe_u32 v21, v10, 23, 8
	v_and_b32_e32 v12, 0x7fffff, v10
	s_delay_alu instid0(VALU_DEP_2) | instskip(NEXT) | instid1(VALU_DEP_2)
	v_cmp_gt_u32_e32 vcc_lo, 0x7a, v21
	v_or_b32_e32 v13, 0x800000, v12
	v_sub_nc_u32_e32 v11, 0x79, v21
	s_delay_alu instid0(VALU_DEP_1) | instskip(SKIP_1) | instid1(VALU_DEP_2)
	v_cndmask_b32_e32 v11, 0, v11, vcc_lo
	v_cmp_eq_u32_e32 vcc_lo, 0, v21
	v_cndmask_b32_e64 v22, v11, 0x78, vcc_lo
	s_delay_alu instid0(VALU_DEP_1) | instskip(SKIP_1) | instid1(VALU_DEP_2)
	v_dual_cndmask_b32 v54, v13, v12, vcc_lo :: v_dual_add_nc_u32 v10, 20, v22
	v_add_nc_u32_e32 v23, 19, v22
	v_lshlrev_b64_e64 v[10:11], v10, -1
	s_delay_alu instid0(VALU_DEP_2) | instskip(NEXT) | instid1(VALU_DEP_2)
	v_lshlrev_b64_e64 v[12:13], v23, 1
	v_bfi_b32 v37, v11, 0, 0
	s_delay_alu instid0(VALU_DEP_3) | instskip(SKIP_1) | instid1(VALU_DEP_2)
	v_bfi_b32 v36, v10, 0, v54
	v_lshrrev_b64 v[10:11], v22, v[54:55]
	v_cmp_eq_u64_e64 s11, v[36:37], v[12:13]
	s_delay_alu instid0(VALU_DEP_2)
	v_mov_b64_e32 v[12:13], v[10:11]
	s_and_saveexec_b32 s44, s11
; %bb.4001:                             ;   in Loop: Header=BB6_3629 Depth=2
	v_bfe_u32 v54, v10, 20, 1
	s_delay_alu instid0(VALU_DEP_1) | instskip(NEXT) | instid1(VALU_DEP_1)
	v_add_nc_u64_e32 v[12:13], v[10:11], v[54:55]
	v_add_nc_u64_e32 v[12:13], -1, v[12:13]
; %bb.4002:                             ;   in Loop: Header=BB6_3629 Depth=2
	s_or_b32 exec_lo, exec_lo, s44
	v_add_nc_u32_e32 v11, 0xffffff81, v21
	v_lshrrev_b32_e32 v13, 23, v10
	s_mov_b32 s11, exec_lo
	s_delay_alu instid0(VALU_DEP_2) | instskip(NEXT) | instid1(VALU_DEP_1)
	v_cndmask_b32_e64 v11, v11, 0xffffff82, vcc_lo
	v_add3_u32 v13, v22, v11, v13
	v_and_b32_e32 v11, 0xfffff, v12
                                        ; implicit-def: $vgpr12
	s_delay_alu instid0(VALU_DEP_1) | instskip(NEXT) | instid1(VALU_DEP_1)
	v_dual_add_nc_u32 v21, 6, v13 :: v_dual_add_nc_u32 v54, v11, v10
                                        ; implicit-def: $vgpr10_vgpr11
	v_cmpx_ne_u32_e32 0, v21
	s_xor_b32 s11, exec_lo, s11
; %bb.4003:                             ;   in Loop: Header=BB6_3629 Depth=2
	s_delay_alu instid0(VALU_DEP_2) | instskip(SKIP_1) | instid1(VALU_DEP_1)
	v_cmp_lt_u64_e32 vcc_lo, 0xffffff, v[54:55]
	v_add_nc_u32_e32 v10, 7, v13
	v_cndmask_b32_e32 v12, v21, v10, vcc_lo
	v_cndmask_b32_e64 v10, 0, 1, vcc_lo
	s_delay_alu instid0(VALU_DEP_1)
	v_lshrrev_b64 v[10:11], v10, v[54:55]
; %bb.4004:                             ;   in Loop: Header=BB6_3629 Depth=2
	s_and_not1_saveexec_b32 s11, s11
; %bb.4005:                             ;   in Loop: Header=BB6_3629 Depth=2
	v_mov_b64_e32 v[10:11], v[54:55]
	v_bfe_u32 v12, v54, 23, 1
; %bb.4006:                             ;   in Loop: Header=BB6_3629 Depth=2
	s_or_b32 exec_lo, exec_lo, s11
	s_delay_alu instid0(VALU_DEP_2) | instskip(NEXT) | instid1(VALU_DEP_2)
	v_lshrrev_b64 v[10:11], 20, v[10:11]
	v_cmp_gt_i32_e32 vcc_lo, 16, v12
	v_min_i32_e32 v13, 15, v12
	v_cmp_eq_u32_e64 s11, 0, v12
	s_delay_alu instid0(VALU_DEP_2) | instskip(SKIP_1) | instid1(VALU_DEP_2)
	v_dual_cndmask_b32 v11, 0, v11, vcc_lo :: v_dual_lshlrev_b32 v13, 3, v13
	v_cndmask_b32_e32 v10, 7, v10, vcc_lo
	v_and_b32_e32 v13, 0xf8, v13
	s_delay_alu instid0(VALU_DEP_2) | instskip(NEXT) | instid1(VALU_DEP_2)
	v_cmp_eq_u64_e32 vcc_lo, 0, v[10:11]
	v_and_or_b32 v10, v10, 7, v13
	s_and_b32 s11, s11, vcc_lo
	s_delay_alu instid0(VALU_DEP_1) | instid1(SALU_CYCLE_1)
	v_cndmask_b32_e64 v10, v10, 0, s11
	s_delay_alu instid0(VALU_DEP_1)
	v_or_b32_e32 v29, v10, v20
.LBB6_4007:                             ;   in Loop: Header=BB6_3629 Depth=2
	s_or_b32 exec_lo, exec_lo, s43
                                        ; implicit-def: $vgpr20
.LBB6_4008:                             ;   in Loop: Header=BB6_3629 Depth=2
	s_and_not1_saveexec_b32 s11, s42
; %bb.4009:                             ;   in Loop: Header=BB6_3629 Depth=2
	v_or_b32_e32 v29, 0x7e, v20
; %bb.4010:                             ;   in Loop: Header=BB6_3629 Depth=2
	s_or_b32 exec_lo, exec_lo, s11
                                        ; implicit-def: $vgpr11
.LBB6_4011:                             ;   in Loop: Header=BB6_3629 Depth=2
	s_and_not1_saveexec_b32 s11, s12
; %bb.4012:                             ;   in Loop: Header=BB6_3629 Depth=2
	v_or_b32_e32 v29, 0x7f, v11
; %bb.4013:                             ;   in Loop: Header=BB6_3629 Depth=2
	s_or_b32 exec_lo, exec_lo, s11
	global_load_b128 v[10:13], v[18:19], off th:TH_LOAD_NT
	v_lshl_or_b32 v6, v6, 8, v4
	v_dual_lshlrev_b32 v9, 16, v9 :: v_dual_lshlrev_b32 v20, 24, v28
	s_mov_b32 s11, exec_lo
	s_delay_alu instid0(VALU_DEP_1)
	v_or3_b32 v54, v9, v20, v6
	v_mov_b32_e32 v9, 0
	s_wait_xcnt 0x0
	v_cmpx_ne_u32_e32 0, v4
	s_cbranch_execz .LBB6_4019
; %bb.4014:                             ;   in Loop: Header=BB6_3629 Depth=2
	v_bfrev_b32_e32 v9, 1
	s_mov_b32 s12, exec_lo
	v_cmpx_ne_u32_e32 0x80, v4
	s_cbranch_execz .LBB6_4018
; %bb.4015:                             ;   in Loop: Header=BB6_3629 Depth=2
	v_and_b32_e32 v20, 0x7f, v4
	v_mov_b32_e32 v9, 0x7f800001
	s_mov_b32 s42, exec_lo
	s_delay_alu instid0(VALU_DEP_2)
	v_cmpx_ne_u32_e32 0x7f, v20
	s_cbranch_execz .LBB6_4017
; %bb.4016:                             ;   in Loop: Header=BB6_3629 Depth=2
	v_cmp_gt_u32_e32 vcc_lo, 8, v20
	v_and_b32_e32 v4, 7, v4
	v_lshrrev_b32_e32 v9, 3, v20
	s_delay_alu instid0(VALU_DEP_2) | instskip(NEXT) | instid1(VALU_DEP_1)
	v_clz_i32_u32_e32 v4, v4
	v_min_u32_e32 v4, 32, v4
	s_delay_alu instid0(VALU_DEP_1) | instskip(SKIP_1) | instid1(VALU_DEP_1)
	v_subrev_nc_u32_e32 v21, 28, v4
	v_sub_nc_u32_e32 v4, 29, v4
	v_dual_cndmask_b32 v4, v9, v4 :: v_dual_cndmask_b32 v9, 0, v21
	s_delay_alu instid0(VALU_DEP_1) | instskip(NEXT) | instid1(VALU_DEP_2)
	v_lshl_add_u32 v4, v4, 23, 0x3c000000
	v_lshlrev_b64_e32 v[20:21], v9, v[54:55]
	v_lshlrev_b32_e32 v9, 24, v54
	s_delay_alu instid0(VALU_DEP_1) | instskip(NEXT) | instid1(VALU_DEP_3)
	v_and_b32_e32 v9, 0x80000000, v9
	v_lshlrev_b32_e32 v20, 20, v20
	s_delay_alu instid0(VALU_DEP_1) | instskip(NEXT) | instid1(VALU_DEP_1)
	v_and_b32_e32 v20, 0x700000, v20
	v_or3_b32 v9, v20, v9, v4
.LBB6_4017:                             ;   in Loop: Header=BB6_3629 Depth=2
	s_or_b32 exec_lo, exec_lo, s42
.LBB6_4018:                             ;   in Loop: Header=BB6_3629 Depth=2
	s_delay_alu instid0(SALU_CYCLE_1)
	s_or_b32 exec_lo, exec_lo, s12
.LBB6_4019:                             ;   in Loop: Header=BB6_3629 Depth=2
	s_delay_alu instid0(SALU_CYCLE_1) | instskip(SKIP_4) | instid1(VALU_DEP_1)
	s_or_b32 exec_lo, exec_lo, s11
	s_wait_loadcnt 0x0
	v_and_b32_e32 v20, 0xff, v10
	s_mov_b32 s11, 0
	s_mov_b32 s12, exec_lo
	v_cmpx_lt_i16_e32 0x7f, v20
	s_xor_b32 s12, exec_lo, s12
	s_cbranch_execnz .LBB6_4050
; %bb.4020:                             ;   in Loop: Header=BB6_3629 Depth=2
	s_or_saveexec_b32 s12, s12
	v_bfrev_b32_e32 v4, 1
	s_xor_b32 exec_lo, exec_lo, s12
	s_cbranch_execnz .LBB6_4053
.LBB6_4021:                             ;   in Loop: Header=BB6_3629 Depth=2
	s_or_b32 exec_lo, exec_lo, s12
	s_and_saveexec_b32 s12, s11
	s_cbranch_execz .LBB6_4023
.LBB6_4022:                             ;   in Loop: Header=BB6_3629 Depth=2
	v_and_b32_e32 v22, 0x7f, v10
	v_bfe_u32 v20, v10, 3, 4
	s_delay_alu instid0(VALU_DEP_2) | instskip(SKIP_1) | instid1(VALU_DEP_1)
	v_cmp_gt_u32_e32 vcc_lo, 8, v22
	v_and_b32_e32 v4, 7, v10
	v_clz_i32_u32_e32 v4, v4
	s_delay_alu instid0(VALU_DEP_1) | instskip(NEXT) | instid1(VALU_DEP_1)
	v_min_u32_e32 v4, 32, v4
	v_subrev_nc_u32_e32 v21, 28, v4
	v_sub_nc_u32_e32 v4, 29, v4
	s_delay_alu instid0(VALU_DEP_1) | instskip(SKIP_1) | instid1(VALU_DEP_2)
	v_dual_cndmask_b32 v4, v20, v4, vcc_lo :: v_dual_cndmask_b32 v20, 0, v21, vcc_lo
	v_cmp_ne_u32_e32 vcc_lo, 0x7f, v22
	v_lshl_add_u32 v4, v4, 23, 0x3c000000
	s_delay_alu instid0(VALU_DEP_3) | instskip(SKIP_1) | instid1(VALU_DEP_1)
	v_lshlrev_b64_e32 v[20:21], v20, v[10:11]
	v_lshlrev_b32_e32 v21, 24, v10
	v_and_b32_e32 v21, 0x80000000, v21
	s_delay_alu instid0(VALU_DEP_3) | instskip(NEXT) | instid1(VALU_DEP_1)
	v_lshlrev_b32_e32 v20, 20, v20
	v_and_b32_e32 v20, 0x700000, v20
	s_delay_alu instid0(VALU_DEP_1) | instskip(NEXT) | instid1(VALU_DEP_1)
	v_or3_b32 v4, v20, v21, v4
	v_cndmask_b32_e32 v4, 0x7f800001, v4, vcc_lo
.LBB6_4023:                             ;   in Loop: Header=BB6_3629 Depth=2
	s_or_b32 exec_lo, exec_lo, s12
	s_delay_alu instid0(VALU_DEP_1) | instskip(SKIP_1) | instid1(VALU_DEP_1)
	v_dual_add_f32 v20, v9, v4 :: v_dual_mov_b32 v23, v55
                                        ; implicit-def: $vgpr4
	s_mov_b32 s11, exec_lo
	v_and_b32_e32 v22, 0x7f800000, v20
	v_lshrrev_b32_e32 v9, 24, v20
	s_delay_alu instid0(VALU_DEP_2)
	v_cmpx_ne_u64_e32 0x7f800000, v[22:23]
	s_xor_b32 s12, exec_lo, s11
	s_cbranch_execz .LBB6_4037
; %bb.4024:                             ;   in Loop: Header=BB6_3629 Depth=2
	v_and_b32_e32 v22, 0x7fffffff, v20
	v_mov_b32_e32 v23, v55
	v_and_b32_e32 v9, 0x80, v9
                                        ; implicit-def: $vgpr4
	s_mov_b32 s11, exec_lo
	s_delay_alu instid0(VALU_DEP_2)
	v_cmpx_gt_u64_e32 0x43e00001, v[22:23]
	s_xor_b32 s42, exec_lo, s11
	s_cbranch_execz .LBB6_4034
; %bb.4025:                             ;   in Loop: Header=BB6_3629 Depth=2
	v_mov_b32_e32 v4, 0
	s_mov_b32 s43, exec_lo
	v_cmpx_ne_u32_e32 0, v20
	s_cbranch_execz .LBB6_4033
; %bb.4026:                             ;   in Loop: Header=BB6_3629 Depth=2
	v_bfe_u32 v4, v20, 23, 8
	v_and_b32_e32 v22, 0x7fffff, v20
	s_mov_b32 s44, exec_lo
	s_delay_alu instid0(VALU_DEP_2) | instskip(NEXT) | instid1(VALU_DEP_2)
	v_cmp_gt_u32_e32 vcc_lo, 0x7a, v4
	v_or_b32_e32 v23, 0x800000, v22
	v_sub_nc_u32_e32 v21, 0x79, v4
	s_delay_alu instid0(VALU_DEP_1) | instskip(SKIP_1) | instid1(VALU_DEP_2)
	v_cndmask_b32_e32 v21, 0, v21, vcc_lo
	v_cmp_eq_u32_e32 vcc_lo, 0, v4
	v_cndmask_b32_e64 v28, v21, 0x78, vcc_lo
	v_cndmask_b32_e32 v22, v23, v22, vcc_lo
	s_delay_alu instid0(VALU_DEP_2) | instskip(SKIP_1) | instid1(VALU_DEP_2)
	v_dual_mov_b32 v23, v55 :: v_dual_add_nc_u32 v36, 19, v28
	v_add_nc_u32_e32 v20, 20, v28
	v_lshlrev_b64_e64 v[36:37], v36, 1
	s_delay_alu instid0(VALU_DEP_2) | instskip(NEXT) | instid1(VALU_DEP_1)
	v_lshlrev_b64_e64 v[20:21], v20, -1
	v_bfi_b32 v39, v21, 0, 0
	s_delay_alu instid0(VALU_DEP_2) | instskip(SKIP_1) | instid1(VALU_DEP_1)
	v_bfi_b32 v38, v20, 0, v22
	v_lshrrev_b64 v[20:21], v28, v[22:23]
	v_mov_b64_e32 v[22:23], v[20:21]
	s_delay_alu instid0(VALU_DEP_3)
	v_cmpx_eq_u64_e64 v[38:39], v[36:37]
; %bb.4027:                             ;   in Loop: Header=BB6_3629 Depth=2
	v_bfe_u32 v22, v20, 20, 1
	v_mov_b32_e32 v23, v55
	s_delay_alu instid0(VALU_DEP_1) | instskip(NEXT) | instid1(VALU_DEP_1)
	v_add_nc_u64_e32 v[22:23], v[20:21], v[22:23]
	v_add_nc_u64_e32 v[22:23], -1, v[22:23]
; %bb.4028:                             ;   in Loop: Header=BB6_3629 Depth=2
	s_or_b32 exec_lo, exec_lo, s44
	v_add_nc_u32_e32 v4, 0xffffff81, v4
	v_lshrrev_b32_e32 v21, 23, v20
	s_mov_b32 s11, exec_lo
	s_delay_alu instid0(VALU_DEP_2) | instskip(NEXT) | instid1(VALU_DEP_1)
	v_cndmask_b32_e64 v4, v4, 0xffffff82, vcc_lo
	v_add3_u32 v23, v28, v4, v21
	v_and_b32_e32 v4, 0xfffff, v22
	s_delay_alu instid0(VALU_DEP_2) | instskip(NEXT) | instid1(VALU_DEP_2)
	v_dual_mov_b32 v21, v55 :: v_dual_add_nc_u32 v22, 6, v23
	v_add_nc_u32_e32 v20, v4, v20
                                        ; implicit-def: $vgpr4
	s_delay_alu instid0(VALU_DEP_2)
	v_cmpx_ne_u32_e32 0, v22
	s_xor_b32 s11, exec_lo, s11
; %bb.4029:                             ;   in Loop: Header=BB6_3629 Depth=2
	s_delay_alu instid0(VALU_DEP_2) | instskip(SKIP_1) | instid1(VALU_DEP_1)
	v_cmp_lt_u64_e32 vcc_lo, 0xffffff, v[20:21]
	v_add_nc_u32_e32 v4, 7, v23
	v_cndmask_b32_e32 v4, v22, v4, vcc_lo
	v_cndmask_b32_e64 v22, 0, 1, vcc_lo
	s_delay_alu instid0(VALU_DEP_1)
	v_lshrrev_b64 v[20:21], v22, v[20:21]
; %bb.4030:                             ;   in Loop: Header=BB6_3629 Depth=2
	s_and_not1_saveexec_b32 s11, s11
; %bb.4031:                             ;   in Loop: Header=BB6_3629 Depth=2
	s_delay_alu instid0(VALU_DEP_1)
	v_bfe_u32 v4, v20, 23, 1
; %bb.4032:                             ;   in Loop: Header=BB6_3629 Depth=2
	s_or_b32 exec_lo, exec_lo, s11
	s_delay_alu instid0(VALU_DEP_2) | instskip(NEXT) | instid1(VALU_DEP_2)
	v_lshrrev_b64 v[20:21], 20, v[20:21]
	v_cmp_gt_i32_e32 vcc_lo, 16, v4
	v_min_i32_e32 v22, 15, v4
	v_cmp_eq_u32_e64 s11, 0, v4
	s_delay_alu instid0(VALU_DEP_2) | instskip(SKIP_1) | instid1(VALU_DEP_2)
	v_dual_cndmask_b32 v21, 0, v21 :: v_dual_lshlrev_b32 v22, 3, v22
	v_cndmask_b32_e32 v20, 7, v20, vcc_lo
	v_and_b32_e32 v22, 0xf8, v22
	s_delay_alu instid0(VALU_DEP_2) | instskip(NEXT) | instid1(VALU_DEP_2)
	v_cmp_eq_u64_e32 vcc_lo, 0, v[20:21]
	v_and_or_b32 v4, v20, 7, v22
	s_and_b32 s11, s11, vcc_lo
	s_delay_alu instid0(VALU_DEP_1) | instid1(SALU_CYCLE_1)
	v_cndmask_b32_e64 v4, v4, 0, s11
	s_delay_alu instid0(VALU_DEP_1)
	v_or_b32_e32 v4, v4, v9
.LBB6_4033:                             ;   in Loop: Header=BB6_3629 Depth=2
	s_or_b32 exec_lo, exec_lo, s43
                                        ; implicit-def: $vgpr9
.LBB6_4034:                             ;   in Loop: Header=BB6_3629 Depth=2
	s_and_not1_saveexec_b32 s11, s42
; %bb.4035:                             ;   in Loop: Header=BB6_3629 Depth=2
	v_or_b32_e32 v4, 0x7e, v9
; %bb.4036:                             ;   in Loop: Header=BB6_3629 Depth=2
	s_or_b32 exec_lo, exec_lo, s11
                                        ; implicit-def: $vgpr9
.LBB6_4037:                             ;   in Loop: Header=BB6_3629 Depth=2
	s_and_not1_saveexec_b32 s11, s12
; %bb.4038:                             ;   in Loop: Header=BB6_3629 Depth=2
	v_or_b32_e32 v4, 0x7f, v9
; %bb.4039:                             ;   in Loop: Header=BB6_3629 Depth=2
	s_or_b32 exec_lo, exec_lo, s11
	v_lshrrev_b16 v20, 8, v6
	v_mov_b32_e32 v9, 0
	s_mov_b32 s11, exec_lo
	s_delay_alu instid0(VALU_DEP_2)
	v_cmpx_ne_u16_e32 0, v20
	s_cbranch_execz .LBB6_4047
; %bb.4040:                             ;   in Loop: Header=BB6_3629 Depth=2
	v_bfrev_b32_e32 v9, 1
	s_mov_b32 s12, exec_lo
	v_cmpx_ne_u16_e32 0x80, v20
	s_cbranch_execz .LBB6_4046
; %bb.4041:                             ;   in Loop: Header=BB6_3629 Depth=2
	v_and_b32_e32 v20, 0xffff, v20
	v_mov_b32_e32 v9, 0x7f800001
	s_mov_b32 s42, exec_lo
	s_delay_alu instid0(VALU_DEP_2) | instskip(NEXT) | instid1(VALU_DEP_1)
	v_and_b32_e32 v22, 0x7f, v20
	v_cmpx_ne_u32_e32 0x7f, v22
	s_cbranch_execz .LBB6_4045
; %bb.4042:                             ;   in Loop: Header=BB6_3629 Depth=2
	v_dual_mov_b32 v21, v55 :: v_dual_bitop2_b32 v20, 7, v20 bitop3:0x40
	v_lshrrev_b32_e32 v9, 3, v22
	s_mov_b32 s43, exec_lo
	v_cmpx_gt_u32_e32 8, v22
; %bb.4043:                             ;   in Loop: Header=BB6_3629 Depth=2
	s_delay_alu instid0(VALU_DEP_3) | instskip(NEXT) | instid1(VALU_DEP_1)
	v_clz_i32_u32_e32 v9, v20
	v_min_u32_e32 v9, 32, v9
	s_delay_alu instid0(VALU_DEP_1) | instskip(NEXT) | instid1(VALU_DEP_1)
	v_subrev_nc_u32_e32 v22, 28, v9
	v_lshlrev_b64_e32 v[20:21], v22, v[20:21]
	s_delay_alu instid0(VALU_DEP_1)
	v_dual_sub_nc_u32 v9, 29, v9 :: v_dual_bitop2_b32 v20, 7, v20 bitop3:0x40
; %bb.4044:                             ;   in Loop: Header=BB6_3629 Depth=2
	s_or_b32 exec_lo, exec_lo, s43
	s_delay_alu instid0(VALU_DEP_1) | instskip(NEXT) | instid1(VALU_DEP_2)
	v_dual_lshlrev_b32 v6, 16, v6 :: v_dual_lshlrev_b32 v20, 20, v20
	v_lshl_add_u32 v9, v9, 23, 0x3c000000
	s_delay_alu instid0(VALU_DEP_2) | instskip(NEXT) | instid1(VALU_DEP_1)
	v_and_b32_e32 v6, 0x80000000, v6
	v_or3_b32 v9, v20, v6, v9
.LBB6_4045:                             ;   in Loop: Header=BB6_3629 Depth=2
	s_or_b32 exec_lo, exec_lo, s42
.LBB6_4046:                             ;   in Loop: Header=BB6_3629 Depth=2
	s_delay_alu instid0(SALU_CYCLE_1)
	s_or_b32 exec_lo, exec_lo, s12
.LBB6_4047:                             ;   in Loop: Header=BB6_3629 Depth=2
	s_delay_alu instid0(SALU_CYCLE_1) | instskip(SKIP_3) | instid1(VALU_DEP_1)
	s_or_b32 exec_lo, exec_lo, s11
	v_lshrrev_b16 v6, 8, v10
	s_mov_b32 s12, 0
	s_mov_b32 s11, exec_lo
	v_cmpx_lt_i16_e32 0x7f, v6
	s_xor_b32 s11, exec_lo, s11
	s_cbranch_execnz .LBB6_4054
; %bb.4048:                             ;   in Loop: Header=BB6_3629 Depth=2
	s_or_saveexec_b32 s11, s11
	v_bfrev_b32_e32 v21, 1
	s_xor_b32 exec_lo, exec_lo, s11
	s_cbranch_execnz .LBB6_4057
.LBB6_4049:                             ;   in Loop: Header=BB6_3629 Depth=2
	s_or_b32 exec_lo, exec_lo, s11
	s_and_saveexec_b32 s11, s12
	s_cbranch_execnz .LBB6_4058
	s_branch .LBB6_4061
.LBB6_4050:                             ;   in Loop: Header=BB6_3629 Depth=2
	s_mov_b32 s11, -1
	s_mov_b32 s42, exec_lo
	v_cmpx_eq_u16_e32 0x80, v20
; %bb.4051:                             ;   in Loop: Header=BB6_3629 Depth=2
	s_xor_b32 s11, exec_lo, -1
; %bb.4052:                             ;   in Loop: Header=BB6_3629 Depth=2
	s_or_b32 exec_lo, exec_lo, s42
	s_delay_alu instid0(SALU_CYCLE_1)
	s_and_b32 s11, s11, exec_lo
                                        ; implicit-def: $vgpr20
	s_or_saveexec_b32 s12, s12
	v_bfrev_b32_e32 v4, 1
	s_xor_b32 exec_lo, exec_lo, s12
	s_cbranch_execz .LBB6_4021
.LBB6_4053:                             ;   in Loop: Header=BB6_3629 Depth=2
	v_cmp_ne_u16_e32 vcc_lo, 0, v20
	v_mov_b32_e32 v4, 0
	s_and_not1_b32 s11, s11, exec_lo
	s_and_b32 s42, vcc_lo, exec_lo
	s_delay_alu instid0(SALU_CYCLE_1)
	s_or_b32 s11, s11, s42
	s_or_b32 exec_lo, exec_lo, s12
	s_and_saveexec_b32 s12, s11
	s_cbranch_execnz .LBB6_4022
	s_branch .LBB6_4023
.LBB6_4054:                             ;   in Loop: Header=BB6_3629 Depth=2
	s_mov_b32 s12, -1
	s_mov_b32 s42, exec_lo
	v_cmpx_eq_u16_e32 0x80, v6
; %bb.4055:                             ;   in Loop: Header=BB6_3629 Depth=2
	s_xor_b32 s12, exec_lo, -1
; %bb.4056:                             ;   in Loop: Header=BB6_3629 Depth=2
	s_or_b32 exec_lo, exec_lo, s42
	s_delay_alu instid0(SALU_CYCLE_1)
	s_and_b32 s12, s12, exec_lo
	s_or_saveexec_b32 s11, s11
	v_bfrev_b32_e32 v21, 1
	s_xor_b32 exec_lo, exec_lo, s11
	s_cbranch_execz .LBB6_4049
.LBB6_4057:                             ;   in Loop: Header=BB6_3629 Depth=2
	v_cmp_ne_u16_e32 vcc_lo, 0, v6
	v_mov_b32_e32 v21, 0
	s_and_not1_b32 s12, s12, exec_lo
	s_and_b32 s42, vcc_lo, exec_lo
	s_delay_alu instid0(SALU_CYCLE_1)
	s_or_b32 s12, s12, s42
	s_or_b32 exec_lo, exec_lo, s11
	s_and_saveexec_b32 s11, s12
	s_cbranch_execz .LBB6_4061
.LBB6_4058:                             ;   in Loop: Header=BB6_3629 Depth=2
	v_and_b32_e32 v20, 0xffff, v6
	v_mov_b32_e32 v21, 0x7f800001
	s_mov_b32 s12, exec_lo
	s_delay_alu instid0(VALU_DEP_2) | instskip(NEXT) | instid1(VALU_DEP_1)
	v_and_b32_e32 v22, 0x7f, v20
	v_cmpx_ne_u32_e32 0x7f, v22
	s_cbranch_execz .LBB6_4060
; %bb.4059:                             ;   in Loop: Header=BB6_3629 Depth=2
	v_and_b32_e32 v23, 7, v20
	v_cmp_gt_u32_e32 vcc_lo, 8, v22
	v_lshlrev_b32_e32 v6, 24, v6
	s_delay_alu instid0(VALU_DEP_3) | instskip(NEXT) | instid1(VALU_DEP_2)
	v_clz_i32_u32_e32 v21, v23
	v_and_b32_e32 v6, 0x80000000, v6
	s_delay_alu instid0(VALU_DEP_2) | instskip(NEXT) | instid1(VALU_DEP_1)
	v_min_u32_e32 v28, 32, v21
	v_subrev_nc_u32_e32 v21, 28, v28
	v_sub_nc_u32_e32 v28, 29, v28
	s_delay_alu instid0(VALU_DEP_2) | instskip(SKIP_1) | instid1(VALU_DEP_1)
	v_lshlrev_b64_e32 v[20:21], v21, v[20:21]
	v_lshrrev_b32_e32 v21, 3, v22
	v_cndmask_b32_e32 v21, v21, v28, vcc_lo
	s_delay_alu instid0(VALU_DEP_3) | instskip(NEXT) | instid1(VALU_DEP_2)
	v_and_b32_e32 v20, 7, v20
	v_lshl_add_u32 v21, v21, 23, 0x3c000000
	s_delay_alu instid0(VALU_DEP_2) | instskip(NEXT) | instid1(VALU_DEP_1)
	v_cndmask_b32_e32 v20, v23, v20, vcc_lo
	v_lshlrev_b32_e32 v20, 20, v20
	s_delay_alu instid0(VALU_DEP_1)
	v_or3_b32 v21, v20, v6, v21
.LBB6_4060:                             ;   in Loop: Header=BB6_3629 Depth=2
	s_or_b32 exec_lo, exec_lo, s12
.LBB6_4061:                             ;   in Loop: Header=BB6_3629 Depth=2
	s_delay_alu instid0(SALU_CYCLE_1) | instskip(NEXT) | instid1(VALU_DEP_1)
	s_or_b32 exec_lo, exec_lo, s11
	v_dual_add_f32 v20, v9, v21 :: v_dual_mov_b32 v23, v55
                                        ; implicit-def: $vgpr6
	s_mov_b32 s11, exec_lo
	s_delay_alu instid0(VALU_DEP_1) | instskip(SKIP_1) | instid1(VALU_DEP_2)
	v_and_b32_e32 v22, 0x7f800000, v20
	v_lshrrev_b32_e32 v9, 24, v20
	v_cmpx_ne_u64_e32 0x7f800000, v[22:23]
	s_xor_b32 s12, exec_lo, s11
	s_cbranch_execz .LBB6_4075
; %bb.4062:                             ;   in Loop: Header=BB6_3629 Depth=2
	v_and_b32_e32 v22, 0x7fffffff, v20
	v_mov_b32_e32 v23, v55
	v_and_b32_e32 v9, 0x80, v9
                                        ; implicit-def: $vgpr6
	s_mov_b32 s11, exec_lo
	s_delay_alu instid0(VALU_DEP_2)
	v_cmpx_gt_u64_e32 0x43e00001, v[22:23]
	s_xor_b32 s42, exec_lo, s11
	s_cbranch_execz .LBB6_4072
; %bb.4063:                             ;   in Loop: Header=BB6_3629 Depth=2
	v_mov_b32_e32 v6, 0
	s_mov_b32 s43, exec_lo
	v_cmpx_ne_u32_e32 0, v20
	s_cbranch_execz .LBB6_4071
; %bb.4064:                             ;   in Loop: Header=BB6_3629 Depth=2
	v_bfe_u32 v6, v20, 23, 8
	v_and_b32_e32 v22, 0x7fffff, v20
	s_mov_b32 s44, exec_lo
	s_delay_alu instid0(VALU_DEP_2) | instskip(SKIP_1) | instid1(VALU_DEP_3)
	v_sub_nc_u32_e32 v21, 0x79, v6
	v_cmp_gt_u32_e32 vcc_lo, 0x7a, v6
	v_or_b32_e32 v23, 0x800000, v22
	s_delay_alu instid0(VALU_DEP_3) | instskip(SKIP_1) | instid1(VALU_DEP_2)
	v_cndmask_b32_e32 v21, 0, v21, vcc_lo
	v_cmp_eq_u32_e32 vcc_lo, 0, v6
	v_cndmask_b32_e64 v28, v21, 0x78, vcc_lo
	s_delay_alu instid0(VALU_DEP_4) | instskip(NEXT) | instid1(VALU_DEP_2)
	v_cndmask_b32_e32 v22, v23, v22, vcc_lo
	v_dual_mov_b32 v23, v55 :: v_dual_add_nc_u32 v20, 20, v28
	v_add_nc_u32_e32 v36, 19, v28
	s_delay_alu instid0(VALU_DEP_2) | instskip(NEXT) | instid1(VALU_DEP_2)
	v_lshlrev_b64_e64 v[20:21], v20, -1
	v_lshlrev_b64_e64 v[36:37], v36, 1
	s_delay_alu instid0(VALU_DEP_2) | instskip(NEXT) | instid1(VALU_DEP_3)
	v_bfi_b32 v39, v21, 0, 0
	v_bfi_b32 v38, v20, 0, v22
	v_lshrrev_b64 v[20:21], v28, v[22:23]
	s_delay_alu instid0(VALU_DEP_1) | instskip(NEXT) | instid1(VALU_DEP_3)
	v_mov_b64_e32 v[22:23], v[20:21]
	v_cmpx_eq_u64_e64 v[38:39], v[36:37]
; %bb.4065:                             ;   in Loop: Header=BB6_3629 Depth=2
	v_bfe_u32 v22, v20, 20, 1
	v_mov_b32_e32 v23, v55
	s_delay_alu instid0(VALU_DEP_1) | instskip(NEXT) | instid1(VALU_DEP_1)
	v_add_nc_u64_e32 v[22:23], v[20:21], v[22:23]
	v_add_nc_u64_e32 v[22:23], -1, v[22:23]
; %bb.4066:                             ;   in Loop: Header=BB6_3629 Depth=2
	s_or_b32 exec_lo, exec_lo, s44
	v_add_nc_u32_e32 v6, 0xffffff81, v6
	v_lshrrev_b32_e32 v21, 23, v20
	s_mov_b32 s11, exec_lo
	s_delay_alu instid0(VALU_DEP_2) | instskip(NEXT) | instid1(VALU_DEP_1)
	v_cndmask_b32_e64 v6, v6, 0xffffff82, vcc_lo
	v_add3_u32 v23, v28, v6, v21
	v_and_b32_e32 v6, 0xfffff, v22
	s_delay_alu instid0(VALU_DEP_2) | instskip(NEXT) | instid1(VALU_DEP_2)
	v_dual_mov_b32 v21, v55 :: v_dual_add_nc_u32 v22, 6, v23
	v_add_nc_u32_e32 v20, v6, v20
                                        ; implicit-def: $vgpr6
	s_delay_alu instid0(VALU_DEP_2)
	v_cmpx_ne_u32_e32 0, v22
	s_xor_b32 s11, exec_lo, s11
; %bb.4067:                             ;   in Loop: Header=BB6_3629 Depth=2
	s_delay_alu instid0(VALU_DEP_2) | instskip(SKIP_1) | instid1(VALU_DEP_1)
	v_cmp_lt_u64_e32 vcc_lo, 0xffffff, v[20:21]
	v_add_nc_u32_e32 v6, 7, v23
	v_cndmask_b32_e32 v6, v22, v6, vcc_lo
	v_cndmask_b32_e64 v22, 0, 1, vcc_lo
	s_delay_alu instid0(VALU_DEP_1)
	v_lshrrev_b64 v[20:21], v22, v[20:21]
; %bb.4068:                             ;   in Loop: Header=BB6_3629 Depth=2
	s_and_not1_saveexec_b32 s11, s11
; %bb.4069:                             ;   in Loop: Header=BB6_3629 Depth=2
	s_delay_alu instid0(VALU_DEP_1)
	v_bfe_u32 v6, v20, 23, 1
; %bb.4070:                             ;   in Loop: Header=BB6_3629 Depth=2
	s_or_b32 exec_lo, exec_lo, s11
	s_delay_alu instid0(VALU_DEP_2) | instskip(NEXT) | instid1(VALU_DEP_2)
	v_lshrrev_b64 v[20:21], 20, v[20:21]
	v_cmp_gt_i32_e32 vcc_lo, 16, v6
	v_min_i32_e32 v22, 15, v6
	v_cmp_eq_u32_e64 s11, 0, v6
	s_delay_alu instid0(VALU_DEP_2) | instskip(SKIP_1) | instid1(VALU_DEP_2)
	v_dual_cndmask_b32 v21, 0, v21 :: v_dual_lshlrev_b32 v22, 3, v22
	v_cndmask_b32_e32 v20, 7, v20, vcc_lo
	v_and_b32_e32 v22, 0xf8, v22
	s_delay_alu instid0(VALU_DEP_2) | instskip(NEXT) | instid1(VALU_DEP_2)
	v_cmp_eq_u64_e32 vcc_lo, 0, v[20:21]
	v_and_or_b32 v6, v20, 7, v22
	s_and_b32 s11, s11, vcc_lo
	s_delay_alu instid0(VALU_DEP_1) | instid1(SALU_CYCLE_1)
	v_cndmask_b32_e64 v6, v6, 0, s11
	s_delay_alu instid0(VALU_DEP_1)
	v_or_b32_e32 v6, v6, v9
.LBB6_4071:                             ;   in Loop: Header=BB6_3629 Depth=2
	s_or_b32 exec_lo, exec_lo, s43
                                        ; implicit-def: $vgpr9
.LBB6_4072:                             ;   in Loop: Header=BB6_3629 Depth=2
	s_and_not1_saveexec_b32 s11, s42
; %bb.4073:                             ;   in Loop: Header=BB6_3629 Depth=2
	v_or_b32_e32 v6, 0x7e, v9
; %bb.4074:                             ;   in Loop: Header=BB6_3629 Depth=2
	s_or_b32 exec_lo, exec_lo, s11
                                        ; implicit-def: $vgpr9
.LBB6_4075:                             ;   in Loop: Header=BB6_3629 Depth=2
	s_and_not1_saveexec_b32 s11, s12
; %bb.4076:                             ;   in Loop: Header=BB6_3629 Depth=2
	v_or_b32_e32 v6, 0x7f, v9
; %bb.4077:                             ;   in Loop: Header=BB6_3629 Depth=2
	s_or_b32 exec_lo, exec_lo, s11
	v_dual_mov_b32 v9, 0 :: v_dual_lshrrev_b32 v22, 16, v54
	s_mov_b32 s11, exec_lo
	s_delay_alu instid0(VALU_DEP_1) | instskip(NEXT) | instid1(VALU_DEP_1)
	v_and_b32_e32 v20, 0xff, v22
	v_cmpx_ne_u16_e32 0, v20
	s_cbranch_execz .LBB6_4085
; %bb.4078:                             ;   in Loop: Header=BB6_3629 Depth=2
	v_bfrev_b32_e32 v9, 1
	s_mov_b32 s12, exec_lo
	v_cmpx_ne_u16_e32 0x80, v20
	s_cbranch_execz .LBB6_4084
; %bb.4079:                             ;   in Loop: Header=BB6_3629 Depth=2
	v_bfe_u32 v23, v54, 16, 7
	v_mov_b32_e32 v9, 0x7f800001
	s_mov_b32 s42, exec_lo
	s_delay_alu instid0(VALU_DEP_2)
	v_cmpx_ne_u32_e32 0x7f, v23
	s_cbranch_execz .LBB6_4083
; %bb.4080:                             ;   in Loop: Header=BB6_3629 Depth=2
	v_dual_mov_b32 v21, v55 :: v_dual_bitop2_b32 v20, 7, v22 bitop3:0x40
	v_lshrrev_b32_e32 v9, 3, v23
	s_mov_b32 s43, exec_lo
	v_cmpx_gt_u32_e32 8, v23
; %bb.4081:                             ;   in Loop: Header=BB6_3629 Depth=2
	s_delay_alu instid0(VALU_DEP_3) | instskip(NEXT) | instid1(VALU_DEP_1)
	v_clz_i32_u32_e32 v9, v20
	v_min_u32_e32 v9, 32, v9
	s_delay_alu instid0(VALU_DEP_1) | instskip(NEXT) | instid1(VALU_DEP_1)
	v_subrev_nc_u32_e32 v23, 28, v9
	v_lshlrev_b64_e32 v[20:21], v23, v[20:21]
	s_delay_alu instid0(VALU_DEP_1)
	v_dual_sub_nc_u32 v9, 29, v9 :: v_dual_bitop2_b32 v20, 7, v20 bitop3:0x40
; %bb.4082:                             ;   in Loop: Header=BB6_3629 Depth=2
	s_or_b32 exec_lo, exec_lo, s43
	s_delay_alu instid0(VALU_DEP_1) | instskip(NEXT) | instid1(VALU_DEP_2)
	v_dual_lshlrev_b32 v21, 24, v22 :: v_dual_lshlrev_b32 v20, 20, v20
	v_lshl_add_u32 v9, v9, 23, 0x3c000000
	s_delay_alu instid0(VALU_DEP_2) | instskip(NEXT) | instid1(VALU_DEP_1)
	v_and_b32_e32 v21, 0x80000000, v21
	v_or3_b32 v9, v20, v21, v9
.LBB6_4083:                             ;   in Loop: Header=BB6_3629 Depth=2
	s_or_b32 exec_lo, exec_lo, s42
.LBB6_4084:                             ;   in Loop: Header=BB6_3629 Depth=2
	s_delay_alu instid0(SALU_CYCLE_1)
	s_or_b32 exec_lo, exec_lo, s12
.LBB6_4085:                             ;   in Loop: Header=BB6_3629 Depth=2
	s_delay_alu instid0(SALU_CYCLE_1) | instskip(SKIP_3) | instid1(VALU_DEP_1)
	s_or_b32 exec_lo, exec_lo, s11
	v_lshrrev_b32_e32 v20, 16, v10
	s_mov_b32 s12, 0
	s_mov_b32 s11, exec_lo
	v_and_b32_e32 v22, 0xff, v20
	s_delay_alu instid0(VALU_DEP_1)
	v_cmpx_lt_i16_e32 0x7f, v22
	s_xor_b32 s11, exec_lo, s11
	s_cbranch_execnz .LBB6_4088
; %bb.4086:                             ;   in Loop: Header=BB6_3629 Depth=2
	s_or_saveexec_b32 s11, s11
	v_bfrev_b32_e32 v21, 1
	s_xor_b32 exec_lo, exec_lo, s11
	s_cbranch_execnz .LBB6_4091
.LBB6_4087:                             ;   in Loop: Header=BB6_3629 Depth=2
	s_or_b32 exec_lo, exec_lo, s11
	s_and_saveexec_b32 s11, s12
	s_cbranch_execnz .LBB6_4092
	s_branch .LBB6_4095
.LBB6_4088:                             ;   in Loop: Header=BB6_3629 Depth=2
	s_mov_b32 s12, -1
	s_mov_b32 s42, exec_lo
	v_cmpx_eq_u16_e32 0x80, v22
; %bb.4089:                             ;   in Loop: Header=BB6_3629 Depth=2
	s_xor_b32 s12, exec_lo, -1
; %bb.4090:                             ;   in Loop: Header=BB6_3629 Depth=2
	s_or_b32 exec_lo, exec_lo, s42
	s_delay_alu instid0(SALU_CYCLE_1)
	s_and_b32 s12, s12, exec_lo
                                        ; implicit-def: $vgpr22
	s_or_saveexec_b32 s11, s11
	v_bfrev_b32_e32 v21, 1
	s_xor_b32 exec_lo, exec_lo, s11
	s_cbranch_execz .LBB6_4087
.LBB6_4091:                             ;   in Loop: Header=BB6_3629 Depth=2
	v_cmp_ne_u16_e32 vcc_lo, 0, v22
	v_mov_b32_e32 v21, 0
	s_and_not1_b32 s12, s12, exec_lo
	s_and_b32 s42, vcc_lo, exec_lo
	s_delay_alu instid0(SALU_CYCLE_1)
	s_or_b32 s12, s12, s42
	s_or_b32 exec_lo, exec_lo, s11
	s_and_saveexec_b32 s11, s12
	s_cbranch_execz .LBB6_4095
.LBB6_4092:                             ;   in Loop: Header=BB6_3629 Depth=2
	v_and_b32_e32 v22, 0x7f, v20
	v_mov_b32_e32 v21, 0x7f800001
	s_mov_b32 s12, exec_lo
	s_delay_alu instid0(VALU_DEP_2)
	v_cmpx_ne_u32_e32 0x7f, v22
	s_cbranch_execz .LBB6_4094
; %bb.4093:                             ;   in Loop: Header=BB6_3629 Depth=2
	v_and_b32_e32 v21, 7, v20
	v_cmp_gt_u32_e32 vcc_lo, 8, v22
	s_delay_alu instid0(VALU_DEP_2) | instskip(NEXT) | instid1(VALU_DEP_1)
	v_clz_i32_u32_e32 v23, v21
	v_min_u32_e32 v23, 32, v23
	s_delay_alu instid0(VALU_DEP_1) | instskip(NEXT) | instid1(VALU_DEP_1)
	v_subrev_nc_u32_e32 v28, 28, v23
	v_lshlrev_b64_e32 v[36:37], v28, v[20:21]
	v_dual_lshrrev_b32 v28, 3, v22 :: v_dual_sub_nc_u32 v23, 29, v23
	s_delay_alu instid0(VALU_DEP_2) | instskip(NEXT) | instid1(VALU_DEP_2)
	v_and_b32_e32 v22, 7, v36
	v_dual_cndmask_b32 v23, v28, v23 :: v_dual_lshlrev_b32 v20, 24, v20
	s_delay_alu instid0(VALU_DEP_2) | instskip(NEXT) | instid1(VALU_DEP_2)
	v_cndmask_b32_e32 v21, v21, v22, vcc_lo
	v_and_b32_e32 v20, 0x80000000, v20
	s_delay_alu instid0(VALU_DEP_3) | instskip(NEXT) | instid1(VALU_DEP_3)
	v_lshl_add_u32 v22, v23, 23, 0x3c000000
	v_lshlrev_b32_e32 v21, 20, v21
	s_delay_alu instid0(VALU_DEP_1)
	v_or3_b32 v21, v21, v20, v22
.LBB6_4094:                             ;   in Loop: Header=BB6_3629 Depth=2
	s_or_b32 exec_lo, exec_lo, s12
.LBB6_4095:                             ;   in Loop: Header=BB6_3629 Depth=2
	s_delay_alu instid0(SALU_CYCLE_1) | instskip(NEXT) | instid1(VALU_DEP_1)
	s_or_b32 exec_lo, exec_lo, s11
	v_dual_add_f32 v20, v9, v21 :: v_dual_mov_b32 v23, v55
                                        ; implicit-def: $vgpr9
	s_mov_b32 s11, exec_lo
	s_delay_alu instid0(VALU_DEP_1) | instskip(SKIP_1) | instid1(VALU_DEP_2)
	v_and_b32_e32 v22, 0x7f800000, v20
	v_lshrrev_b32_e32 v21, 24, v20
	v_cmpx_ne_u64_e32 0x7f800000, v[22:23]
	s_xor_b32 s12, exec_lo, s11
	s_cbranch_execz .LBB6_4109
; %bb.4096:                             ;   in Loop: Header=BB6_3629 Depth=2
	v_and_b32_e32 v22, 0x7fffffff, v20
	v_mov_b32_e32 v23, v55
	v_and_b32_e32 v28, 0x80, v21
                                        ; implicit-def: $vgpr9
	s_mov_b32 s11, exec_lo
	s_delay_alu instid0(VALU_DEP_2)
	v_cmpx_gt_u64_e32 0x43e00001, v[22:23]
	s_xor_b32 s42, exec_lo, s11
	s_cbranch_execz .LBB6_4106
; %bb.4097:                             ;   in Loop: Header=BB6_3629 Depth=2
	v_mov_b32_e32 v9, 0
	s_mov_b32 s43, exec_lo
	v_cmpx_ne_u32_e32 0, v20
	s_cbranch_execz .LBB6_4105
; %bb.4098:                             ;   in Loop: Header=BB6_3629 Depth=2
	v_bfe_u32 v9, v20, 23, 8
	v_and_b32_e32 v22, 0x7fffff, v20
	s_mov_b32 s44, exec_lo
	s_delay_alu instid0(VALU_DEP_2) | instskip(NEXT) | instid1(VALU_DEP_2)
	v_cmp_gt_u32_e32 vcc_lo, 0x7a, v9
	v_or_b32_e32 v23, 0x800000, v22
	v_sub_nc_u32_e32 v21, 0x79, v9
	s_delay_alu instid0(VALU_DEP_1) | instskip(SKIP_1) | instid1(VALU_DEP_2)
	v_cndmask_b32_e32 v21, 0, v21, vcc_lo
	v_cmp_eq_u32_e32 vcc_lo, 0, v9
	v_cndmask_b32_e64 v36, v21, 0x78, vcc_lo
	v_cndmask_b32_e32 v22, v23, v22, vcc_lo
	s_delay_alu instid0(VALU_DEP_2) | instskip(SKIP_1) | instid1(VALU_DEP_2)
	v_dual_mov_b32 v23, v55 :: v_dual_add_nc_u32 v37, 19, v36
	v_add_nc_u32_e32 v20, 20, v36
	v_lshlrev_b64_e64 v[38:39], v37, 1
	s_delay_alu instid0(VALU_DEP_2) | instskip(NEXT) | instid1(VALU_DEP_1)
	v_lshlrev_b64_e64 v[20:21], v20, -1
	v_bfi_b32 v51, v21, 0, 0
	s_delay_alu instid0(VALU_DEP_2) | instskip(SKIP_1) | instid1(VALU_DEP_1)
	v_bfi_b32 v50, v20, 0, v22
	v_lshrrev_b64 v[20:21], v36, v[22:23]
	v_mov_b64_e32 v[22:23], v[20:21]
	s_delay_alu instid0(VALU_DEP_3)
	v_cmpx_eq_u64_e64 v[50:51], v[38:39]
; %bb.4099:                             ;   in Loop: Header=BB6_3629 Depth=2
	v_bfe_u32 v22, v20, 20, 1
	v_mov_b32_e32 v23, v55
	s_delay_alu instid0(VALU_DEP_1) | instskip(NEXT) | instid1(VALU_DEP_1)
	v_add_nc_u64_e32 v[22:23], v[20:21], v[22:23]
	v_add_nc_u64_e32 v[22:23], -1, v[22:23]
; %bb.4100:                             ;   in Loop: Header=BB6_3629 Depth=2
	s_or_b32 exec_lo, exec_lo, s44
	v_add_nc_u32_e32 v9, 0xffffff81, v9
	v_lshrrev_b32_e32 v21, 23, v20
	s_mov_b32 s11, exec_lo
	s_delay_alu instid0(VALU_DEP_2) | instskip(NEXT) | instid1(VALU_DEP_1)
	v_cndmask_b32_e64 v9, v9, 0xffffff82, vcc_lo
	v_add3_u32 v23, v36, v9, v21
	v_and_b32_e32 v9, 0xfffff, v22
	s_delay_alu instid0(VALU_DEP_2) | instskip(NEXT) | instid1(VALU_DEP_2)
	v_dual_mov_b32 v21, v55 :: v_dual_add_nc_u32 v22, 6, v23
	v_add_nc_u32_e32 v20, v9, v20
                                        ; implicit-def: $vgpr9
	s_delay_alu instid0(VALU_DEP_2)
	v_cmpx_ne_u32_e32 0, v22
	s_xor_b32 s11, exec_lo, s11
; %bb.4101:                             ;   in Loop: Header=BB6_3629 Depth=2
	s_delay_alu instid0(VALU_DEP_2) | instskip(SKIP_1) | instid1(VALU_DEP_1)
	v_cmp_lt_u64_e32 vcc_lo, 0xffffff, v[20:21]
	v_add_nc_u32_e32 v9, 7, v23
	v_cndmask_b32_e32 v9, v22, v9, vcc_lo
	v_cndmask_b32_e64 v22, 0, 1, vcc_lo
	s_delay_alu instid0(VALU_DEP_1)
	v_lshrrev_b64 v[20:21], v22, v[20:21]
; %bb.4102:                             ;   in Loop: Header=BB6_3629 Depth=2
	s_and_not1_saveexec_b32 s11, s11
; %bb.4103:                             ;   in Loop: Header=BB6_3629 Depth=2
	s_delay_alu instid0(VALU_DEP_1)
	v_bfe_u32 v9, v20, 23, 1
; %bb.4104:                             ;   in Loop: Header=BB6_3629 Depth=2
	s_or_b32 exec_lo, exec_lo, s11
	s_delay_alu instid0(VALU_DEP_2) | instskip(NEXT) | instid1(VALU_DEP_2)
	v_lshrrev_b64 v[20:21], 20, v[20:21]
	v_cmp_gt_i32_e32 vcc_lo, 16, v9
	v_min_i32_e32 v22, 15, v9
	v_cmp_eq_u32_e64 s11, 0, v9
	s_delay_alu instid0(VALU_DEP_2) | instskip(SKIP_1) | instid1(VALU_DEP_2)
	v_dual_cndmask_b32 v20, 7, v20, vcc_lo :: v_dual_lshlrev_b32 v22, 3, v22
	v_cndmask_b32_e32 v21, 0, v21, vcc_lo
	v_and_b32_e32 v22, 0xf8, v22
	s_delay_alu instid0(VALU_DEP_2) | instskip(NEXT) | instid1(VALU_DEP_2)
	v_cmp_eq_u64_e32 vcc_lo, 0, v[20:21]
	v_and_or_b32 v9, v20, 7, v22
	s_and_b32 s11, s11, vcc_lo
	s_delay_alu instid0(VALU_DEP_1) | instid1(SALU_CYCLE_1)
	v_cndmask_b32_e64 v9, v9, 0, s11
	s_delay_alu instid0(VALU_DEP_1)
	v_or_b32_e32 v9, v9, v28
.LBB6_4105:                             ;   in Loop: Header=BB6_3629 Depth=2
	s_or_b32 exec_lo, exec_lo, s43
                                        ; implicit-def: $vgpr28
.LBB6_4106:                             ;   in Loop: Header=BB6_3629 Depth=2
	s_and_not1_saveexec_b32 s11, s42
; %bb.4107:                             ;   in Loop: Header=BB6_3629 Depth=2
	v_or_b32_e32 v9, 0x7e, v28
; %bb.4108:                             ;   in Loop: Header=BB6_3629 Depth=2
	s_or_b32 exec_lo, exec_lo, s11
                                        ; implicit-def: $vgpr21
.LBB6_4109:                             ;   in Loop: Header=BB6_3629 Depth=2
	s_and_not1_saveexec_b32 s11, s12
; %bb.4110:                             ;   in Loop: Header=BB6_3629 Depth=2
	v_or_b32_e32 v9, 0x7f, v21
; %bb.4111:                             ;   in Loop: Header=BB6_3629 Depth=2
	s_or_b32 exec_lo, exec_lo, s11
	v_mov_b32_e32 v21, 0
	s_mov_b32 s11, exec_lo
	v_cmpx_lt_u32_e32 0xffffff, v54
	s_cbranch_execz .LBB6_4119
; %bb.4112:                             ;   in Loop: Header=BB6_3629 Depth=2
	v_lshrrev_b32_e32 v22, 24, v54
	v_bfrev_b32_e32 v21, 1
	s_mov_b32 s12, exec_lo
	s_delay_alu instid0(VALU_DEP_2)
	v_cmpx_ne_u32_e32 0x80, v22
	s_cbranch_execz .LBB6_4118
; %bb.4113:                             ;   in Loop: Header=BB6_3629 Depth=2
	v_bfe_u32 v20, v54, 24, 7
	v_mov_b32_e32 v21, 0x7f800001
	s_mov_b32 s42, exec_lo
	s_delay_alu instid0(VALU_DEP_2)
	v_cmpx_ne_u32_e32 0x7f, v20
	s_cbranch_execz .LBB6_4117
; %bb.4114:                             ;   in Loop: Header=BB6_3629 Depth=2
	v_dual_lshrrev_b32 v23, 3, v20 :: v_dual_bitop2_b32 v54, 7, v22 bitop3:0x40
	v_cmp_gt_u32_e32 vcc_lo, 8, v20
	s_delay_alu instid0(VALU_DEP_2)
	v_mov_b64_e32 v[20:21], v[54:55]
	s_and_saveexec_b32 s43, vcc_lo
; %bb.4115:                             ;   in Loop: Header=BB6_3629 Depth=2
	v_clz_i32_u32_e32 v20, v54
	s_delay_alu instid0(VALU_DEP_1) | instskip(NEXT) | instid1(VALU_DEP_1)
	v_min_u32_e32 v23, 32, v20
	v_subrev_nc_u32_e32 v20, 28, v23
	s_delay_alu instid0(VALU_DEP_1) | instskip(NEXT) | instid1(VALU_DEP_1)
	v_lshlrev_b64_e32 v[20:21], v20, v[54:55]
	v_dual_sub_nc_u32 v23, 29, v23 :: v_dual_bitop2_b32 v20, 7, v20 bitop3:0x40
; %bb.4116:                             ;   in Loop: Header=BB6_3629 Depth=2
	s_or_b32 exec_lo, exec_lo, s43
	s_delay_alu instid0(VALU_DEP_1) | instskip(NEXT) | instid1(VALU_DEP_2)
	v_dual_lshlrev_b32 v21, 24, v22 :: v_dual_lshlrev_b32 v20, 20, v20
	v_lshl_add_u32 v22, v23, 23, 0x3c000000
	s_delay_alu instid0(VALU_DEP_2) | instskip(NEXT) | instid1(VALU_DEP_1)
	v_and_b32_e32 v21, 0x80000000, v21
	v_or3_b32 v21, v20, v21, v22
.LBB6_4117:                             ;   in Loop: Header=BB6_3629 Depth=2
	s_or_b32 exec_lo, exec_lo, s42
.LBB6_4118:                             ;   in Loop: Header=BB6_3629 Depth=2
	s_delay_alu instid0(SALU_CYCLE_1)
	s_or_b32 exec_lo, exec_lo, s12
.LBB6_4119:                             ;   in Loop: Header=BB6_3629 Depth=2
	s_delay_alu instid0(SALU_CYCLE_1) | instskip(SKIP_3) | instid1(VALU_DEP_3)
	s_or_b32 exec_lo, exec_lo, s11
	v_lshrrev_b32_e32 v20, 24, v10
	v_bfe_u32 v22, v10, 24, 7
	v_cmp_gt_u32_e64 s12, 0x1000000, v10
	v_cmp_eq_u32_e32 vcc_lo, 0x80, v20
	s_delay_alu instid0(VALU_DEP_3) | instskip(SKIP_2) | instid1(VALU_DEP_1)
	v_cmp_eq_u32_e64 s11, 0x7f, v22
	v_cndmask_b32_e32 v23, 0x7f800001, v45, vcc_lo
	s_or_b32 s11, vcc_lo, s11
	v_cndmask_b32_e64 v23, v23, 0, s12
	s_nor_b32 s12, s12, s11
	s_delay_alu instid0(SALU_CYCLE_1)
	s_and_saveexec_b32 s11, s12
	s_cbranch_execz .LBB6_4121
; %bb.4120:                             ;   in Loop: Header=BB6_3629 Depth=2
	v_and_b32_e32 v23, 7, v20
	v_cmp_gt_u32_e32 vcc_lo, 8, v22
	s_delay_alu instid0(VALU_DEP_2) | instskip(NEXT) | instid1(VALU_DEP_1)
	v_clz_i32_u32_e32 v28, v23
	v_min_u32_e32 v28, 32, v28
	s_delay_alu instid0(VALU_DEP_1) | instskip(NEXT) | instid1(VALU_DEP_1)
	v_subrev_nc_u32_e32 v36, 28, v28
	v_lshlrev_b64_e32 v[36:37], v36, v[20:21]
	s_delay_alu instid0(VALU_DEP_1) | instskip(NEXT) | instid1(VALU_DEP_1)
	v_dual_lshrrev_b32 v37, 3, v22 :: v_dual_bitop2_b32 v22, 7, v36 bitop3:0x40
	v_dual_sub_nc_u32 v28, 29, v28 :: v_dual_cndmask_b32 v22, v23, v22, vcc_lo
	v_lshlrev_b32_e32 v20, 24, v20
	s_delay_alu instid0(VALU_DEP_2) | instskip(NEXT) | instid1(VALU_DEP_2)
	v_dual_cndmask_b32 v28, v37, v28, vcc_lo :: v_dual_lshlrev_b32 v22, 20, v22
	v_and_b32_e32 v20, 0x80000000, v20
	s_delay_alu instid0(VALU_DEP_2) | instskip(NEXT) | instid1(VALU_DEP_1)
	v_lshl_add_u32 v23, v28, 23, 0x3c000000
	v_or3_b32 v23, v22, v20, v23
.LBB6_4121:                             ;   in Loop: Header=BB6_3629 Depth=2
	s_or_b32 exec_lo, exec_lo, s11
	s_delay_alu instid0(VALU_DEP_1) | instskip(SKIP_1) | instid1(VALU_DEP_1)
	v_add_f32_e32 v20, v21, v23
                                        ; implicit-def: $vgpr28
	s_mov_b32 s11, exec_lo
	v_and_b32_e32 v54, 0x7f800000, v20
	v_lshrrev_b32_e32 v21, 24, v20
	s_delay_alu instid0(VALU_DEP_2)
	v_cmpx_ne_u64_e32 0x7f800000, v[54:55]
	s_xor_b32 s12, exec_lo, s11
	s_cbranch_execz .LBB6_4135
; %bb.4122:                             ;   in Loop: Header=BB6_3629 Depth=2
	v_and_b32_e32 v54, 0x7fffffff, v20
	v_and_b32_e32 v36, 0x80, v21
                                        ; implicit-def: $vgpr28
	s_mov_b32 s11, exec_lo
	s_delay_alu instid0(VALU_DEP_2)
	v_cmpx_gt_u64_e32 0x43e00001, v[54:55]
	s_xor_b32 s42, exec_lo, s11
	s_cbranch_execz .LBB6_4132
; %bb.4123:                             ;   in Loop: Header=BB6_3629 Depth=2
	v_mov_b32_e32 v28, 0
	s_mov_b32 s43, exec_lo
	v_cmpx_ne_u32_e32 0, v20
	s_cbranch_execz .LBB6_4131
; %bb.4124:                             ;   in Loop: Header=BB6_3629 Depth=2
	v_bfe_u32 v28, v20, 23, 8
	v_and_b32_e32 v22, 0x7fffff, v20
	s_delay_alu instid0(VALU_DEP_2) | instskip(NEXT) | instid1(VALU_DEP_2)
	v_cmp_gt_u32_e32 vcc_lo, 0x7a, v28
	v_or_b32_e32 v23, 0x800000, v22
	v_sub_nc_u32_e32 v21, 0x79, v28
	s_delay_alu instid0(VALU_DEP_1) | instskip(SKIP_1) | instid1(VALU_DEP_2)
	v_cndmask_b32_e32 v21, 0, v21, vcc_lo
	v_cmp_eq_u32_e32 vcc_lo, 0, v28
	v_cndmask_b32_e64 v37, v21, 0x78, vcc_lo
	s_delay_alu instid0(VALU_DEP_1) | instskip(SKIP_1) | instid1(VALU_DEP_2)
	v_dual_cndmask_b32 v54, v23, v22, vcc_lo :: v_dual_add_nc_u32 v20, 20, v37
	v_add_nc_u32_e32 v38, 19, v37
	v_lshlrev_b64_e64 v[20:21], v20, -1
	s_delay_alu instid0(VALU_DEP_2) | instskip(NEXT) | instid1(VALU_DEP_2)
	v_lshlrev_b64_e64 v[22:23], v38, 1
	v_bfi_b32 v39, v21, 0, 0
	s_delay_alu instid0(VALU_DEP_3) | instskip(SKIP_1) | instid1(VALU_DEP_2)
	v_bfi_b32 v38, v20, 0, v54
	v_lshrrev_b64 v[20:21], v37, v[54:55]
	v_cmp_eq_u64_e64 s11, v[38:39], v[22:23]
	s_delay_alu instid0(VALU_DEP_2)
	v_mov_b64_e32 v[22:23], v[20:21]
	s_and_saveexec_b32 s44, s11
; %bb.4125:                             ;   in Loop: Header=BB6_3629 Depth=2
	v_bfe_u32 v54, v20, 20, 1
	s_delay_alu instid0(VALU_DEP_1) | instskip(NEXT) | instid1(VALU_DEP_1)
	v_add_nc_u64_e32 v[22:23], v[20:21], v[54:55]
	v_add_nc_u64_e32 v[22:23], -1, v[22:23]
; %bb.4126:                             ;   in Loop: Header=BB6_3629 Depth=2
	s_or_b32 exec_lo, exec_lo, s44
	v_add_nc_u32_e32 v21, 0xffffff81, v28
	v_lshrrev_b32_e32 v23, 23, v20
	s_mov_b32 s11, exec_lo
	s_delay_alu instid0(VALU_DEP_2) | instskip(NEXT) | instid1(VALU_DEP_1)
	v_cndmask_b32_e64 v21, v21, 0xffffff82, vcc_lo
	v_add3_u32 v23, v37, v21, v23
	v_and_b32_e32 v21, 0xfffff, v22
                                        ; implicit-def: $vgpr22
	s_delay_alu instid0(VALU_DEP_1) | instskip(NEXT) | instid1(VALU_DEP_1)
	v_dual_add_nc_u32 v28, 6, v23 :: v_dual_add_nc_u32 v54, v21, v20
                                        ; implicit-def: $vgpr20_vgpr21
	v_cmpx_ne_u32_e32 0, v28
	s_xor_b32 s11, exec_lo, s11
; %bb.4127:                             ;   in Loop: Header=BB6_3629 Depth=2
	s_delay_alu instid0(VALU_DEP_2) | instskip(SKIP_1) | instid1(VALU_DEP_1)
	v_cmp_lt_u64_e32 vcc_lo, 0xffffff, v[54:55]
	v_add_nc_u32_e32 v20, 7, v23
	v_cndmask_b32_e32 v22, v28, v20, vcc_lo
	v_cndmask_b32_e64 v20, 0, 1, vcc_lo
	s_delay_alu instid0(VALU_DEP_1)
	v_lshrrev_b64 v[20:21], v20, v[54:55]
; %bb.4128:                             ;   in Loop: Header=BB6_3629 Depth=2
	s_and_not1_saveexec_b32 s11, s11
; %bb.4129:                             ;   in Loop: Header=BB6_3629 Depth=2
	v_mov_b64_e32 v[20:21], v[54:55]
	v_bfe_u32 v22, v54, 23, 1
; %bb.4130:                             ;   in Loop: Header=BB6_3629 Depth=2
	s_or_b32 exec_lo, exec_lo, s11
	s_delay_alu instid0(VALU_DEP_2) | instskip(NEXT) | instid1(VALU_DEP_2)
	v_lshrrev_b64 v[20:21], 20, v[20:21]
	v_cmp_gt_i32_e32 vcc_lo, 16, v22
	v_min_i32_e32 v23, 15, v22
	v_cmp_eq_u32_e64 s11, 0, v22
	s_delay_alu instid0(VALU_DEP_2) | instskip(SKIP_1) | instid1(VALU_DEP_2)
	v_dual_cndmask_b32 v21, 0, v21, vcc_lo :: v_dual_lshlrev_b32 v23, 3, v23
	v_cndmask_b32_e32 v20, 7, v20, vcc_lo
	v_and_b32_e32 v23, 0xf8, v23
	s_delay_alu instid0(VALU_DEP_2) | instskip(NEXT) | instid1(VALU_DEP_2)
	v_cmp_eq_u64_e32 vcc_lo, 0, v[20:21]
	v_and_or_b32 v20, v20, 7, v23
	s_and_b32 s11, s11, vcc_lo
	s_delay_alu instid0(VALU_DEP_1) | instid1(SALU_CYCLE_1)
	v_cndmask_b32_e64 v20, v20, 0, s11
	s_delay_alu instid0(VALU_DEP_1)
	v_or_b32_e32 v28, v20, v36
.LBB6_4131:                             ;   in Loop: Header=BB6_3629 Depth=2
	s_or_b32 exec_lo, exec_lo, s43
                                        ; implicit-def: $vgpr36
.LBB6_4132:                             ;   in Loop: Header=BB6_3629 Depth=2
	s_and_not1_saveexec_b32 s11, s42
; %bb.4133:                             ;   in Loop: Header=BB6_3629 Depth=2
	v_or_b32_e32 v28, 0x7e, v36
; %bb.4134:                             ;   in Loop: Header=BB6_3629 Depth=2
	s_or_b32 exec_lo, exec_lo, s11
                                        ; implicit-def: $vgpr21
.LBB6_4135:                             ;   in Loop: Header=BB6_3629 Depth=2
	s_and_not1_saveexec_b32 s11, s12
; %bb.4136:                             ;   in Loop: Header=BB6_3629 Depth=2
	v_or_b32_e32 v28, 0x7f, v21
; %bb.4137:                             ;   in Loop: Header=BB6_3629 Depth=2
	s_or_b32 exec_lo, exec_lo, s11
	v_lshl_or_b32 v36, v25, 8, v24
	v_dual_lshlrev_b32 v20, 16, v34 :: v_dual_lshlrev_b32 v21, 24, v35
	v_mov_b32_e32 v22, 0
	s_mov_b32 s11, exec_lo
	s_delay_alu instid0(VALU_DEP_2)
	v_or3_b32 v54, v20, v21, v36
	v_cmpx_ne_u32_e32 0, v24
	s_cbranch_execz .LBB6_4143
; %bb.4138:                             ;   in Loop: Header=BB6_3629 Depth=2
	v_bfrev_b32_e32 v22, 1
	s_mov_b32 s12, exec_lo
	v_cmpx_ne_u32_e32 0x80, v24
	s_cbranch_execz .LBB6_4142
; %bb.4139:                             ;   in Loop: Header=BB6_3629 Depth=2
	v_and_b32_e32 v20, 0x7f, v24
	v_mov_b32_e32 v22, 0x7f800001
	s_mov_b32 s42, exec_lo
	s_delay_alu instid0(VALU_DEP_2)
	v_cmpx_ne_u32_e32 0x7f, v20
	s_cbranch_execz .LBB6_4141
; %bb.4140:                             ;   in Loop: Header=BB6_3629 Depth=2
	v_cmp_gt_u32_e32 vcc_lo, 8, v20
	v_and_b32_e32 v21, 7, v24
	s_delay_alu instid0(VALU_DEP_1) | instskip(NEXT) | instid1(VALU_DEP_1)
	v_clz_i32_u32_e32 v21, v21
	v_min_u32_e32 v21, 32, v21
	v_lshrrev_b32_e32 v22, 3, v20
	s_delay_alu instid0(VALU_DEP_2) | instskip(NEXT) | instid1(VALU_DEP_1)
	v_subrev_nc_u32_e32 v23, 28, v21
	v_dual_cndmask_b32 v20, 0, v23 :: v_dual_sub_nc_u32 v21, 29, v21
	s_delay_alu instid0(VALU_DEP_1) | instskip(NEXT) | instid1(VALU_DEP_2)
	v_cndmask_b32_e32 v22, v22, v21, vcc_lo
	v_lshlrev_b64_e32 v[20:21], v20, v[54:55]
	v_lshlrev_b32_e32 v21, 24, v54
	s_delay_alu instid0(VALU_DEP_3) | instskip(NEXT) | instid1(VALU_DEP_2)
	v_lshl_add_u32 v22, v22, 23, 0x3c000000
	v_and_b32_e32 v21, 0x80000000, v21
	s_delay_alu instid0(VALU_DEP_4) | instskip(NEXT) | instid1(VALU_DEP_1)
	v_lshlrev_b32_e32 v20, 20, v20
	v_and_b32_e32 v20, 0x700000, v20
	s_delay_alu instid0(VALU_DEP_1)
	v_or3_b32 v22, v20, v21, v22
.LBB6_4141:                             ;   in Loop: Header=BB6_3629 Depth=2
	s_or_b32 exec_lo, exec_lo, s42
.LBB6_4142:                             ;   in Loop: Header=BB6_3629 Depth=2
	s_delay_alu instid0(SALU_CYCLE_1)
	s_or_b32 exec_lo, exec_lo, s12
.LBB6_4143:                             ;   in Loop: Header=BB6_3629 Depth=2
	s_delay_alu instid0(SALU_CYCLE_1) | instskip(SKIP_4) | instid1(VALU_DEP_2)
	s_or_b32 exec_lo, exec_lo, s11
	v_and_b32_e32 v21, 0xff, v11
	v_mov_b32_e32 v20, v11
	s_mov_b32 s11, 0
	s_mov_b32 s12, exec_lo
	v_cmpx_lt_i16_e32 0x7f, v21
	s_xor_b32 s12, exec_lo, s12
	s_cbranch_execnz .LBB6_4174
; %bb.4144:                             ;   in Loop: Header=BB6_3629 Depth=2
	s_or_saveexec_b32 s12, s12
	v_bfrev_b32_e32 v23, 1
	s_xor_b32 exec_lo, exec_lo, s12
	s_cbranch_execnz .LBB6_4177
.LBB6_4145:                             ;   in Loop: Header=BB6_3629 Depth=2
	s_or_b32 exec_lo, exec_lo, s12
	v_mov_b32_e32 v21, v55
	s_and_saveexec_b32 s12, s11
	s_cbranch_execz .LBB6_4147
.LBB6_4146:                             ;   in Loop: Header=BB6_3629 Depth=2
	v_and_b32_e32 v34, 0x7f, v11
	v_bfe_u32 v24, v11, 3, 4
	s_delay_alu instid0(VALU_DEP_2) | instskip(SKIP_1) | instid1(VALU_DEP_1)
	v_cmp_gt_u32_e32 vcc_lo, 8, v34
	v_and_b32_e32 v23, 7, v11
	v_clz_i32_u32_e32 v23, v23
	s_delay_alu instid0(VALU_DEP_1) | instskip(NEXT) | instid1(VALU_DEP_1)
	v_min_u32_e32 v23, 32, v23
	v_subrev_nc_u32_e32 v25, 28, v23
	v_sub_nc_u32_e32 v23, 29, v23
	s_delay_alu instid0(VALU_DEP_1) | instskip(SKIP_1) | instid1(VALU_DEP_2)
	v_dual_cndmask_b32 v23, v24, v23 :: v_dual_cndmask_b32 v24, 0, v25
	v_cmp_ne_u32_e32 vcc_lo, 0x7f, v34
	v_lshlrev_b64_e32 v[24:25], v24, v[20:21]
	v_lshlrev_b32_e32 v21, 24, v20
	s_delay_alu instid0(VALU_DEP_1) | instskip(NEXT) | instid1(VALU_DEP_3)
	v_and_b32_e32 v21, 0x80000000, v21
	v_lshlrev_b32_e32 v24, 20, v24
	v_lshl_add_u32 v23, v23, 23, 0x3c000000
	s_delay_alu instid0(VALU_DEP_2) | instskip(NEXT) | instid1(VALU_DEP_1)
	v_and_b32_e32 v24, 0x700000, v24
	v_or3_b32 v21, v24, v21, v23
	s_delay_alu instid0(VALU_DEP_1)
	v_cndmask_b32_e32 v23, 0x7f800001, v21, vcc_lo
.LBB6_4147:                             ;   in Loop: Header=BB6_3629 Depth=2
	s_or_b32 exec_lo, exec_lo, s12
	s_delay_alu instid0(VALU_DEP_1) | instskip(NEXT) | instid1(VALU_DEP_1)
	v_dual_add_f32 v22, v22, v23 :: v_dual_mov_b32 v25, v55
	v_and_b32_e32 v24, 0x7f800000, v22
	v_lshrrev_b32_e32 v21, 24, v22
	s_delay_alu instid0(VALU_DEP_2) | instskip(SKIP_1) | instid1(SALU_CYCLE_1)
	v_cmp_ne_u64_e32 vcc_lo, 0x7f800000, v[24:25]
                                        ; implicit-def: $vgpr24
	s_and_saveexec_b32 s11, vcc_lo
	s_xor_b32 s12, exec_lo, s11
	s_cbranch_execz .LBB6_4161
; %bb.4148:                             ;   in Loop: Header=BB6_3629 Depth=2
	v_and_b32_e32 v24, 0x7fffffff, v22
	v_mov_b32_e32 v25, v55
	v_and_b32_e32 v21, 0x80, v21
	s_delay_alu instid0(VALU_DEP_2) | instskip(SKIP_1) | instid1(SALU_CYCLE_1)
	v_cmp_gt_u64_e32 vcc_lo, 0x43e00001, v[24:25]
                                        ; implicit-def: $vgpr24
	s_and_saveexec_b32 s11, vcc_lo
	s_xor_b32 s42, exec_lo, s11
	s_cbranch_execz .LBB6_4158
; %bb.4149:                             ;   in Loop: Header=BB6_3629 Depth=2
	v_mov_b32_e32 v24, 0
	s_mov_b32 s43, exec_lo
	v_cmpx_ne_u32_e32 0, v22
	s_cbranch_execz .LBB6_4157
; %bb.4150:                             ;   in Loop: Header=BB6_3629 Depth=2
	v_bfe_u32 v34, v22, 23, 8
	v_and_b32_e32 v24, 0x7fffff, v22
	s_mov_b32 s44, exec_lo
	s_delay_alu instid0(VALU_DEP_2) | instskip(NEXT) | instid1(VALU_DEP_2)
	v_cmp_gt_u32_e32 vcc_lo, 0x7a, v34
	v_or_b32_e32 v25, 0x800000, v24
	v_sub_nc_u32_e32 v23, 0x79, v34
	s_delay_alu instid0(VALU_DEP_1) | instskip(SKIP_1) | instid1(VALU_DEP_4)
	v_cndmask_b32_e32 v23, 0, v23, vcc_lo
	v_cmp_eq_u32_e32 vcc_lo, 0, v34
	v_dual_cndmask_b32 v24, v25, v24 :: v_dual_mov_b32 v25, v55
	s_delay_alu instid0(VALU_DEP_3) | instskip(NEXT) | instid1(VALU_DEP_1)
	v_cndmask_b32_e64 v35, v23, 0x78, vcc_lo
	v_dual_add_nc_u32 v22, 20, v35 :: v_dual_add_nc_u32 v37, 19, v35
	s_delay_alu instid0(VALU_DEP_1) | instskip(NEXT) | instid1(VALU_DEP_2)
	v_lshlrev_b64_e64 v[22:23], v22, -1
	v_lshlrev_b64_e64 v[38:39], v37, 1
	s_delay_alu instid0(VALU_DEP_2) | instskip(NEXT) | instid1(VALU_DEP_3)
	v_bfi_b32 v51, v23, 0, 0
	v_bfi_b32 v50, v22, 0, v24
	v_lshrrev_b64 v[22:23], v35, v[24:25]
	s_delay_alu instid0(VALU_DEP_1) | instskip(NEXT) | instid1(VALU_DEP_3)
	v_mov_b64_e32 v[24:25], v[22:23]
	v_cmpx_eq_u64_e64 v[50:51], v[38:39]
; %bb.4151:                             ;   in Loop: Header=BB6_3629 Depth=2
	v_bfe_u32 v24, v22, 20, 1
	v_mov_b32_e32 v25, v55
	s_delay_alu instid0(VALU_DEP_1) | instskip(NEXT) | instid1(VALU_DEP_1)
	v_add_nc_u64_e32 v[24:25], v[22:23], v[24:25]
	v_add_nc_u64_e32 v[24:25], -1, v[24:25]
; %bb.4152:                             ;   in Loop: Header=BB6_3629 Depth=2
	s_or_b32 exec_lo, exec_lo, s44
	v_add_nc_u32_e32 v23, 0xffffff81, v34
	v_lshrrev_b32_e32 v25, 23, v22
	s_mov_b32 s11, exec_lo
	s_delay_alu instid0(VALU_DEP_2) | instskip(NEXT) | instid1(VALU_DEP_1)
	v_cndmask_b32_e64 v23, v23, 0xffffff82, vcc_lo
	v_add3_u32 v25, v35, v23, v25
	v_and_b32_e32 v23, 0xfffff, v24
                                        ; implicit-def: $vgpr24
	s_delay_alu instid0(VALU_DEP_1) | instskip(SKIP_1) | instid1(VALU_DEP_2)
	v_dual_add_nc_u32 v34, 6, v25 :: v_dual_add_nc_u32 v22, v23, v22
	v_mov_b32_e32 v23, v55
	v_cmpx_ne_u32_e32 0, v34
	s_xor_b32 s11, exec_lo, s11
; %bb.4153:                             ;   in Loop: Header=BB6_3629 Depth=2
	s_delay_alu instid0(VALU_DEP_2) | instskip(SKIP_2) | instid1(VALU_DEP_2)
	v_cmp_lt_u64_e32 vcc_lo, 0xffffff, v[22:23]
	v_add_nc_u32_e32 v24, 7, v25
	v_cndmask_b32_e64 v25, 0, 1, vcc_lo
	v_cndmask_b32_e32 v24, v34, v24, vcc_lo
	s_delay_alu instid0(VALU_DEP_2)
	v_lshrrev_b64 v[22:23], v25, v[22:23]
; %bb.4154:                             ;   in Loop: Header=BB6_3629 Depth=2
	s_and_not1_saveexec_b32 s11, s11
; %bb.4155:                             ;   in Loop: Header=BB6_3629 Depth=2
	s_delay_alu instid0(VALU_DEP_1)
	v_bfe_u32 v24, v22, 23, 1
; %bb.4156:                             ;   in Loop: Header=BB6_3629 Depth=2
	s_or_b32 exec_lo, exec_lo, s11
	s_delay_alu instid0(VALU_DEP_2) | instskip(NEXT) | instid1(VALU_DEP_2)
	v_lshrrev_b64 v[22:23], 20, v[22:23]
	v_cmp_gt_i32_e32 vcc_lo, 16, v24
	v_min_i32_e32 v25, 15, v24
	v_cmp_eq_u32_e64 s11, 0, v24
	s_delay_alu instid0(VALU_DEP_2) | instskip(SKIP_1) | instid1(VALU_DEP_2)
	v_dual_cndmask_b32 v23, 0, v23, vcc_lo :: v_dual_lshlrev_b32 v25, 3, v25
	v_cndmask_b32_e32 v22, 7, v22, vcc_lo
	v_and_b32_e32 v25, 0xf8, v25
	s_delay_alu instid0(VALU_DEP_2) | instskip(NEXT) | instid1(VALU_DEP_2)
	v_cmp_eq_u64_e32 vcc_lo, 0, v[22:23]
	v_and_or_b32 v22, v22, 7, v25
	s_and_b32 s11, s11, vcc_lo
	s_delay_alu instid0(VALU_DEP_1) | instid1(SALU_CYCLE_1)
	v_cndmask_b32_e64 v22, v22, 0, s11
	s_delay_alu instid0(VALU_DEP_1)
	v_or_b32_e32 v24, v22, v21
.LBB6_4157:                             ;   in Loop: Header=BB6_3629 Depth=2
	s_or_b32 exec_lo, exec_lo, s43
                                        ; implicit-def: $vgpr21
.LBB6_4158:                             ;   in Loop: Header=BB6_3629 Depth=2
	s_and_not1_saveexec_b32 s11, s42
; %bb.4159:                             ;   in Loop: Header=BB6_3629 Depth=2
	v_or_b32_e32 v24, 0x7e, v21
; %bb.4160:                             ;   in Loop: Header=BB6_3629 Depth=2
	s_or_b32 exec_lo, exec_lo, s11
                                        ; implicit-def: $vgpr21
.LBB6_4161:                             ;   in Loop: Header=BB6_3629 Depth=2
	s_and_not1_saveexec_b32 s11, s12
; %bb.4162:                             ;   in Loop: Header=BB6_3629 Depth=2
	v_or_b32_e32 v24, 0x7f, v21
; %bb.4163:                             ;   in Loop: Header=BB6_3629 Depth=2
	s_or_b32 exec_lo, exec_lo, s11
	v_lshrrev_b16 v22, 8, v36
	v_mov_b32_e32 v21, 0
	s_mov_b32 s11, exec_lo
	s_delay_alu instid0(VALU_DEP_2)
	v_cmpx_ne_u16_e32 0, v22
	s_cbranch_execz .LBB6_4171
; %bb.4164:                             ;   in Loop: Header=BB6_3629 Depth=2
	v_bfrev_b32_e32 v21, 1
	s_mov_b32 s12, exec_lo
	v_cmpx_ne_u16_e32 0x80, v22
	s_cbranch_execz .LBB6_4170
; %bb.4165:                             ;   in Loop: Header=BB6_3629 Depth=2
	v_and_b32_e32 v22, 0xffff, v22
	v_mov_b32_e32 v21, 0x7f800001
	s_mov_b32 s42, exec_lo
	s_delay_alu instid0(VALU_DEP_2) | instskip(NEXT) | instid1(VALU_DEP_1)
	v_and_b32_e32 v25, 0x7f, v22
	v_cmpx_ne_u32_e32 0x7f, v25
	s_cbranch_execz .LBB6_4169
; %bb.4166:                             ;   in Loop: Header=BB6_3629 Depth=2
	v_dual_mov_b32 v23, v55 :: v_dual_bitop2_b32 v22, 7, v22 bitop3:0x40
	v_lshrrev_b32_e32 v21, 3, v25
	s_mov_b32 s43, exec_lo
	v_cmpx_gt_u32_e32 8, v25
; %bb.4167:                             ;   in Loop: Header=BB6_3629 Depth=2
	s_delay_alu instid0(VALU_DEP_3) | instskip(NEXT) | instid1(VALU_DEP_1)
	v_clz_i32_u32_e32 v21, v22
	v_min_u32_e32 v21, 32, v21
	s_delay_alu instid0(VALU_DEP_1) | instskip(NEXT) | instid1(VALU_DEP_1)
	v_subrev_nc_u32_e32 v25, 28, v21
	v_lshlrev_b64_e32 v[22:23], v25, v[22:23]
	s_delay_alu instid0(VALU_DEP_1)
	v_dual_sub_nc_u32 v21, 29, v21 :: v_dual_bitop2_b32 v22, 7, v22 bitop3:0x40
; %bb.4168:                             ;   in Loop: Header=BB6_3629 Depth=2
	s_or_b32 exec_lo, exec_lo, s43
	s_delay_alu instid0(VALU_DEP_1) | instskip(NEXT) | instid1(VALU_DEP_2)
	v_dual_lshlrev_b32 v23, 16, v36 :: v_dual_lshlrev_b32 v22, 20, v22
	v_lshl_add_u32 v21, v21, 23, 0x3c000000
	s_delay_alu instid0(VALU_DEP_2) | instskip(NEXT) | instid1(VALU_DEP_1)
	v_and_b32_e32 v23, 0x80000000, v23
	v_or3_b32 v21, v22, v23, v21
.LBB6_4169:                             ;   in Loop: Header=BB6_3629 Depth=2
	s_or_b32 exec_lo, exec_lo, s42
.LBB6_4170:                             ;   in Loop: Header=BB6_3629 Depth=2
	s_delay_alu instid0(SALU_CYCLE_1)
	s_or_b32 exec_lo, exec_lo, s12
.LBB6_4171:                             ;   in Loop: Header=BB6_3629 Depth=2
	s_delay_alu instid0(SALU_CYCLE_1) | instskip(SKIP_3) | instid1(VALU_DEP_1)
	s_or_b32 exec_lo, exec_lo, s11
	v_lshrrev_b16 v22, 8, v20
	s_mov_b32 s12, 0
	s_mov_b32 s11, exec_lo
	v_cmpx_lt_i16_e32 0x7f, v22
	s_xor_b32 s11, exec_lo, s11
	s_cbranch_execnz .LBB6_4178
; %bb.4172:                             ;   in Loop: Header=BB6_3629 Depth=2
	s_or_saveexec_b32 s11, s11
	v_bfrev_b32_e32 v23, 1
	s_xor_b32 exec_lo, exec_lo, s11
	s_cbranch_execnz .LBB6_4181
.LBB6_4173:                             ;   in Loop: Header=BB6_3629 Depth=2
	s_or_b32 exec_lo, exec_lo, s11
	s_and_saveexec_b32 s11, s12
	s_cbranch_execnz .LBB6_4182
	s_branch .LBB6_4185
.LBB6_4174:                             ;   in Loop: Header=BB6_3629 Depth=2
	s_mov_b32 s11, -1
	s_mov_b32 s42, exec_lo
	v_cmpx_eq_u16_e32 0x80, v21
; %bb.4175:                             ;   in Loop: Header=BB6_3629 Depth=2
	s_xor_b32 s11, exec_lo, -1
; %bb.4176:                             ;   in Loop: Header=BB6_3629 Depth=2
	s_or_b32 exec_lo, exec_lo, s42
	s_delay_alu instid0(SALU_CYCLE_1)
	s_and_b32 s11, s11, exec_lo
                                        ; implicit-def: $vgpr21
	s_or_saveexec_b32 s12, s12
	v_bfrev_b32_e32 v23, 1
	s_xor_b32 exec_lo, exec_lo, s12
	s_cbranch_execz .LBB6_4145
.LBB6_4177:                             ;   in Loop: Header=BB6_3629 Depth=2
	v_cmp_ne_u16_e32 vcc_lo, 0, v21
	v_mov_b32_e32 v23, 0
	s_and_not1_b32 s11, s11, exec_lo
	s_and_b32 s42, vcc_lo, exec_lo
	s_delay_alu instid0(SALU_CYCLE_1)
	s_or_b32 s11, s11, s42
	s_or_b32 exec_lo, exec_lo, s12
	v_mov_b32_e32 v21, v55
	s_and_saveexec_b32 s12, s11
	s_cbranch_execnz .LBB6_4146
	s_branch .LBB6_4147
.LBB6_4178:                             ;   in Loop: Header=BB6_3629 Depth=2
	s_mov_b32 s12, -1
	s_mov_b32 s42, exec_lo
	v_cmpx_eq_u16_e32 0x80, v22
; %bb.4179:                             ;   in Loop: Header=BB6_3629 Depth=2
	s_xor_b32 s12, exec_lo, -1
; %bb.4180:                             ;   in Loop: Header=BB6_3629 Depth=2
	s_or_b32 exec_lo, exec_lo, s42
	s_delay_alu instid0(SALU_CYCLE_1)
	s_and_b32 s12, s12, exec_lo
	s_or_saveexec_b32 s11, s11
	v_bfrev_b32_e32 v23, 1
	s_xor_b32 exec_lo, exec_lo, s11
	s_cbranch_execz .LBB6_4173
.LBB6_4181:                             ;   in Loop: Header=BB6_3629 Depth=2
	v_cmp_ne_u16_e32 vcc_lo, 0, v22
	v_mov_b32_e32 v23, 0
	s_and_not1_b32 s12, s12, exec_lo
	s_and_b32 s42, vcc_lo, exec_lo
	s_delay_alu instid0(SALU_CYCLE_1)
	s_or_b32 s12, s12, s42
	s_or_b32 exec_lo, exec_lo, s11
	s_and_saveexec_b32 s11, s12
	s_cbranch_execz .LBB6_4185
.LBB6_4182:                             ;   in Loop: Header=BB6_3629 Depth=2
	v_and_b32_e32 v20, 0xffff, v22
	v_mov_b32_e32 v23, 0x7f800001
	s_mov_b32 s12, exec_lo
	s_delay_alu instid0(VALU_DEP_2) | instskip(NEXT) | instid1(VALU_DEP_1)
	v_and_b32_e32 v25, 0x7f, v20
	v_cmpx_ne_u32_e32 0x7f, v25
	s_cbranch_execz .LBB6_4184
; %bb.4183:                             ;   in Loop: Header=BB6_3629 Depth=2
	v_and_b32_e32 v23, 7, v20
	v_cmp_gt_u32_e32 vcc_lo, 8, v25
	s_delay_alu instid0(VALU_DEP_2) | instskip(NEXT) | instid1(VALU_DEP_1)
	v_clz_i32_u32_e32 v34, v23
	v_min_u32_e32 v36, 32, v34
	s_delay_alu instid0(VALU_DEP_1) | instskip(NEXT) | instid1(VALU_DEP_1)
	v_subrev_nc_u32_e32 v34, 28, v36
	v_lshlrev_b64_e32 v[34:35], v34, v[20:21]
	v_dual_lshrrev_b32 v20, 3, v25 :: v_dual_sub_nc_u32 v35, 29, v36
	s_delay_alu instid0(VALU_DEP_2) | instskip(NEXT) | instid1(VALU_DEP_2)
	v_and_b32_e32 v25, 7, v34
	v_dual_lshlrev_b32 v22, 24, v22 :: v_dual_cndmask_b32 v20, v20, v35, vcc_lo
	s_delay_alu instid0(VALU_DEP_2) | instskip(NEXT) | instid1(VALU_DEP_2)
	v_cndmask_b32_e32 v23, v23, v25, vcc_lo
	v_and_b32_e32 v22, 0x80000000, v22
	s_delay_alu instid0(VALU_DEP_3) | instskip(NEXT) | instid1(VALU_DEP_3)
	v_lshl_add_u32 v20, v20, 23, 0x3c000000
	v_lshlrev_b32_e32 v23, 20, v23
	s_delay_alu instid0(VALU_DEP_1)
	v_or3_b32 v23, v23, v22, v20
.LBB6_4184:                             ;   in Loop: Header=BB6_3629 Depth=2
	s_or_b32 exec_lo, exec_lo, s12
.LBB6_4185:                             ;   in Loop: Header=BB6_3629 Depth=2
	s_delay_alu instid0(SALU_CYCLE_1) | instskip(NEXT) | instid1(VALU_DEP_1)
	s_or_b32 exec_lo, exec_lo, s11
	v_dual_add_f32 v20, v21, v23 :: v_dual_mov_b32 v23, v55
                                        ; implicit-def: $vgpr25
	s_mov_b32 s11, exec_lo
	s_delay_alu instid0(VALU_DEP_1) | instskip(SKIP_1) | instid1(VALU_DEP_2)
	v_and_b32_e32 v22, 0x7f800000, v20
	v_lshrrev_b32_e32 v21, 24, v20
	v_cmpx_ne_u64_e32 0x7f800000, v[22:23]
	s_xor_b32 s12, exec_lo, s11
	s_cbranch_execz .LBB6_4199
; %bb.4186:                             ;   in Loop: Header=BB6_3629 Depth=2
	v_and_b32_e32 v22, 0x7fffffff, v20
	v_mov_b32_e32 v23, v55
	v_and_b32_e32 v34, 0x80, v21
                                        ; implicit-def: $vgpr25
	s_mov_b32 s11, exec_lo
	s_delay_alu instid0(VALU_DEP_2)
	v_cmpx_gt_u64_e32 0x43e00001, v[22:23]
	s_xor_b32 s42, exec_lo, s11
	s_cbranch_execz .LBB6_4196
; %bb.4187:                             ;   in Loop: Header=BB6_3629 Depth=2
	v_mov_b32_e32 v25, 0
	s_mov_b32 s43, exec_lo
	v_cmpx_ne_u32_e32 0, v20
	s_cbranch_execz .LBB6_4195
; %bb.4188:                             ;   in Loop: Header=BB6_3629 Depth=2
	v_bfe_u32 v25, v20, 23, 8
	v_and_b32_e32 v22, 0x7fffff, v20
	s_mov_b32 s44, exec_lo
	s_delay_alu instid0(VALU_DEP_2) | instskip(NEXT) | instid1(VALU_DEP_2)
	v_cmp_gt_u32_e32 vcc_lo, 0x7a, v25
	v_or_b32_e32 v23, 0x800000, v22
	v_sub_nc_u32_e32 v21, 0x79, v25
	s_delay_alu instid0(VALU_DEP_1) | instskip(SKIP_1) | instid1(VALU_DEP_2)
	v_cndmask_b32_e32 v21, 0, v21, vcc_lo
	v_cmp_eq_u32_e32 vcc_lo, 0, v25
	v_cndmask_b32_e64 v35, v21, 0x78, vcc_lo
	v_cndmask_b32_e32 v22, v23, v22, vcc_lo
	s_delay_alu instid0(VALU_DEP_2) | instskip(SKIP_1) | instid1(VALU_DEP_2)
	v_dual_mov_b32 v23, v55 :: v_dual_add_nc_u32 v36, 19, v35
	v_add_nc_u32_e32 v20, 20, v35
	v_lshlrev_b64_e64 v[36:37], v36, 1
	s_delay_alu instid0(VALU_DEP_2) | instskip(NEXT) | instid1(VALU_DEP_1)
	v_lshlrev_b64_e64 v[20:21], v20, -1
	v_bfi_b32 v39, v21, 0, 0
	s_delay_alu instid0(VALU_DEP_2) | instskip(SKIP_1) | instid1(VALU_DEP_1)
	v_bfi_b32 v38, v20, 0, v22
	v_lshrrev_b64 v[20:21], v35, v[22:23]
	v_mov_b64_e32 v[22:23], v[20:21]
	s_delay_alu instid0(VALU_DEP_3)
	v_cmpx_eq_u64_e64 v[38:39], v[36:37]
; %bb.4189:                             ;   in Loop: Header=BB6_3629 Depth=2
	v_bfe_u32 v22, v20, 20, 1
	v_mov_b32_e32 v23, v55
	s_delay_alu instid0(VALU_DEP_1) | instskip(NEXT) | instid1(VALU_DEP_1)
	v_add_nc_u64_e32 v[22:23], v[20:21], v[22:23]
	v_add_nc_u64_e32 v[22:23], -1, v[22:23]
; %bb.4190:                             ;   in Loop: Header=BB6_3629 Depth=2
	s_or_b32 exec_lo, exec_lo, s44
	v_add_nc_u32_e32 v21, 0xffffff81, v25
	v_lshrrev_b32_e32 v23, 23, v20
	s_mov_b32 s11, exec_lo
	s_delay_alu instid0(VALU_DEP_2) | instskip(NEXT) | instid1(VALU_DEP_1)
	v_cndmask_b32_e64 v21, v21, 0xffffff82, vcc_lo
	v_add3_u32 v23, v35, v21, v23
	v_and_b32_e32 v21, 0xfffff, v22
                                        ; implicit-def: $vgpr22
	s_delay_alu instid0(VALU_DEP_1) | instskip(SKIP_1) | instid1(VALU_DEP_2)
	v_dual_add_nc_u32 v25, 6, v23 :: v_dual_add_nc_u32 v20, v21, v20
	v_mov_b32_e32 v21, v55
	v_cmpx_ne_u32_e32 0, v25
	s_xor_b32 s11, exec_lo, s11
; %bb.4191:                             ;   in Loop: Header=BB6_3629 Depth=2
	s_delay_alu instid0(VALU_DEP_2) | instskip(SKIP_2) | instid1(VALU_DEP_2)
	v_cmp_lt_u64_e32 vcc_lo, 0xffffff, v[20:21]
	v_add_nc_u32_e32 v22, 7, v23
	v_cndmask_b32_e64 v23, 0, 1, vcc_lo
	v_cndmask_b32_e32 v22, v25, v22, vcc_lo
	s_delay_alu instid0(VALU_DEP_2)
	v_lshrrev_b64 v[20:21], v23, v[20:21]
; %bb.4192:                             ;   in Loop: Header=BB6_3629 Depth=2
	s_and_not1_saveexec_b32 s11, s11
; %bb.4193:                             ;   in Loop: Header=BB6_3629 Depth=2
	s_delay_alu instid0(VALU_DEP_1)
	v_bfe_u32 v22, v20, 23, 1
; %bb.4194:                             ;   in Loop: Header=BB6_3629 Depth=2
	s_or_b32 exec_lo, exec_lo, s11
	s_delay_alu instid0(VALU_DEP_2) | instskip(NEXT) | instid1(VALU_DEP_2)
	v_lshrrev_b64 v[20:21], 20, v[20:21]
	v_cmp_gt_i32_e32 vcc_lo, 16, v22
	v_min_i32_e32 v23, 15, v22
	v_cmp_eq_u32_e64 s11, 0, v22
	s_delay_alu instid0(VALU_DEP_2) | instskip(SKIP_1) | instid1(VALU_DEP_2)
	v_dual_cndmask_b32 v21, 0, v21, vcc_lo :: v_dual_lshlrev_b32 v23, 3, v23
	v_cndmask_b32_e32 v20, 7, v20, vcc_lo
	v_and_b32_e32 v23, 0xf8, v23
	s_delay_alu instid0(VALU_DEP_2) | instskip(NEXT) | instid1(VALU_DEP_2)
	v_cmp_eq_u64_e32 vcc_lo, 0, v[20:21]
	v_and_or_b32 v20, v20, 7, v23
	s_and_b32 s11, s11, vcc_lo
	s_delay_alu instid0(VALU_DEP_1) | instid1(SALU_CYCLE_1)
	v_cndmask_b32_e64 v20, v20, 0, s11
	s_delay_alu instid0(VALU_DEP_1)
	v_or_b32_e32 v25, v20, v34
.LBB6_4195:                             ;   in Loop: Header=BB6_3629 Depth=2
	s_or_b32 exec_lo, exec_lo, s43
                                        ; implicit-def: $vgpr34
.LBB6_4196:                             ;   in Loop: Header=BB6_3629 Depth=2
	s_and_not1_saveexec_b32 s11, s42
; %bb.4197:                             ;   in Loop: Header=BB6_3629 Depth=2
	v_or_b32_e32 v25, 0x7e, v34
; %bb.4198:                             ;   in Loop: Header=BB6_3629 Depth=2
	s_or_b32 exec_lo, exec_lo, s11
                                        ; implicit-def: $vgpr21
.LBB6_4199:                             ;   in Loop: Header=BB6_3629 Depth=2
	s_and_not1_saveexec_b32 s11, s12
; %bb.4200:                             ;   in Loop: Header=BB6_3629 Depth=2
	v_or_b32_e32 v25, 0x7f, v21
; %bb.4201:                             ;   in Loop: Header=BB6_3629 Depth=2
	s_or_b32 exec_lo, exec_lo, s11
	v_dual_mov_b32 v21, 0 :: v_dual_lshrrev_b32 v22, 16, v54
	s_mov_b32 s11, exec_lo
	s_delay_alu instid0(VALU_DEP_1) | instskip(NEXT) | instid1(VALU_DEP_1)
	v_and_b32_e32 v20, 0xff, v22
	v_cmpx_ne_u16_e32 0, v20
	s_cbranch_execz .LBB6_4209
; %bb.4202:                             ;   in Loop: Header=BB6_3629 Depth=2
	v_bfrev_b32_e32 v21, 1
	s_mov_b32 s12, exec_lo
	v_cmpx_ne_u16_e32 0x80, v20
	s_cbranch_execz .LBB6_4208
; %bb.4203:                             ;   in Loop: Header=BB6_3629 Depth=2
	v_bfe_u32 v34, v54, 16, 7
	v_mov_b32_e32 v21, 0x7f800001
	s_mov_b32 s42, exec_lo
	s_delay_alu instid0(VALU_DEP_2)
	v_cmpx_ne_u32_e32 0x7f, v34
	s_cbranch_execz .LBB6_4207
; %bb.4204:                             ;   in Loop: Header=BB6_3629 Depth=2
	v_dual_mov_b32 v21, v55 :: v_dual_bitop2_b32 v20, 7, v22 bitop3:0x40
	v_lshrrev_b32_e32 v23, 3, v34
	s_mov_b32 s43, exec_lo
	v_cmpx_gt_u32_e32 8, v34
; %bb.4205:                             ;   in Loop: Header=BB6_3629 Depth=2
	s_delay_alu instid0(VALU_DEP_3) | instskip(NEXT) | instid1(VALU_DEP_1)
	v_clz_i32_u32_e32 v23, v20
	v_min_u32_e32 v23, 32, v23
	s_delay_alu instid0(VALU_DEP_1) | instskip(NEXT) | instid1(VALU_DEP_1)
	v_subrev_nc_u32_e32 v34, 28, v23
	v_lshlrev_b64_e32 v[20:21], v34, v[20:21]
	s_delay_alu instid0(VALU_DEP_1)
	v_dual_sub_nc_u32 v23, 29, v23 :: v_dual_bitop2_b32 v20, 7, v20 bitop3:0x40
; %bb.4206:                             ;   in Loop: Header=BB6_3629 Depth=2
	s_or_b32 exec_lo, exec_lo, s43
	s_delay_alu instid0(VALU_DEP_1) | instskip(NEXT) | instid1(VALU_DEP_2)
	v_dual_lshlrev_b32 v21, 24, v22 :: v_dual_lshlrev_b32 v20, 20, v20
	v_lshl_add_u32 v22, v23, 23, 0x3c000000
	s_delay_alu instid0(VALU_DEP_2) | instskip(NEXT) | instid1(VALU_DEP_1)
	v_and_b32_e32 v21, 0x80000000, v21
	v_or3_b32 v21, v20, v21, v22
.LBB6_4207:                             ;   in Loop: Header=BB6_3629 Depth=2
	s_or_b32 exec_lo, exec_lo, s42
.LBB6_4208:                             ;   in Loop: Header=BB6_3629 Depth=2
	s_delay_alu instid0(SALU_CYCLE_1)
	s_or_b32 exec_lo, exec_lo, s12
.LBB6_4209:                             ;   in Loop: Header=BB6_3629 Depth=2
	s_delay_alu instid0(SALU_CYCLE_1) | instskip(SKIP_3) | instid1(VALU_DEP_1)
	s_or_b32 exec_lo, exec_lo, s11
	v_lshrrev_b32_e32 v20, 16, v11
	s_mov_b32 s12, 0
	s_mov_b32 s11, exec_lo
	v_and_b32_e32 v23, 0xff, v20
	s_delay_alu instid0(VALU_DEP_1)
	v_cmpx_lt_i16_e32 0x7f, v23
	s_xor_b32 s11, exec_lo, s11
	s_cbranch_execnz .LBB6_4212
; %bb.4210:                             ;   in Loop: Header=BB6_3629 Depth=2
	s_or_saveexec_b32 s11, s11
	v_bfrev_b32_e32 v22, 1
	s_xor_b32 exec_lo, exec_lo, s11
	s_cbranch_execnz .LBB6_4215
.LBB6_4211:                             ;   in Loop: Header=BB6_3629 Depth=2
	s_or_b32 exec_lo, exec_lo, s11
	s_and_saveexec_b32 s11, s12
	s_cbranch_execnz .LBB6_4216
	s_branch .LBB6_4219
.LBB6_4212:                             ;   in Loop: Header=BB6_3629 Depth=2
	s_mov_b32 s12, -1
	s_mov_b32 s42, exec_lo
	v_cmpx_eq_u16_e32 0x80, v23
; %bb.4213:                             ;   in Loop: Header=BB6_3629 Depth=2
	s_xor_b32 s12, exec_lo, -1
; %bb.4214:                             ;   in Loop: Header=BB6_3629 Depth=2
	s_or_b32 exec_lo, exec_lo, s42
	s_delay_alu instid0(SALU_CYCLE_1)
	s_and_b32 s12, s12, exec_lo
                                        ; implicit-def: $vgpr23
	s_or_saveexec_b32 s11, s11
	v_bfrev_b32_e32 v22, 1
	s_xor_b32 exec_lo, exec_lo, s11
	s_cbranch_execz .LBB6_4211
.LBB6_4215:                             ;   in Loop: Header=BB6_3629 Depth=2
	v_cmp_ne_u16_e32 vcc_lo, 0, v23
	v_mov_b32_e32 v22, 0
	s_and_not1_b32 s12, s12, exec_lo
	s_and_b32 s42, vcc_lo, exec_lo
	s_delay_alu instid0(SALU_CYCLE_1)
	s_or_b32 s12, s12, s42
	s_or_b32 exec_lo, exec_lo, s11
	s_and_saveexec_b32 s11, s12
	s_cbranch_execz .LBB6_4219
.LBB6_4216:                             ;   in Loop: Header=BB6_3629 Depth=2
	v_and_b32_e32 v23, 0x7f, v20
	v_mov_b32_e32 v22, 0x7f800001
	s_mov_b32 s12, exec_lo
	s_delay_alu instid0(VALU_DEP_2)
	v_cmpx_ne_u32_e32 0x7f, v23
	s_cbranch_execz .LBB6_4218
; %bb.4217:                             ;   in Loop: Header=BB6_3629 Depth=2
	v_and_b32_e32 v22, 7, v20
	v_cmp_gt_u32_e32 vcc_lo, 8, v23
	s_delay_alu instid0(VALU_DEP_2) | instskip(NEXT) | instid1(VALU_DEP_1)
	v_clz_i32_u32_e32 v34, v22
	v_min_u32_e32 v36, 32, v34
	s_delay_alu instid0(VALU_DEP_1) | instskip(NEXT) | instid1(VALU_DEP_1)
	v_subrev_nc_u32_e32 v34, 28, v36
	v_lshlrev_b64_e32 v[34:35], v34, v[20:21]
	v_dual_lshrrev_b32 v35, 3, v23 :: v_dual_sub_nc_u32 v36, 29, v36
	s_delay_alu instid0(VALU_DEP_2) | instskip(NEXT) | instid1(VALU_DEP_1)
	v_dual_lshlrev_b32 v20, 24, v20 :: v_dual_bitop2_b32 v23, 7, v34 bitop3:0x40
	v_dual_cndmask_b32 v22, v22, v23, vcc_lo :: v_dual_cndmask_b32 v34, v35, v36, vcc_lo
	s_delay_alu instid0(VALU_DEP_2) | instskip(NEXT) | instid1(VALU_DEP_2)
	v_and_b32_e32 v20, 0x80000000, v20
	v_lshlrev_b32_e32 v22, 20, v22
	s_delay_alu instid0(VALU_DEP_3) | instskip(NEXT) | instid1(VALU_DEP_1)
	v_lshl_add_u32 v23, v34, 23, 0x3c000000
	v_or3_b32 v22, v22, v20, v23
.LBB6_4218:                             ;   in Loop: Header=BB6_3629 Depth=2
	s_or_b32 exec_lo, exec_lo, s12
.LBB6_4219:                             ;   in Loop: Header=BB6_3629 Depth=2
	s_delay_alu instid0(SALU_CYCLE_1) | instskip(NEXT) | instid1(VALU_DEP_1)
	s_or_b32 exec_lo, exec_lo, s11
	v_dual_add_f32 v20, v21, v22 :: v_dual_mov_b32 v23, v55
                                        ; implicit-def: $vgpr34
	s_mov_b32 s11, exec_lo
	s_delay_alu instid0(VALU_DEP_1) | instskip(SKIP_1) | instid1(VALU_DEP_2)
	v_and_b32_e32 v22, 0x7f800000, v20
	v_lshrrev_b32_e32 v21, 24, v20
	v_cmpx_ne_u64_e32 0x7f800000, v[22:23]
	s_xor_b32 s12, exec_lo, s11
	s_cbranch_execz .LBB6_4233
; %bb.4220:                             ;   in Loop: Header=BB6_3629 Depth=2
	v_and_b32_e32 v22, 0x7fffffff, v20
	v_mov_b32_e32 v23, v55
	v_and_b32_e32 v35, 0x80, v21
                                        ; implicit-def: $vgpr34
	s_mov_b32 s11, exec_lo
	s_delay_alu instid0(VALU_DEP_2)
	v_cmpx_gt_u64_e32 0x43e00001, v[22:23]
	s_xor_b32 s42, exec_lo, s11
	s_cbranch_execz .LBB6_4230
; %bb.4221:                             ;   in Loop: Header=BB6_3629 Depth=2
	v_mov_b32_e32 v34, 0
	s_mov_b32 s43, exec_lo
	v_cmpx_ne_u32_e32 0, v20
	s_cbranch_execz .LBB6_4229
; %bb.4222:                             ;   in Loop: Header=BB6_3629 Depth=2
	v_bfe_u32 v34, v20, 23, 8
	v_and_b32_e32 v22, 0x7fffff, v20
	s_mov_b32 s44, exec_lo
	s_delay_alu instid0(VALU_DEP_2) | instskip(SKIP_1) | instid1(VALU_DEP_3)
	v_sub_nc_u32_e32 v21, 0x79, v34
	v_cmp_gt_u32_e32 vcc_lo, 0x7a, v34
	v_or_b32_e32 v23, 0x800000, v22
	s_delay_alu instid0(VALU_DEP_3) | instskip(SKIP_1) | instid1(VALU_DEP_2)
	v_cndmask_b32_e32 v21, 0, v21, vcc_lo
	v_cmp_eq_u32_e32 vcc_lo, 0, v34
	v_cndmask_b32_e64 v36, v21, 0x78, vcc_lo
	s_delay_alu instid0(VALU_DEP_4) | instskip(NEXT) | instid1(VALU_DEP_2)
	v_cndmask_b32_e32 v22, v23, v22, vcc_lo
	v_dual_mov_b32 v23, v55 :: v_dual_add_nc_u32 v20, 20, v36
	v_add_nc_u32_e32 v37, 19, v36
	s_delay_alu instid0(VALU_DEP_2) | instskip(NEXT) | instid1(VALU_DEP_2)
	v_lshlrev_b64_e64 v[20:21], v20, -1
	v_lshlrev_b64_e64 v[38:39], v37, 1
	s_delay_alu instid0(VALU_DEP_2) | instskip(NEXT) | instid1(VALU_DEP_3)
	v_bfi_b32 v51, v21, 0, 0
	v_bfi_b32 v50, v20, 0, v22
	v_lshrrev_b64 v[20:21], v36, v[22:23]
	s_delay_alu instid0(VALU_DEP_1) | instskip(NEXT) | instid1(VALU_DEP_3)
	v_mov_b64_e32 v[22:23], v[20:21]
	v_cmpx_eq_u64_e64 v[50:51], v[38:39]
; %bb.4223:                             ;   in Loop: Header=BB6_3629 Depth=2
	v_bfe_u32 v22, v20, 20, 1
	v_mov_b32_e32 v23, v55
	s_delay_alu instid0(VALU_DEP_1) | instskip(NEXT) | instid1(VALU_DEP_1)
	v_add_nc_u64_e32 v[22:23], v[20:21], v[22:23]
	v_add_nc_u64_e32 v[22:23], -1, v[22:23]
; %bb.4224:                             ;   in Loop: Header=BB6_3629 Depth=2
	s_or_b32 exec_lo, exec_lo, s44
	v_add_nc_u32_e32 v21, 0xffffff81, v34
	v_lshrrev_b32_e32 v23, 23, v20
	s_mov_b32 s11, exec_lo
	s_delay_alu instid0(VALU_DEP_2) | instskip(NEXT) | instid1(VALU_DEP_1)
	v_cndmask_b32_e64 v21, v21, 0xffffff82, vcc_lo
	v_add3_u32 v23, v36, v21, v23
	v_and_b32_e32 v21, 0xfffff, v22
                                        ; implicit-def: $vgpr22
	s_delay_alu instid0(VALU_DEP_1) | instskip(SKIP_1) | instid1(VALU_DEP_2)
	v_dual_add_nc_u32 v34, 6, v23 :: v_dual_add_nc_u32 v20, v21, v20
	v_mov_b32_e32 v21, v55
	v_cmpx_ne_u32_e32 0, v34
	s_xor_b32 s11, exec_lo, s11
; %bb.4225:                             ;   in Loop: Header=BB6_3629 Depth=2
	s_delay_alu instid0(VALU_DEP_2) | instskip(SKIP_2) | instid1(VALU_DEP_2)
	v_cmp_lt_u64_e32 vcc_lo, 0xffffff, v[20:21]
	v_add_nc_u32_e32 v22, 7, v23
	v_cndmask_b32_e64 v23, 0, 1, vcc_lo
	v_cndmask_b32_e32 v22, v34, v22, vcc_lo
	s_delay_alu instid0(VALU_DEP_2)
	v_lshrrev_b64 v[20:21], v23, v[20:21]
; %bb.4226:                             ;   in Loop: Header=BB6_3629 Depth=2
	s_and_not1_saveexec_b32 s11, s11
; %bb.4227:                             ;   in Loop: Header=BB6_3629 Depth=2
	s_delay_alu instid0(VALU_DEP_1)
	v_bfe_u32 v22, v20, 23, 1
; %bb.4228:                             ;   in Loop: Header=BB6_3629 Depth=2
	s_or_b32 exec_lo, exec_lo, s11
	s_delay_alu instid0(VALU_DEP_2) | instskip(NEXT) | instid1(VALU_DEP_2)
	v_lshrrev_b64 v[20:21], 20, v[20:21]
	v_cmp_gt_i32_e32 vcc_lo, 16, v22
	v_min_i32_e32 v23, 15, v22
	v_cmp_eq_u32_e64 s11, 0, v22
	s_delay_alu instid0(VALU_DEP_2) | instskip(SKIP_1) | instid1(VALU_DEP_2)
	v_dual_cndmask_b32 v21, 0, v21, vcc_lo :: v_dual_lshlrev_b32 v23, 3, v23
	v_cndmask_b32_e32 v20, 7, v20, vcc_lo
	v_and_b32_e32 v23, 0xf8, v23
	s_delay_alu instid0(VALU_DEP_2) | instskip(NEXT) | instid1(VALU_DEP_2)
	v_cmp_eq_u64_e32 vcc_lo, 0, v[20:21]
	v_and_or_b32 v20, v20, 7, v23
	s_and_b32 s11, s11, vcc_lo
	s_delay_alu instid0(VALU_DEP_1) | instid1(SALU_CYCLE_1)
	v_cndmask_b32_e64 v20, v20, 0, s11
	s_delay_alu instid0(VALU_DEP_1)
	v_or_b32_e32 v34, v20, v35
.LBB6_4229:                             ;   in Loop: Header=BB6_3629 Depth=2
	s_or_b32 exec_lo, exec_lo, s43
                                        ; implicit-def: $vgpr35
.LBB6_4230:                             ;   in Loop: Header=BB6_3629 Depth=2
	s_and_not1_saveexec_b32 s11, s42
; %bb.4231:                             ;   in Loop: Header=BB6_3629 Depth=2
	v_or_b32_e32 v34, 0x7e, v35
; %bb.4232:                             ;   in Loop: Header=BB6_3629 Depth=2
	s_or_b32 exec_lo, exec_lo, s11
                                        ; implicit-def: $vgpr21
.LBB6_4233:                             ;   in Loop: Header=BB6_3629 Depth=2
	s_and_not1_saveexec_b32 s11, s12
; %bb.4234:                             ;   in Loop: Header=BB6_3629 Depth=2
	v_or_b32_e32 v34, 0x7f, v21
; %bb.4235:                             ;   in Loop: Header=BB6_3629 Depth=2
	s_or_b32 exec_lo, exec_lo, s11
	v_mov_b32_e32 v21, 0
	s_mov_b32 s11, exec_lo
	v_cmpx_lt_u32_e32 0xffffff, v54
	s_cbranch_execz .LBB6_4243
; %bb.4236:                             ;   in Loop: Header=BB6_3629 Depth=2
	v_lshrrev_b32_e32 v22, 24, v54
	v_bfrev_b32_e32 v21, 1
	s_mov_b32 s12, exec_lo
	s_delay_alu instid0(VALU_DEP_2)
	v_cmpx_ne_u32_e32 0x80, v22
	s_cbranch_execz .LBB6_4242
; %bb.4237:                             ;   in Loop: Header=BB6_3629 Depth=2
	v_bfe_u32 v20, v54, 24, 7
	v_mov_b32_e32 v21, 0x7f800001
	s_mov_b32 s42, exec_lo
	s_delay_alu instid0(VALU_DEP_2)
	v_cmpx_ne_u32_e32 0x7f, v20
	s_cbranch_execz .LBB6_4241
; %bb.4238:                             ;   in Loop: Header=BB6_3629 Depth=2
	v_dual_lshrrev_b32 v23, 3, v20 :: v_dual_bitop2_b32 v54, 7, v22 bitop3:0x40
	v_cmp_gt_u32_e32 vcc_lo, 8, v20
	s_delay_alu instid0(VALU_DEP_2)
	v_mov_b64_e32 v[20:21], v[54:55]
	s_and_saveexec_b32 s43, vcc_lo
; %bb.4239:                             ;   in Loop: Header=BB6_3629 Depth=2
	v_clz_i32_u32_e32 v20, v54
	s_delay_alu instid0(VALU_DEP_1) | instskip(NEXT) | instid1(VALU_DEP_1)
	v_min_u32_e32 v23, 32, v20
	v_subrev_nc_u32_e32 v20, 28, v23
	s_delay_alu instid0(VALU_DEP_1) | instskip(NEXT) | instid1(VALU_DEP_1)
	v_lshlrev_b64_e32 v[20:21], v20, v[54:55]
	v_dual_sub_nc_u32 v23, 29, v23 :: v_dual_bitop2_b32 v20, 7, v20 bitop3:0x40
; %bb.4240:                             ;   in Loop: Header=BB6_3629 Depth=2
	s_or_b32 exec_lo, exec_lo, s43
	s_delay_alu instid0(VALU_DEP_1) | instskip(NEXT) | instid1(VALU_DEP_2)
	v_dual_lshlrev_b32 v21, 24, v22 :: v_dual_lshlrev_b32 v20, 20, v20
	v_lshl_add_u32 v22, v23, 23, 0x3c000000
	s_delay_alu instid0(VALU_DEP_2) | instskip(NEXT) | instid1(VALU_DEP_1)
	v_and_b32_e32 v21, 0x80000000, v21
	v_or3_b32 v21, v20, v21, v22
.LBB6_4241:                             ;   in Loop: Header=BB6_3629 Depth=2
	s_or_b32 exec_lo, exec_lo, s42
.LBB6_4242:                             ;   in Loop: Header=BB6_3629 Depth=2
	s_delay_alu instid0(SALU_CYCLE_1)
	s_or_b32 exec_lo, exec_lo, s12
.LBB6_4243:                             ;   in Loop: Header=BB6_3629 Depth=2
	s_delay_alu instid0(SALU_CYCLE_1) | instskip(SKIP_3) | instid1(VALU_DEP_3)
	s_or_b32 exec_lo, exec_lo, s11
	v_lshrrev_b32_e32 v20, 24, v11
	v_bfe_u32 v22, v11, 24, 7
	v_cmp_gt_u64_e64 s12, s[16:17], v[10:11]
	v_cmp_eq_u32_e64 s11, 0x80, v20
	s_delay_alu instid0(VALU_DEP_3) | instskip(NEXT) | instid1(VALU_DEP_2)
	v_cmp_eq_u32_e32 vcc_lo, 0x7f, v22
	v_cndmask_b32_e64 v23, 0x7f800001, v45, s11
	s_or_b32 s11, s11, vcc_lo
	s_delay_alu instid0(VALU_DEP_1) | instskip(SKIP_1) | instid1(SALU_CYCLE_1)
	v_cndmask_b32_e64 v10, v23, 0, s12
	s_nor_b32 s12, s12, s11
	s_and_saveexec_b32 s11, s12
	s_cbranch_execz .LBB6_4245
; %bb.4244:                             ;   in Loop: Header=BB6_3629 Depth=2
	v_and_b32_e32 v23, 7, v20
	v_cmp_gt_u32_e32 vcc_lo, 8, v22
	s_delay_alu instid0(VALU_DEP_2) | instskip(NEXT) | instid1(VALU_DEP_1)
	v_clz_i32_u32_e32 v10, v23
	v_min_u32_e32 v35, 32, v10
	s_delay_alu instid0(VALU_DEP_1) | instskip(NEXT) | instid1(VALU_DEP_1)
	v_subrev_nc_u32_e32 v10, 28, v35
	v_lshlrev_b64_e32 v[10:11], v10, v[20:21]
	v_dual_lshrrev_b32 v11, 3, v22 :: v_dual_sub_nc_u32 v35, 29, v35
	s_delay_alu instid0(VALU_DEP_2) | instskip(NEXT) | instid1(VALU_DEP_2)
	v_dual_lshlrev_b32 v20, 24, v20 :: v_dual_bitop2_b32 v10, 7, v10 bitop3:0x40
	v_cndmask_b32_e32 v11, v11, v35, vcc_lo
	s_delay_alu instid0(VALU_DEP_2) | instskip(NEXT) | instid1(VALU_DEP_3)
	v_cndmask_b32_e32 v10, v23, v10, vcc_lo
	v_and_b32_e32 v20, 0x80000000, v20
	s_delay_alu instid0(VALU_DEP_3) | instskip(NEXT) | instid1(VALU_DEP_3)
	v_lshl_add_u32 v11, v11, 23, 0x3c000000
	v_lshlrev_b32_e32 v10, 20, v10
	s_delay_alu instid0(VALU_DEP_1)
	v_or3_b32 v10, v10, v20, v11
.LBB6_4245:                             ;   in Loop: Header=BB6_3629 Depth=2
	s_or_b32 exec_lo, exec_lo, s11
	s_delay_alu instid0(VALU_DEP_1) | instskip(SKIP_1) | instid1(VALU_DEP_1)
	v_add_f32_e32 v10, v21, v10
                                        ; implicit-def: $vgpr35
	s_mov_b32 s11, exec_lo
	v_and_b32_e32 v54, 0x7f800000, v10
	v_lshrrev_b32_e32 v11, 24, v10
	s_delay_alu instid0(VALU_DEP_2)
	v_cmpx_ne_u64_e32 0x7f800000, v[54:55]
	s_xor_b32 s12, exec_lo, s11
	s_cbranch_execz .LBB6_4259
; %bb.4246:                             ;   in Loop: Header=BB6_3629 Depth=2
	v_and_b32_e32 v54, 0x7fffffff, v10
	v_and_b32_e32 v22, 0x80, v11
                                        ; implicit-def: $vgpr35
	s_mov_b32 s11, exec_lo
	s_delay_alu instid0(VALU_DEP_2)
	v_cmpx_gt_u64_e32 0x43e00001, v[54:55]
	s_xor_b32 s42, exec_lo, s11
	s_cbranch_execz .LBB6_4256
; %bb.4247:                             ;   in Loop: Header=BB6_3629 Depth=2
	v_mov_b32_e32 v35, 0
	s_mov_b32 s43, exec_lo
	v_cmpx_ne_u32_e32 0, v10
	s_cbranch_execz .LBB6_4255
; %bb.4248:                             ;   in Loop: Header=BB6_3629 Depth=2
	v_bfe_u32 v23, v10, 23, 8
	v_and_b32_e32 v20, 0x7fffff, v10
	s_delay_alu instid0(VALU_DEP_2) | instskip(NEXT) | instid1(VALU_DEP_2)
	v_cmp_gt_u32_e32 vcc_lo, 0x7a, v23
	v_or_b32_e32 v21, 0x800000, v20
	v_sub_nc_u32_e32 v11, 0x79, v23
	s_delay_alu instid0(VALU_DEP_1) | instskip(SKIP_1) | instid1(VALU_DEP_2)
	v_cndmask_b32_e32 v11, 0, v11, vcc_lo
	v_cmp_eq_u32_e32 vcc_lo, 0, v23
	v_cndmask_b32_e64 v35, v11, 0x78, vcc_lo
	s_delay_alu instid0(VALU_DEP_1) | instskip(SKIP_1) | instid1(VALU_DEP_2)
	v_dual_cndmask_b32 v54, v21, v20, vcc_lo :: v_dual_add_nc_u32 v10, 20, v35
	v_add_nc_u32_e32 v36, 19, v35
	v_lshlrev_b64_e64 v[10:11], v10, -1
	s_delay_alu instid0(VALU_DEP_2) | instskip(NEXT) | instid1(VALU_DEP_2)
	v_lshlrev_b64_e64 v[20:21], v36, 1
	v_bfi_b32 v37, v11, 0, 0
	s_delay_alu instid0(VALU_DEP_3) | instskip(SKIP_1) | instid1(VALU_DEP_2)
	v_bfi_b32 v36, v10, 0, v54
	v_lshrrev_b64 v[10:11], v35, v[54:55]
	v_cmp_eq_u64_e64 s11, v[36:37], v[20:21]
	s_delay_alu instid0(VALU_DEP_2)
	v_mov_b64_e32 v[20:21], v[10:11]
	s_and_saveexec_b32 s44, s11
; %bb.4249:                             ;   in Loop: Header=BB6_3629 Depth=2
	v_bfe_u32 v54, v10, 20, 1
	s_delay_alu instid0(VALU_DEP_1) | instskip(NEXT) | instid1(VALU_DEP_1)
	v_add_nc_u64_e32 v[20:21], v[10:11], v[54:55]
	v_add_nc_u64_e32 v[20:21], -1, v[20:21]
; %bb.4250:                             ;   in Loop: Header=BB6_3629 Depth=2
	s_or_b32 exec_lo, exec_lo, s44
	v_add_nc_u32_e32 v11, 0xffffff81, v23
	v_lshrrev_b32_e32 v21, 23, v10
	s_mov_b32 s11, exec_lo
	s_delay_alu instid0(VALU_DEP_2) | instskip(NEXT) | instid1(VALU_DEP_1)
	v_cndmask_b32_e64 v11, v11, 0xffffff82, vcc_lo
	v_add3_u32 v21, v35, v11, v21
	v_and_b32_e32 v11, 0xfffff, v20
                                        ; implicit-def: $vgpr20
	s_delay_alu instid0(VALU_DEP_1) | instskip(NEXT) | instid1(VALU_DEP_1)
	v_dual_add_nc_u32 v23, 6, v21 :: v_dual_add_nc_u32 v54, v11, v10
                                        ; implicit-def: $vgpr10_vgpr11
	v_cmpx_ne_u32_e32 0, v23
	s_xor_b32 s11, exec_lo, s11
; %bb.4251:                             ;   in Loop: Header=BB6_3629 Depth=2
	s_delay_alu instid0(VALU_DEP_2) | instskip(SKIP_1) | instid1(VALU_DEP_1)
	v_cmp_lt_u64_e32 vcc_lo, 0xffffff, v[54:55]
	v_add_nc_u32_e32 v10, 7, v21
	v_cndmask_b32_e32 v20, v23, v10, vcc_lo
	v_cndmask_b32_e64 v10, 0, 1, vcc_lo
	s_delay_alu instid0(VALU_DEP_1)
	v_lshrrev_b64 v[10:11], v10, v[54:55]
; %bb.4252:                             ;   in Loop: Header=BB6_3629 Depth=2
	s_and_not1_saveexec_b32 s11, s11
; %bb.4253:                             ;   in Loop: Header=BB6_3629 Depth=2
	v_mov_b64_e32 v[10:11], v[54:55]
	v_bfe_u32 v20, v54, 23, 1
; %bb.4254:                             ;   in Loop: Header=BB6_3629 Depth=2
	s_or_b32 exec_lo, exec_lo, s11
	s_delay_alu instid0(VALU_DEP_2) | instskip(NEXT) | instid1(VALU_DEP_2)
	v_lshrrev_b64 v[10:11], 20, v[10:11]
	v_cmp_gt_i32_e32 vcc_lo, 16, v20
	v_min_i32_e32 v21, 15, v20
	v_cmp_eq_u32_e64 s11, 0, v20
	s_delay_alu instid0(VALU_DEP_2) | instskip(SKIP_1) | instid1(VALU_DEP_2)
	v_dual_cndmask_b32 v11, 0, v11, vcc_lo :: v_dual_lshlrev_b32 v21, 3, v21
	v_cndmask_b32_e32 v10, 7, v10, vcc_lo
	v_and_b32_e32 v21, 0xf8, v21
	s_delay_alu instid0(VALU_DEP_2) | instskip(NEXT) | instid1(VALU_DEP_2)
	v_cmp_eq_u64_e32 vcc_lo, 0, v[10:11]
	v_and_or_b32 v10, v10, 7, v21
	s_and_b32 s11, s11, vcc_lo
	s_delay_alu instid0(VALU_DEP_1) | instid1(SALU_CYCLE_1)
	v_cndmask_b32_e64 v10, v10, 0, s11
	s_delay_alu instid0(VALU_DEP_1)
	v_or_b32_e32 v35, v10, v22
.LBB6_4255:                             ;   in Loop: Header=BB6_3629 Depth=2
	s_or_b32 exec_lo, exec_lo, s43
                                        ; implicit-def: $vgpr22
.LBB6_4256:                             ;   in Loop: Header=BB6_3629 Depth=2
	s_and_not1_saveexec_b32 s11, s42
; %bb.4257:                             ;   in Loop: Header=BB6_3629 Depth=2
	v_or_b32_e32 v35, 0x7e, v22
; %bb.4258:                             ;   in Loop: Header=BB6_3629 Depth=2
	s_or_b32 exec_lo, exec_lo, s11
                                        ; implicit-def: $vgpr11
.LBB6_4259:                             ;   in Loop: Header=BB6_3629 Depth=2
	s_and_not1_saveexec_b32 s11, s12
; %bb.4260:                             ;   in Loop: Header=BB6_3629 Depth=2
	v_or_b32_e32 v35, 0x7f, v11
; %bb.4261:                             ;   in Loop: Header=BB6_3629 Depth=2
	s_or_b32 exec_lo, exec_lo, s11
	v_lshl_or_b32 v22, v27, 8, v8
	v_dual_lshlrev_b32 v10, 16, v30 :: v_dual_lshlrev_b32 v11, 24, v31
	s_mov_b32 s11, exec_lo
	s_delay_alu instid0(VALU_DEP_1)
	v_or3_b32 v54, v10, v11, v22
	v_mov_b32_e32 v10, 0
	v_cmpx_ne_u32_e32 0, v8
	s_cbranch_execz .LBB6_4267
; %bb.4262:                             ;   in Loop: Header=BB6_3629 Depth=2
	v_bfrev_b32_e32 v10, 1
	s_mov_b32 s12, exec_lo
	v_cmpx_ne_u32_e32 0x80, v8
	s_cbranch_execz .LBB6_4266
; %bb.4263:                             ;   in Loop: Header=BB6_3629 Depth=2
	v_and_b32_e32 v11, 0x7f, v8
	v_mov_b32_e32 v10, 0x7f800001
	s_mov_b32 s42, exec_lo
	s_delay_alu instid0(VALU_DEP_2)
	v_cmpx_ne_u32_e32 0x7f, v11
	s_cbranch_execz .LBB6_4265
; %bb.4264:                             ;   in Loop: Header=BB6_3629 Depth=2
	v_dual_lshrrev_b32 v10, 3, v11 :: v_dual_bitop2_b32 v8, 7, v8 bitop3:0x40
	v_cmp_gt_u32_e32 vcc_lo, 8, v11
	s_delay_alu instid0(VALU_DEP_2) | instskip(NEXT) | instid1(VALU_DEP_1)
	v_clz_i32_u32_e32 v8, v8
	v_min_u32_e32 v8, 32, v8
	s_delay_alu instid0(VALU_DEP_1) | instskip(SKIP_1) | instid1(VALU_DEP_1)
	v_subrev_nc_u32_e32 v20, 28, v8
	v_sub_nc_u32_e32 v8, 29, v8
	v_cndmask_b32_e32 v8, v10, v8, vcc_lo
	s_delay_alu instid0(VALU_DEP_3) | instskip(NEXT) | instid1(VALU_DEP_1)
	v_cndmask_b32_e32 v10, 0, v20, vcc_lo
	v_lshlrev_b64_e32 v[10:11], v10, v[54:55]
	v_lshlrev_b32_e32 v11, 24, v54
	s_delay_alu instid0(VALU_DEP_1) | instskip(NEXT) | instid1(VALU_DEP_3)
	v_and_b32_e32 v11, 0x80000000, v11
	v_lshlrev_b32_e32 v10, 20, v10
	v_lshl_add_u32 v8, v8, 23, 0x3c000000
	s_delay_alu instid0(VALU_DEP_2) | instskip(NEXT) | instid1(VALU_DEP_1)
	v_and_b32_e32 v10, 0x700000, v10
	v_or3_b32 v10, v10, v11, v8
.LBB6_4265:                             ;   in Loop: Header=BB6_3629 Depth=2
	s_or_b32 exec_lo, exec_lo, s42
.LBB6_4266:                             ;   in Loop: Header=BB6_3629 Depth=2
	s_delay_alu instid0(SALU_CYCLE_1)
	s_or_b32 exec_lo, exec_lo, s12
.LBB6_4267:                             ;   in Loop: Header=BB6_3629 Depth=2
	s_delay_alu instid0(SALU_CYCLE_1) | instskip(SKIP_3) | instid1(VALU_DEP_1)
	s_or_b32 exec_lo, exec_lo, s11
	v_and_b32_e32 v11, 0xff, v12
	s_mov_b32 s11, 0
	s_mov_b32 s12, exec_lo
	v_cmpx_lt_i16_e32 0x7f, v11
	s_xor_b32 s12, exec_lo, s12
	s_cbranch_execnz .LBB6_4298
; %bb.4268:                             ;   in Loop: Header=BB6_3629 Depth=2
	s_or_saveexec_b32 s12, s12
	v_bfrev_b32_e32 v8, 1
	s_xor_b32 exec_lo, exec_lo, s12
	s_cbranch_execnz .LBB6_4301
.LBB6_4269:                             ;   in Loop: Header=BB6_3629 Depth=2
	s_or_b32 exec_lo, exec_lo, s12
	s_and_saveexec_b32 s12, s11
	s_cbranch_execz .LBB6_4271
.LBB6_4270:                             ;   in Loop: Header=BB6_3629 Depth=2
	v_and_b32_e32 v11, 0x7f, v12
	v_bfe_u32 v20, v12, 3, 4
	s_delay_alu instid0(VALU_DEP_2) | instskip(SKIP_1) | instid1(VALU_DEP_1)
	v_cmp_gt_u32_e32 vcc_lo, 8, v11
	v_and_b32_e32 v8, 7, v12
	v_clz_i32_u32_e32 v8, v8
	s_delay_alu instid0(VALU_DEP_1) | instskip(NEXT) | instid1(VALU_DEP_1)
	v_min_u32_e32 v8, 32, v8
	v_subrev_nc_u32_e32 v21, 28, v8
	v_sub_nc_u32_e32 v8, 29, v8
	s_delay_alu instid0(VALU_DEP_1) | instskip(SKIP_1) | instid1(VALU_DEP_2)
	v_dual_cndmask_b32 v8, v20, v8, vcc_lo :: v_dual_cndmask_b32 v20, 0, v21, vcc_lo
	v_cmp_ne_u32_e32 vcc_lo, 0x7f, v11
	v_lshl_add_u32 v8, v8, 23, 0x3c000000
	s_delay_alu instid0(VALU_DEP_3) | instskip(SKIP_1) | instid1(VALU_DEP_1)
	v_lshlrev_b64_e32 v[20:21], v20, v[12:13]
	v_lshlrev_b32_e32 v21, 24, v12
	v_and_b32_e32 v21, 0x80000000, v21
	s_delay_alu instid0(VALU_DEP_3) | instskip(NEXT) | instid1(VALU_DEP_1)
	v_lshlrev_b32_e32 v20, 20, v20
	v_and_b32_e32 v20, 0x700000, v20
	s_delay_alu instid0(VALU_DEP_1) | instskip(NEXT) | instid1(VALU_DEP_1)
	v_or3_b32 v8, v20, v21, v8
	v_cndmask_b32_e32 v8, 0x7f800001, v8, vcc_lo
.LBB6_4271:                             ;   in Loop: Header=BB6_3629 Depth=2
	s_or_b32 exec_lo, exec_lo, s12
	s_delay_alu instid0(VALU_DEP_1) | instskip(SKIP_1) | instid1(VALU_DEP_1)
	v_dual_add_f32 v10, v10, v8 :: v_dual_mov_b32 v21, v55
                                        ; implicit-def: $vgpr8
	s_mov_b32 s11, exec_lo
	v_and_b32_e32 v20, 0x7f800000, v10
	v_lshrrev_b32_e32 v11, 24, v10
	s_delay_alu instid0(VALU_DEP_2)
	v_cmpx_ne_u64_e32 0x7f800000, v[20:21]
	s_xor_b32 s12, exec_lo, s11
	s_cbranch_execz .LBB6_4285
; %bb.4272:                             ;   in Loop: Header=BB6_3629 Depth=2
	v_and_b32_e32 v20, 0x7fffffff, v10
	v_mov_b32_e32 v21, v55
	v_and_b32_e32 v23, 0x80, v11
                                        ; implicit-def: $vgpr8
	s_mov_b32 s11, exec_lo
	s_delay_alu instid0(VALU_DEP_2)
	v_cmpx_gt_u64_e32 0x43e00001, v[20:21]
	s_xor_b32 s42, exec_lo, s11
	s_cbranch_execz .LBB6_4282
; %bb.4273:                             ;   in Loop: Header=BB6_3629 Depth=2
	v_mov_b32_e32 v8, 0
	s_mov_b32 s43, exec_lo
	v_cmpx_ne_u32_e32 0, v10
	s_cbranch_execz .LBB6_4281
; %bb.4274:                             ;   in Loop: Header=BB6_3629 Depth=2
	v_bfe_u32 v8, v10, 23, 8
	v_and_b32_e32 v20, 0x7fffff, v10
	s_mov_b32 s44, exec_lo
	s_delay_alu instid0(VALU_DEP_2) | instskip(SKIP_1) | instid1(VALU_DEP_3)
	v_sub_nc_u32_e32 v11, 0x79, v8
	v_cmp_gt_u32_e32 vcc_lo, 0x7a, v8
	v_or_b32_e32 v21, 0x800000, v20
	s_delay_alu instid0(VALU_DEP_3) | instskip(SKIP_1) | instid1(VALU_DEP_3)
	v_cndmask_b32_e32 v11, 0, v11, vcc_lo
	v_cmp_eq_u32_e32 vcc_lo, 0, v8
	v_cndmask_b32_e32 v20, v21, v20, vcc_lo
	s_delay_alu instid0(VALU_DEP_3) | instskip(NEXT) | instid1(VALU_DEP_1)
	v_cndmask_b32_e64 v27, v11, 0x78, vcc_lo
	v_dual_mov_b32 v21, v55 :: v_dual_add_nc_u32 v10, 20, v27
	v_add_nc_u32_e32 v30, 19, v27
	s_delay_alu instid0(VALU_DEP_2) | instskip(NEXT) | instid1(VALU_DEP_2)
	v_lshlrev_b64_e64 v[10:11], v10, -1
	v_lshlrev_b64_e64 v[30:31], v30, 1
	s_delay_alu instid0(VALU_DEP_2) | instskip(NEXT) | instid1(VALU_DEP_3)
	v_bfi_b32 v37, v11, 0, 0
	v_bfi_b32 v36, v10, 0, v20
	v_lshrrev_b64 v[10:11], v27, v[20:21]
	s_delay_alu instid0(VALU_DEP_1) | instskip(NEXT) | instid1(VALU_DEP_3)
	v_mov_b64_e32 v[20:21], v[10:11]
	v_cmpx_eq_u64_e64 v[36:37], v[30:31]
; %bb.4275:                             ;   in Loop: Header=BB6_3629 Depth=2
	v_bfe_u32 v20, v10, 20, 1
	v_mov_b32_e32 v21, v55
	s_delay_alu instid0(VALU_DEP_1) | instskip(NEXT) | instid1(VALU_DEP_1)
	v_add_nc_u64_e32 v[20:21], v[10:11], v[20:21]
	v_add_nc_u64_e32 v[20:21], -1, v[20:21]
; %bb.4276:                             ;   in Loop: Header=BB6_3629 Depth=2
	s_or_b32 exec_lo, exec_lo, s44
	v_add_nc_u32_e32 v8, 0xffffff81, v8
	v_lshrrev_b32_e32 v11, 23, v10
	s_mov_b32 s11, exec_lo
	s_delay_alu instid0(VALU_DEP_2) | instskip(NEXT) | instid1(VALU_DEP_1)
	v_cndmask_b32_e64 v8, v8, 0xffffff82, vcc_lo
	v_add3_u32 v21, v27, v8, v11
	v_and_b32_e32 v8, 0xfffff, v20
	s_delay_alu instid0(VALU_DEP_2) | instskip(NEXT) | instid1(VALU_DEP_2)
	v_dual_mov_b32 v11, v55 :: v_dual_add_nc_u32 v20, 6, v21
	v_add_nc_u32_e32 v10, v8, v10
                                        ; implicit-def: $vgpr8
	s_delay_alu instid0(VALU_DEP_2)
	v_cmpx_ne_u32_e32 0, v20
	s_xor_b32 s11, exec_lo, s11
; %bb.4277:                             ;   in Loop: Header=BB6_3629 Depth=2
	s_delay_alu instid0(VALU_DEP_2) | instskip(SKIP_1) | instid1(VALU_DEP_1)
	v_cmp_lt_u64_e32 vcc_lo, 0xffffff, v[10:11]
	v_add_nc_u32_e32 v8, 7, v21
	v_cndmask_b32_e32 v8, v20, v8, vcc_lo
	v_cndmask_b32_e64 v20, 0, 1, vcc_lo
	s_delay_alu instid0(VALU_DEP_1)
	v_lshrrev_b64 v[10:11], v20, v[10:11]
; %bb.4278:                             ;   in Loop: Header=BB6_3629 Depth=2
	s_and_not1_saveexec_b32 s11, s11
; %bb.4279:                             ;   in Loop: Header=BB6_3629 Depth=2
	s_delay_alu instid0(VALU_DEP_1)
	v_bfe_u32 v8, v10, 23, 1
; %bb.4280:                             ;   in Loop: Header=BB6_3629 Depth=2
	s_or_b32 exec_lo, exec_lo, s11
	s_delay_alu instid0(VALU_DEP_2) | instskip(NEXT) | instid1(VALU_DEP_2)
	v_lshrrev_b64 v[10:11], 20, v[10:11]
	v_cmp_gt_i32_e32 vcc_lo, 16, v8
	v_min_i32_e32 v20, 15, v8
	v_cmp_eq_u32_e64 s11, 0, v8
	s_delay_alu instid0(VALU_DEP_2) | instskip(SKIP_1) | instid1(VALU_DEP_2)
	v_dual_cndmask_b32 v11, 0, v11 :: v_dual_lshlrev_b32 v20, 3, v20
	v_cndmask_b32_e32 v10, 7, v10, vcc_lo
	v_and_b32_e32 v20, 0xf8, v20
	s_delay_alu instid0(VALU_DEP_2) | instskip(NEXT) | instid1(VALU_DEP_2)
	v_cmp_eq_u64_e32 vcc_lo, 0, v[10:11]
	v_and_or_b32 v8, v10, 7, v20
	s_and_b32 s11, s11, vcc_lo
	s_delay_alu instid0(VALU_DEP_1) | instid1(SALU_CYCLE_1)
	v_cndmask_b32_e64 v8, v8, 0, s11
	s_delay_alu instid0(VALU_DEP_1)
	v_or_b32_e32 v8, v8, v23
.LBB6_4281:                             ;   in Loop: Header=BB6_3629 Depth=2
	s_or_b32 exec_lo, exec_lo, s43
                                        ; implicit-def: $vgpr23
.LBB6_4282:                             ;   in Loop: Header=BB6_3629 Depth=2
	s_and_not1_saveexec_b32 s11, s42
; %bb.4283:                             ;   in Loop: Header=BB6_3629 Depth=2
	v_or_b32_e32 v8, 0x7e, v23
; %bb.4284:                             ;   in Loop: Header=BB6_3629 Depth=2
	s_or_b32 exec_lo, exec_lo, s11
                                        ; implicit-def: $vgpr11
.LBB6_4285:                             ;   in Loop: Header=BB6_3629 Depth=2
	s_and_not1_saveexec_b32 s11, s12
; %bb.4286:                             ;   in Loop: Header=BB6_3629 Depth=2
	v_or_b32_e32 v8, 0x7f, v11
; %bb.4287:                             ;   in Loop: Header=BB6_3629 Depth=2
	s_or_b32 exec_lo, exec_lo, s11
	v_lshrrev_b16 v10, 8, v22
	v_mov_b32_e32 v11, 0
	s_mov_b32 s11, exec_lo
	s_delay_alu instid0(VALU_DEP_2)
	v_cmpx_ne_u16_e32 0, v10
	s_cbranch_execz .LBB6_4295
; %bb.4288:                             ;   in Loop: Header=BB6_3629 Depth=2
	v_bfrev_b32_e32 v11, 1
	s_mov_b32 s12, exec_lo
	v_cmpx_ne_u16_e32 0x80, v10
	s_cbranch_execz .LBB6_4294
; %bb.4289:                             ;   in Loop: Header=BB6_3629 Depth=2
	v_and_b32_e32 v10, 0xffff, v10
	v_mov_b32_e32 v11, 0x7f800001
	s_mov_b32 s42, exec_lo
	s_delay_alu instid0(VALU_DEP_2) | instskip(NEXT) | instid1(VALU_DEP_1)
	v_and_b32_e32 v21, 0x7f, v10
	v_cmpx_ne_u32_e32 0x7f, v21
	s_cbranch_execz .LBB6_4293
; %bb.4290:                             ;   in Loop: Header=BB6_3629 Depth=2
	v_dual_mov_b32 v11, v55 :: v_dual_bitop2_b32 v10, 7, v10 bitop3:0x40
	v_lshrrev_b32_e32 v20, 3, v21
	s_mov_b32 s43, exec_lo
	v_cmpx_gt_u32_e32 8, v21
; %bb.4291:                             ;   in Loop: Header=BB6_3629 Depth=2
	s_delay_alu instid0(VALU_DEP_3) | instskip(NEXT) | instid1(VALU_DEP_1)
	v_clz_i32_u32_e32 v20, v10
	v_min_u32_e32 v20, 32, v20
	s_delay_alu instid0(VALU_DEP_1) | instskip(NEXT) | instid1(VALU_DEP_1)
	v_subrev_nc_u32_e32 v21, 28, v20
	v_lshlrev_b64_e32 v[10:11], v21, v[10:11]
	s_delay_alu instid0(VALU_DEP_1)
	v_dual_sub_nc_u32 v20, 29, v20 :: v_dual_bitop2_b32 v10, 7, v10 bitop3:0x40
; %bb.4292:                             ;   in Loop: Header=BB6_3629 Depth=2
	s_or_b32 exec_lo, exec_lo, s43
	v_lshlrev_b32_e32 v11, 16, v22
	s_delay_alu instid0(VALU_DEP_2) | instskip(NEXT) | instid1(VALU_DEP_3)
	v_lshlrev_b32_e32 v10, 20, v10
	v_lshl_add_u32 v20, v20, 23, 0x3c000000
	s_delay_alu instid0(VALU_DEP_3) | instskip(NEXT) | instid1(VALU_DEP_1)
	v_and_b32_e32 v11, 0x80000000, v11
	v_or3_b32 v11, v10, v11, v20
.LBB6_4293:                             ;   in Loop: Header=BB6_3629 Depth=2
	s_or_b32 exec_lo, exec_lo, s42
.LBB6_4294:                             ;   in Loop: Header=BB6_3629 Depth=2
	s_delay_alu instid0(SALU_CYCLE_1)
	s_or_b32 exec_lo, exec_lo, s12
.LBB6_4295:                             ;   in Loop: Header=BB6_3629 Depth=2
	s_delay_alu instid0(SALU_CYCLE_1) | instskip(SKIP_3) | instid1(VALU_DEP_1)
	s_or_b32 exec_lo, exec_lo, s11
	v_lshrrev_b16 v20, 8, v12
	s_mov_b32 s12, 0
	s_mov_b32 s11, exec_lo
	v_cmpx_lt_i16_e32 0x7f, v20
	s_xor_b32 s11, exec_lo, s11
	s_cbranch_execnz .LBB6_4302
; %bb.4296:                             ;   in Loop: Header=BB6_3629 Depth=2
	s_or_saveexec_b32 s11, s11
	v_bfrev_b32_e32 v21, 1
	s_xor_b32 exec_lo, exec_lo, s11
	s_cbranch_execnz .LBB6_4305
.LBB6_4297:                             ;   in Loop: Header=BB6_3629 Depth=2
	s_or_b32 exec_lo, exec_lo, s11
	s_and_saveexec_b32 s11, s12
	s_cbranch_execnz .LBB6_4306
	s_branch .LBB6_4309
.LBB6_4298:                             ;   in Loop: Header=BB6_3629 Depth=2
	s_mov_b32 s11, -1
	s_mov_b32 s42, exec_lo
	v_cmpx_eq_u16_e32 0x80, v11
; %bb.4299:                             ;   in Loop: Header=BB6_3629 Depth=2
	s_xor_b32 s11, exec_lo, -1
; %bb.4300:                             ;   in Loop: Header=BB6_3629 Depth=2
	s_or_b32 exec_lo, exec_lo, s42
	s_delay_alu instid0(SALU_CYCLE_1)
	s_and_b32 s11, s11, exec_lo
                                        ; implicit-def: $vgpr11
	s_or_saveexec_b32 s12, s12
	v_bfrev_b32_e32 v8, 1
	s_xor_b32 exec_lo, exec_lo, s12
	s_cbranch_execz .LBB6_4269
.LBB6_4301:                             ;   in Loop: Header=BB6_3629 Depth=2
	v_cmp_ne_u16_e32 vcc_lo, 0, v11
	v_mov_b32_e32 v8, 0
	s_and_not1_b32 s11, s11, exec_lo
	s_and_b32 s42, vcc_lo, exec_lo
	s_delay_alu instid0(SALU_CYCLE_1)
	s_or_b32 s11, s11, s42
	s_or_b32 exec_lo, exec_lo, s12
	s_and_saveexec_b32 s12, s11
	s_cbranch_execnz .LBB6_4270
	s_branch .LBB6_4271
.LBB6_4302:                             ;   in Loop: Header=BB6_3629 Depth=2
	s_mov_b32 s12, -1
	s_mov_b32 s42, exec_lo
	v_cmpx_eq_u16_e32 0x80, v20
; %bb.4303:                             ;   in Loop: Header=BB6_3629 Depth=2
	s_xor_b32 s12, exec_lo, -1
; %bb.4304:                             ;   in Loop: Header=BB6_3629 Depth=2
	s_or_b32 exec_lo, exec_lo, s42
	s_delay_alu instid0(SALU_CYCLE_1)
	s_and_b32 s12, s12, exec_lo
	s_or_saveexec_b32 s11, s11
	v_bfrev_b32_e32 v21, 1
	s_xor_b32 exec_lo, exec_lo, s11
	s_cbranch_execz .LBB6_4297
.LBB6_4305:                             ;   in Loop: Header=BB6_3629 Depth=2
	v_cmp_ne_u16_e32 vcc_lo, 0, v20
	v_mov_b32_e32 v21, 0
	s_and_not1_b32 s12, s12, exec_lo
	s_and_b32 s42, vcc_lo, exec_lo
	s_delay_alu instid0(SALU_CYCLE_1)
	s_or_b32 s12, s12, s42
	s_or_b32 exec_lo, exec_lo, s11
	s_and_saveexec_b32 s11, s12
	s_cbranch_execz .LBB6_4309
.LBB6_4306:                             ;   in Loop: Header=BB6_3629 Depth=2
	v_and_b32_e32 v10, 0xffff, v20
	v_mov_b32_e32 v21, 0x7f800001
	s_mov_b32 s12, exec_lo
	s_delay_alu instid0(VALU_DEP_2) | instskip(NEXT) | instid1(VALU_DEP_1)
	v_and_b32_e32 v22, 0x7f, v10
	v_cmpx_ne_u32_e32 0x7f, v22
	s_cbranch_execz .LBB6_4308
; %bb.4307:                             ;   in Loop: Header=BB6_3629 Depth=2
	v_and_b32_e32 v21, 7, v10
	v_cmp_gt_u32_e32 vcc_lo, 8, v22
	v_lshlrev_b32_e32 v20, 24, v20
	s_delay_alu instid0(VALU_DEP_3) | instskip(NEXT) | instid1(VALU_DEP_2)
	v_clz_i32_u32_e32 v23, v21
	v_and_b32_e32 v20, 0x80000000, v20
	s_delay_alu instid0(VALU_DEP_2) | instskip(NEXT) | instid1(VALU_DEP_1)
	v_min_u32_e32 v23, 32, v23
	v_subrev_nc_u32_e32 v27, 28, v23
	v_sub_nc_u32_e32 v23, 29, v23
	s_delay_alu instid0(VALU_DEP_2) | instskip(SKIP_1) | instid1(VALU_DEP_1)
	v_lshlrev_b64_e32 v[30:31], v27, v[10:11]
	v_lshrrev_b32_e32 v10, 3, v22
	v_dual_cndmask_b32 v10, v10, v23, vcc_lo :: v_dual_bitop2_b32 v22, 7, v30 bitop3:0x40
	s_delay_alu instid0(VALU_DEP_1) | instskip(NEXT) | instid1(VALU_DEP_2)
	v_lshl_add_u32 v10, v10, 23, 0x3c000000
	v_cndmask_b32_e32 v21, v21, v22, vcc_lo
	s_delay_alu instid0(VALU_DEP_1) | instskip(NEXT) | instid1(VALU_DEP_1)
	v_lshlrev_b32_e32 v21, 20, v21
	v_or3_b32 v21, v21, v20, v10
.LBB6_4308:                             ;   in Loop: Header=BB6_3629 Depth=2
	s_or_b32 exec_lo, exec_lo, s12
.LBB6_4309:                             ;   in Loop: Header=BB6_3629 Depth=2
	s_delay_alu instid0(SALU_CYCLE_1) | instskip(NEXT) | instid1(VALU_DEP_1)
	s_or_b32 exec_lo, exec_lo, s11
	v_add_f32_e32 v10, v11, v21
	v_mov_b32_e32 v21, v55
                                        ; implicit-def: $vgpr27
	s_mov_b32 s11, exec_lo
	s_delay_alu instid0(VALU_DEP_2) | instskip(SKIP_1) | instid1(VALU_DEP_2)
	v_and_b32_e32 v20, 0x7f800000, v10
	v_lshrrev_b32_e32 v11, 24, v10
	v_cmpx_ne_u64_e32 0x7f800000, v[20:21]
	s_xor_b32 s12, exec_lo, s11
	s_cbranch_execz .LBB6_4323
; %bb.4310:                             ;   in Loop: Header=BB6_3629 Depth=2
	v_and_b32_e32 v20, 0x7fffffff, v10
	v_mov_b32_e32 v21, v55
	v_and_b32_e32 v22, 0x80, v11
                                        ; implicit-def: $vgpr27
	s_mov_b32 s11, exec_lo
	s_delay_alu instid0(VALU_DEP_2)
	v_cmpx_gt_u64_e32 0x43e00001, v[20:21]
	s_xor_b32 s42, exec_lo, s11
	s_cbranch_execz .LBB6_4320
; %bb.4311:                             ;   in Loop: Header=BB6_3629 Depth=2
	v_mov_b32_e32 v27, 0
	s_mov_b32 s43, exec_lo
	v_cmpx_ne_u32_e32 0, v10
	s_cbranch_execz .LBB6_4319
; %bb.4312:                             ;   in Loop: Header=BB6_3629 Depth=2
	v_bfe_u32 v23, v10, 23, 8
	v_and_b32_e32 v20, 0x7fffff, v10
	s_mov_b32 s44, exec_lo
	s_delay_alu instid0(VALU_DEP_2) | instskip(NEXT) | instid1(VALU_DEP_2)
	v_cmp_gt_u32_e32 vcc_lo, 0x7a, v23
	v_or_b32_e32 v21, 0x800000, v20
	v_sub_nc_u32_e32 v11, 0x79, v23
	s_delay_alu instid0(VALU_DEP_1) | instskip(SKIP_1) | instid1(VALU_DEP_4)
	v_cndmask_b32_e32 v11, 0, v11, vcc_lo
	v_cmp_eq_u32_e32 vcc_lo, 0, v23
	v_dual_cndmask_b32 v20, v21, v20 :: v_dual_mov_b32 v21, v55
	s_delay_alu instid0(VALU_DEP_3) | instskip(NEXT) | instid1(VALU_DEP_1)
	v_cndmask_b32_e64 v27, v11, 0x78, vcc_lo
	v_dual_add_nc_u32 v10, 20, v27 :: v_dual_add_nc_u32 v30, 19, v27
	s_delay_alu instid0(VALU_DEP_1) | instskip(NEXT) | instid1(VALU_DEP_2)
	v_lshlrev_b64_e64 v[10:11], v10, -1
	v_lshlrev_b64_e64 v[30:31], v30, 1
	s_delay_alu instid0(VALU_DEP_2) | instskip(NEXT) | instid1(VALU_DEP_3)
	v_bfi_b32 v37, v11, 0, 0
	v_bfi_b32 v36, v10, 0, v20
	v_lshrrev_b64 v[10:11], v27, v[20:21]
	s_delay_alu instid0(VALU_DEP_1) | instskip(NEXT) | instid1(VALU_DEP_3)
	v_mov_b64_e32 v[20:21], v[10:11]
	v_cmpx_eq_u64_e64 v[36:37], v[30:31]
; %bb.4313:                             ;   in Loop: Header=BB6_3629 Depth=2
	v_bfe_u32 v20, v10, 20, 1
	v_mov_b32_e32 v21, v55
	s_delay_alu instid0(VALU_DEP_1) | instskip(NEXT) | instid1(VALU_DEP_1)
	v_add_nc_u64_e32 v[20:21], v[10:11], v[20:21]
	v_add_nc_u64_e32 v[20:21], -1, v[20:21]
; %bb.4314:                             ;   in Loop: Header=BB6_3629 Depth=2
	s_or_b32 exec_lo, exec_lo, s44
	v_add_nc_u32_e32 v11, 0xffffff81, v23
	v_lshrrev_b32_e32 v21, 23, v10
	s_mov_b32 s11, exec_lo
	s_delay_alu instid0(VALU_DEP_2) | instskip(NEXT) | instid1(VALU_DEP_1)
	v_cndmask_b32_e64 v11, v11, 0xffffff82, vcc_lo
	v_add3_u32 v21, v27, v11, v21
	v_and_b32_e32 v11, 0xfffff, v20
                                        ; implicit-def: $vgpr20
	s_delay_alu instid0(VALU_DEP_1) | instskip(SKIP_1) | instid1(VALU_DEP_2)
	v_dual_add_nc_u32 v23, 6, v21 :: v_dual_add_nc_u32 v10, v11, v10
	v_mov_b32_e32 v11, v55
	v_cmpx_ne_u32_e32 0, v23
	s_xor_b32 s11, exec_lo, s11
; %bb.4315:                             ;   in Loop: Header=BB6_3629 Depth=2
	s_delay_alu instid0(VALU_DEP_2) | instskip(SKIP_2) | instid1(VALU_DEP_2)
	v_cmp_lt_u64_e32 vcc_lo, 0xffffff, v[10:11]
	v_add_nc_u32_e32 v20, 7, v21
	v_cndmask_b32_e64 v21, 0, 1, vcc_lo
	v_cndmask_b32_e32 v20, v23, v20, vcc_lo
	s_delay_alu instid0(VALU_DEP_2)
	v_lshrrev_b64 v[10:11], v21, v[10:11]
; %bb.4316:                             ;   in Loop: Header=BB6_3629 Depth=2
	s_and_not1_saveexec_b32 s11, s11
; %bb.4317:                             ;   in Loop: Header=BB6_3629 Depth=2
	s_delay_alu instid0(VALU_DEP_1)
	v_bfe_u32 v20, v10, 23, 1
; %bb.4318:                             ;   in Loop: Header=BB6_3629 Depth=2
	s_or_b32 exec_lo, exec_lo, s11
	s_delay_alu instid0(VALU_DEP_2) | instskip(NEXT) | instid1(VALU_DEP_2)
	v_lshrrev_b64 v[10:11], 20, v[10:11]
	v_cmp_gt_i32_e32 vcc_lo, 16, v20
	v_min_i32_e32 v21, 15, v20
	v_cmp_eq_u32_e64 s11, 0, v20
	s_delay_alu instid0(VALU_DEP_2) | instskip(SKIP_1) | instid1(VALU_DEP_2)
	v_dual_cndmask_b32 v11, 0, v11, vcc_lo :: v_dual_lshlrev_b32 v21, 3, v21
	v_cndmask_b32_e32 v10, 7, v10, vcc_lo
	v_and_b32_e32 v21, 0xf8, v21
	s_delay_alu instid0(VALU_DEP_2) | instskip(NEXT) | instid1(VALU_DEP_2)
	v_cmp_eq_u64_e32 vcc_lo, 0, v[10:11]
	v_and_or_b32 v10, v10, 7, v21
	s_and_b32 s11, s11, vcc_lo
	s_delay_alu instid0(VALU_DEP_1) | instid1(SALU_CYCLE_1)
	v_cndmask_b32_e64 v10, v10, 0, s11
	s_delay_alu instid0(VALU_DEP_1)
	v_or_b32_e32 v27, v10, v22
.LBB6_4319:                             ;   in Loop: Header=BB6_3629 Depth=2
	s_or_b32 exec_lo, exec_lo, s43
                                        ; implicit-def: $vgpr22
.LBB6_4320:                             ;   in Loop: Header=BB6_3629 Depth=2
	s_and_not1_saveexec_b32 s11, s42
; %bb.4321:                             ;   in Loop: Header=BB6_3629 Depth=2
	v_or_b32_e32 v27, 0x7e, v22
; %bb.4322:                             ;   in Loop: Header=BB6_3629 Depth=2
	s_or_b32 exec_lo, exec_lo, s11
                                        ; implicit-def: $vgpr11
.LBB6_4323:                             ;   in Loop: Header=BB6_3629 Depth=2
	s_and_not1_saveexec_b32 s11, s12
; %bb.4324:                             ;   in Loop: Header=BB6_3629 Depth=2
	v_or_b32_e32 v27, 0x7f, v11
; %bb.4325:                             ;   in Loop: Header=BB6_3629 Depth=2
	s_or_b32 exec_lo, exec_lo, s11
	v_dual_mov_b32 v11, 0 :: v_dual_lshrrev_b32 v20, 16, v54
	s_mov_b32 s11, exec_lo
	s_delay_alu instid0(VALU_DEP_1) | instskip(NEXT) | instid1(VALU_DEP_1)
	v_and_b32_e32 v10, 0xff, v20
	v_cmpx_ne_u16_e32 0, v10
	s_cbranch_execz .LBB6_4333
; %bb.4326:                             ;   in Loop: Header=BB6_3629 Depth=2
	v_bfrev_b32_e32 v11, 1
	s_mov_b32 s12, exec_lo
	v_cmpx_ne_u16_e32 0x80, v10
	s_cbranch_execz .LBB6_4332
; %bb.4327:                             ;   in Loop: Header=BB6_3629 Depth=2
	v_bfe_u32 v22, v54, 16, 7
	v_mov_b32_e32 v11, 0x7f800001
	s_mov_b32 s42, exec_lo
	s_delay_alu instid0(VALU_DEP_2)
	v_cmpx_ne_u32_e32 0x7f, v22
	s_cbranch_execz .LBB6_4331
; %bb.4328:                             ;   in Loop: Header=BB6_3629 Depth=2
	v_dual_mov_b32 v11, v55 :: v_dual_bitop2_b32 v10, 7, v20 bitop3:0x40
	v_lshrrev_b32_e32 v21, 3, v22
	s_mov_b32 s43, exec_lo
	v_cmpx_gt_u32_e32 8, v22
; %bb.4329:                             ;   in Loop: Header=BB6_3629 Depth=2
	s_delay_alu instid0(VALU_DEP_3) | instskip(NEXT) | instid1(VALU_DEP_1)
	v_clz_i32_u32_e32 v21, v10
	v_min_u32_e32 v21, 32, v21
	s_delay_alu instid0(VALU_DEP_1) | instskip(NEXT) | instid1(VALU_DEP_1)
	v_subrev_nc_u32_e32 v22, 28, v21
	v_lshlrev_b64_e32 v[10:11], v22, v[10:11]
	s_delay_alu instid0(VALU_DEP_1)
	v_dual_sub_nc_u32 v21, 29, v21 :: v_dual_bitop2_b32 v10, 7, v10 bitop3:0x40
; %bb.4330:                             ;   in Loop: Header=BB6_3629 Depth=2
	s_or_b32 exec_lo, exec_lo, s43
	s_delay_alu instid0(VALU_DEP_1) | instskip(NEXT) | instid1(VALU_DEP_2)
	v_dual_lshlrev_b32 v11, 24, v20 :: v_dual_lshlrev_b32 v10, 20, v10
	v_lshl_add_u32 v20, v21, 23, 0x3c000000
	s_delay_alu instid0(VALU_DEP_2) | instskip(NEXT) | instid1(VALU_DEP_1)
	v_and_b32_e32 v11, 0x80000000, v11
	v_or3_b32 v11, v10, v11, v20
.LBB6_4331:                             ;   in Loop: Header=BB6_3629 Depth=2
	s_or_b32 exec_lo, exec_lo, s42
.LBB6_4332:                             ;   in Loop: Header=BB6_3629 Depth=2
	s_delay_alu instid0(SALU_CYCLE_1)
	s_or_b32 exec_lo, exec_lo, s12
.LBB6_4333:                             ;   in Loop: Header=BB6_3629 Depth=2
	s_delay_alu instid0(SALU_CYCLE_1) | instskip(SKIP_3) | instid1(VALU_DEP_1)
	s_or_b32 exec_lo, exec_lo, s11
	v_lshrrev_b32_e32 v10, 16, v12
	s_mov_b32 s12, 0
	s_mov_b32 s11, exec_lo
	v_and_b32_e32 v21, 0xff, v10
	s_delay_alu instid0(VALU_DEP_1)
	v_cmpx_lt_i16_e32 0x7f, v21
	s_xor_b32 s11, exec_lo, s11
	s_cbranch_execnz .LBB6_4336
; %bb.4334:                             ;   in Loop: Header=BB6_3629 Depth=2
	s_or_saveexec_b32 s11, s11
	v_bfrev_b32_e32 v20, 1
	s_xor_b32 exec_lo, exec_lo, s11
	s_cbranch_execnz .LBB6_4339
.LBB6_4335:                             ;   in Loop: Header=BB6_3629 Depth=2
	s_or_b32 exec_lo, exec_lo, s11
	s_and_saveexec_b32 s11, s12
	s_cbranch_execnz .LBB6_4340
	s_branch .LBB6_4343
.LBB6_4336:                             ;   in Loop: Header=BB6_3629 Depth=2
	s_mov_b32 s12, -1
	s_mov_b32 s42, exec_lo
	v_cmpx_eq_u16_e32 0x80, v21
; %bb.4337:                             ;   in Loop: Header=BB6_3629 Depth=2
	s_xor_b32 s12, exec_lo, -1
; %bb.4338:                             ;   in Loop: Header=BB6_3629 Depth=2
	s_or_b32 exec_lo, exec_lo, s42
	s_delay_alu instid0(SALU_CYCLE_1)
	s_and_b32 s12, s12, exec_lo
                                        ; implicit-def: $vgpr21
	s_or_saveexec_b32 s11, s11
	v_bfrev_b32_e32 v20, 1
	s_xor_b32 exec_lo, exec_lo, s11
	s_cbranch_execz .LBB6_4335
.LBB6_4339:                             ;   in Loop: Header=BB6_3629 Depth=2
	v_cmp_ne_u16_e32 vcc_lo, 0, v21
	v_mov_b32_e32 v20, 0
	s_and_not1_b32 s12, s12, exec_lo
	s_and_b32 s42, vcc_lo, exec_lo
	s_delay_alu instid0(SALU_CYCLE_1)
	s_or_b32 s12, s12, s42
	s_or_b32 exec_lo, exec_lo, s11
	s_and_saveexec_b32 s11, s12
	s_cbranch_execz .LBB6_4343
.LBB6_4340:                             ;   in Loop: Header=BB6_3629 Depth=2
	v_and_b32_e32 v21, 0x7f, v10
	v_mov_b32_e32 v20, 0x7f800001
	s_mov_b32 s12, exec_lo
	s_delay_alu instid0(VALU_DEP_2)
	v_cmpx_ne_u32_e32 0x7f, v21
	s_cbranch_execz .LBB6_4342
; %bb.4341:                             ;   in Loop: Header=BB6_3629 Depth=2
	v_and_b32_e32 v20, 7, v10
	v_cmp_gt_u32_e32 vcc_lo, 8, v21
	s_delay_alu instid0(VALU_DEP_2) | instskip(NEXT) | instid1(VALU_DEP_1)
	v_clz_i32_u32_e32 v22, v20
	v_min_u32_e32 v30, 32, v22
	s_delay_alu instid0(VALU_DEP_1) | instskip(NEXT) | instid1(VALU_DEP_1)
	v_subrev_nc_u32_e32 v22, 28, v30
	v_lshlrev_b64_e32 v[22:23], v22, v[10:11]
	v_dual_lshrrev_b32 v23, 3, v21 :: v_dual_lshlrev_b32 v10, 24, v10
	s_delay_alu instid0(VALU_DEP_1) | instskip(NEXT) | instid1(VALU_DEP_3)
	v_and_b32_e32 v10, 0x80000000, v10
	v_and_b32_e32 v21, 7, v22
	s_delay_alu instid0(VALU_DEP_1) | instskip(NEXT) | instid1(VALU_DEP_1)
	v_dual_sub_nc_u32 v30, 29, v30 :: v_dual_cndmask_b32 v20, v20, v21, vcc_lo
	v_dual_cndmask_b32 v22, v23, v30, vcc_lo :: v_dual_lshlrev_b32 v20, 20, v20
	s_delay_alu instid0(VALU_DEP_1) | instskip(NEXT) | instid1(VALU_DEP_1)
	v_lshl_add_u32 v21, v22, 23, 0x3c000000
	v_or3_b32 v20, v20, v10, v21
.LBB6_4342:                             ;   in Loop: Header=BB6_3629 Depth=2
	s_or_b32 exec_lo, exec_lo, s12
.LBB6_4343:                             ;   in Loop: Header=BB6_3629 Depth=2
	s_delay_alu instid0(SALU_CYCLE_1) | instskip(NEXT) | instid1(VALU_DEP_1)
	s_or_b32 exec_lo, exec_lo, s11
	v_add_f32_e32 v10, v11, v20
	v_mov_b32_e32 v21, v55
                                        ; implicit-def: $vgpr30
	s_mov_b32 s11, exec_lo
	s_delay_alu instid0(VALU_DEP_2) | instskip(SKIP_1) | instid1(VALU_DEP_2)
	v_and_b32_e32 v20, 0x7f800000, v10
	v_lshrrev_b32_e32 v11, 24, v10
	v_cmpx_ne_u64_e32 0x7f800000, v[20:21]
	s_xor_b32 s12, exec_lo, s11
	s_cbranch_execz .LBB6_4357
; %bb.4344:                             ;   in Loop: Header=BB6_3629 Depth=2
	v_and_b32_e32 v20, 0x7fffffff, v10
	v_mov_b32_e32 v21, v55
	v_and_b32_e32 v22, 0x80, v11
                                        ; implicit-def: $vgpr30
	s_mov_b32 s11, exec_lo
	s_delay_alu instid0(VALU_DEP_2)
	v_cmpx_gt_u64_e32 0x43e00001, v[20:21]
	s_xor_b32 s42, exec_lo, s11
	s_cbranch_execz .LBB6_4354
; %bb.4345:                             ;   in Loop: Header=BB6_3629 Depth=2
	v_mov_b32_e32 v30, 0
	s_mov_b32 s43, exec_lo
	v_cmpx_ne_u32_e32 0, v10
	s_cbranch_execz .LBB6_4353
; %bb.4346:                             ;   in Loop: Header=BB6_3629 Depth=2
	v_bfe_u32 v23, v10, 23, 8
	v_and_b32_e32 v20, 0x7fffff, v10
	s_mov_b32 s44, exec_lo
	s_delay_alu instid0(VALU_DEP_2) | instskip(NEXT) | instid1(VALU_DEP_2)
	v_cmp_gt_u32_e32 vcc_lo, 0x7a, v23
	v_or_b32_e32 v21, 0x800000, v20
	v_sub_nc_u32_e32 v11, 0x79, v23
	s_delay_alu instid0(VALU_DEP_1) | instskip(SKIP_1) | instid1(VALU_DEP_2)
	v_cndmask_b32_e32 v11, 0, v11, vcc_lo
	v_cmp_eq_u32_e32 vcc_lo, 0, v23
	v_cndmask_b32_e64 v30, v11, 0x78, vcc_lo
	v_dual_cndmask_b32 v20, v21, v20 :: v_dual_mov_b32 v21, v55
	s_delay_alu instid0(VALU_DEP_2) | instskip(NEXT) | instid1(VALU_DEP_1)
	v_dual_add_nc_u32 v31, 19, v30 :: v_dual_add_nc_u32 v10, 20, v30
	v_lshlrev_b64_e64 v[36:37], v31, 1
	s_delay_alu instid0(VALU_DEP_2) | instskip(NEXT) | instid1(VALU_DEP_1)
	v_lshlrev_b64_e64 v[10:11], v10, -1
	v_bfi_b32 v39, v11, 0, 0
	s_delay_alu instid0(VALU_DEP_2) | instskip(SKIP_1) | instid1(VALU_DEP_1)
	v_bfi_b32 v38, v10, 0, v20
	v_lshrrev_b64 v[10:11], v30, v[20:21]
	v_mov_b64_e32 v[20:21], v[10:11]
	s_delay_alu instid0(VALU_DEP_3)
	v_cmpx_eq_u64_e64 v[38:39], v[36:37]
; %bb.4347:                             ;   in Loop: Header=BB6_3629 Depth=2
	v_bfe_u32 v20, v10, 20, 1
	v_mov_b32_e32 v21, v55
	s_delay_alu instid0(VALU_DEP_1) | instskip(NEXT) | instid1(VALU_DEP_1)
	v_add_nc_u64_e32 v[20:21], v[10:11], v[20:21]
	v_add_nc_u64_e32 v[20:21], -1, v[20:21]
; %bb.4348:                             ;   in Loop: Header=BB6_3629 Depth=2
	s_or_b32 exec_lo, exec_lo, s44
	v_add_nc_u32_e32 v11, 0xffffff81, v23
	v_lshrrev_b32_e32 v21, 23, v10
	s_mov_b32 s11, exec_lo
	s_delay_alu instid0(VALU_DEP_2) | instskip(NEXT) | instid1(VALU_DEP_1)
	v_cndmask_b32_e64 v11, v11, 0xffffff82, vcc_lo
	v_add3_u32 v21, v30, v11, v21
	v_and_b32_e32 v11, 0xfffff, v20
                                        ; implicit-def: $vgpr20
	s_delay_alu instid0(VALU_DEP_1) | instskip(SKIP_1) | instid1(VALU_DEP_2)
	v_dual_add_nc_u32 v23, 6, v21 :: v_dual_add_nc_u32 v10, v11, v10
	v_mov_b32_e32 v11, v55
	v_cmpx_ne_u32_e32 0, v23
	s_xor_b32 s11, exec_lo, s11
; %bb.4349:                             ;   in Loop: Header=BB6_3629 Depth=2
	s_delay_alu instid0(VALU_DEP_2) | instskip(SKIP_2) | instid1(VALU_DEP_2)
	v_cmp_lt_u64_e32 vcc_lo, 0xffffff, v[10:11]
	v_add_nc_u32_e32 v20, 7, v21
	v_cndmask_b32_e64 v21, 0, 1, vcc_lo
	v_cndmask_b32_e32 v20, v23, v20, vcc_lo
	s_delay_alu instid0(VALU_DEP_2)
	v_lshrrev_b64 v[10:11], v21, v[10:11]
; %bb.4350:                             ;   in Loop: Header=BB6_3629 Depth=2
	s_and_not1_saveexec_b32 s11, s11
; %bb.4351:                             ;   in Loop: Header=BB6_3629 Depth=2
	s_delay_alu instid0(VALU_DEP_1)
	v_bfe_u32 v20, v10, 23, 1
; %bb.4352:                             ;   in Loop: Header=BB6_3629 Depth=2
	s_or_b32 exec_lo, exec_lo, s11
	s_delay_alu instid0(VALU_DEP_2) | instskip(NEXT) | instid1(VALU_DEP_2)
	v_lshrrev_b64 v[10:11], 20, v[10:11]
	v_cmp_gt_i32_e32 vcc_lo, 16, v20
	v_min_i32_e32 v21, 15, v20
	v_cmp_eq_u32_e64 s11, 0, v20
	s_delay_alu instid0(VALU_DEP_2) | instskip(SKIP_1) | instid1(VALU_DEP_2)
	v_dual_cndmask_b32 v11, 0, v11, vcc_lo :: v_dual_lshlrev_b32 v21, 3, v21
	v_cndmask_b32_e32 v10, 7, v10, vcc_lo
	v_and_b32_e32 v21, 0xf8, v21
	s_delay_alu instid0(VALU_DEP_2) | instskip(NEXT) | instid1(VALU_DEP_2)
	v_cmp_eq_u64_e32 vcc_lo, 0, v[10:11]
	v_and_or_b32 v10, v10, 7, v21
	s_and_b32 s11, s11, vcc_lo
	s_delay_alu instid0(VALU_DEP_1) | instid1(SALU_CYCLE_1)
	v_cndmask_b32_e64 v10, v10, 0, s11
	s_delay_alu instid0(VALU_DEP_1)
	v_or_b32_e32 v30, v10, v22
.LBB6_4353:                             ;   in Loop: Header=BB6_3629 Depth=2
	s_or_b32 exec_lo, exec_lo, s43
                                        ; implicit-def: $vgpr22
.LBB6_4354:                             ;   in Loop: Header=BB6_3629 Depth=2
	s_and_not1_saveexec_b32 s11, s42
; %bb.4355:                             ;   in Loop: Header=BB6_3629 Depth=2
	v_or_b32_e32 v30, 0x7e, v22
; %bb.4356:                             ;   in Loop: Header=BB6_3629 Depth=2
	s_or_b32 exec_lo, exec_lo, s11
                                        ; implicit-def: $vgpr11
.LBB6_4357:                             ;   in Loop: Header=BB6_3629 Depth=2
	s_and_not1_saveexec_b32 s11, s12
; %bb.4358:                             ;   in Loop: Header=BB6_3629 Depth=2
	v_or_b32_e32 v30, 0x7f, v11
; %bb.4359:                             ;   in Loop: Header=BB6_3629 Depth=2
	s_or_b32 exec_lo, exec_lo, s11
	v_mov_b32_e32 v11, 0
	s_mov_b32 s11, exec_lo
	v_cmpx_lt_u32_e32 0xffffff, v54
	s_cbranch_execz .LBB6_4367
; %bb.4360:                             ;   in Loop: Header=BB6_3629 Depth=2
	v_lshrrev_b32_e32 v20, 24, v54
	v_bfrev_b32_e32 v11, 1
	s_mov_b32 s12, exec_lo
	s_delay_alu instid0(VALU_DEP_2)
	v_cmpx_ne_u32_e32 0x80, v20
	s_cbranch_execz .LBB6_4366
; %bb.4361:                             ;   in Loop: Header=BB6_3629 Depth=2
	v_bfe_u32 v10, v54, 24, 7
	v_mov_b32_e32 v11, 0x7f800001
	s_mov_b32 s42, exec_lo
	s_delay_alu instid0(VALU_DEP_2)
	v_cmpx_ne_u32_e32 0x7f, v10
	s_cbranch_execz .LBB6_4365
; %bb.4362:                             ;   in Loop: Header=BB6_3629 Depth=2
	v_dual_lshrrev_b32 v21, 3, v10 :: v_dual_bitop2_b32 v54, 7, v20 bitop3:0x40
	v_cmp_gt_u32_e32 vcc_lo, 8, v10
	s_delay_alu instid0(VALU_DEP_2)
	v_mov_b64_e32 v[10:11], v[54:55]
	s_and_saveexec_b32 s43, vcc_lo
; %bb.4363:                             ;   in Loop: Header=BB6_3629 Depth=2
	v_clz_i32_u32_e32 v10, v54
	s_delay_alu instid0(VALU_DEP_1) | instskip(NEXT) | instid1(VALU_DEP_1)
	v_min_u32_e32 v21, 32, v10
	v_subrev_nc_u32_e32 v10, 28, v21
	s_delay_alu instid0(VALU_DEP_1) | instskip(NEXT) | instid1(VALU_DEP_1)
	v_lshlrev_b64_e32 v[10:11], v10, v[54:55]
	v_dual_sub_nc_u32 v21, 29, v21 :: v_dual_bitop2_b32 v10, 7, v10 bitop3:0x40
; %bb.4364:                             ;   in Loop: Header=BB6_3629 Depth=2
	s_or_b32 exec_lo, exec_lo, s43
	s_delay_alu instid0(VALU_DEP_1) | instskip(NEXT) | instid1(VALU_DEP_2)
	v_dual_lshlrev_b32 v11, 24, v20 :: v_dual_lshlrev_b32 v10, 20, v10
	v_lshl_add_u32 v20, v21, 23, 0x3c000000
	s_delay_alu instid0(VALU_DEP_2) | instskip(NEXT) | instid1(VALU_DEP_1)
	v_and_b32_e32 v11, 0x80000000, v11
	v_or3_b32 v11, v10, v11, v20
.LBB6_4365:                             ;   in Loop: Header=BB6_3629 Depth=2
	s_or_b32 exec_lo, exec_lo, s42
.LBB6_4366:                             ;   in Loop: Header=BB6_3629 Depth=2
	s_delay_alu instid0(SALU_CYCLE_1)
	s_or_b32 exec_lo, exec_lo, s12
.LBB6_4367:                             ;   in Loop: Header=BB6_3629 Depth=2
	s_delay_alu instid0(SALU_CYCLE_1) | instskip(SKIP_3) | instid1(VALU_DEP_3)
	s_or_b32 exec_lo, exec_lo, s11
	v_lshrrev_b32_e32 v10, 24, v12
	v_bfe_u32 v20, v12, 24, 7
	v_cmp_gt_u32_e64 s12, 0x1000000, v12
	v_cmp_eq_u32_e32 vcc_lo, 0x80, v10
	s_delay_alu instid0(VALU_DEP_3) | instskip(SKIP_2) | instid1(VALU_DEP_1)
	v_cmp_eq_u32_e64 s11, 0x7f, v20
	v_cndmask_b32_e32 v21, 0x7f800001, v45, vcc_lo
	s_or_b32 s11, vcc_lo, s11
	v_cndmask_b32_e64 v21, v21, 0, s12
	s_nor_b32 s12, s12, s11
	s_delay_alu instid0(SALU_CYCLE_1)
	s_and_saveexec_b32 s11, s12
	s_cbranch_execz .LBB6_4369
; %bb.4368:                             ;   in Loop: Header=BB6_3629 Depth=2
	v_and_b32_e32 v21, 7, v10
	v_cmp_gt_u32_e32 vcc_lo, 8, v20
	s_delay_alu instid0(VALU_DEP_2) | instskip(NEXT) | instid1(VALU_DEP_1)
	v_clz_i32_u32_e32 v22, v21
	v_min_u32_e32 v31, 32, v22
	s_delay_alu instid0(VALU_DEP_1) | instskip(NEXT) | instid1(VALU_DEP_1)
	v_subrev_nc_u32_e32 v22, 28, v31
	v_lshlrev_b64_e32 v[22:23], v22, v[10:11]
	v_dual_lshrrev_b32 v23, 3, v20 :: v_dual_sub_nc_u32 v31, 29, v31
	v_lshlrev_b32_e32 v10, 24, v10
	s_delay_alu instid0(VALU_DEP_2) | instskip(NEXT) | instid1(VALU_DEP_2)
	v_dual_cndmask_b32 v22, v23, v31, vcc_lo :: v_dual_bitop2_b32 v20, 7, v22 bitop3:0x40
	v_and_b32_e32 v10, 0x80000000, v10
	s_delay_alu instid0(VALU_DEP_2) | instskip(NEXT) | instid1(VALU_DEP_3)
	v_cndmask_b32_e32 v20, v21, v20, vcc_lo
	v_lshl_add_u32 v21, v22, 23, 0x3c000000
	s_delay_alu instid0(VALU_DEP_2) | instskip(NEXT) | instid1(VALU_DEP_1)
	v_lshlrev_b32_e32 v20, 20, v20
	v_or3_b32 v21, v20, v10, v21
.LBB6_4369:                             ;   in Loop: Header=BB6_3629 Depth=2
	s_or_b32 exec_lo, exec_lo, s11
	s_delay_alu instid0(VALU_DEP_1) | instskip(SKIP_1) | instid1(VALU_DEP_1)
	v_add_f32_e32 v10, v11, v21
                                        ; implicit-def: $vgpr31
	s_mov_b32 s11, exec_lo
	v_and_b32_e32 v54, 0x7f800000, v10
	v_lshrrev_b32_e32 v11, 24, v10
	s_delay_alu instid0(VALU_DEP_2)
	v_cmpx_ne_u64_e32 0x7f800000, v[54:55]
	s_xor_b32 s12, exec_lo, s11
	s_cbranch_execz .LBB6_4383
; %bb.4370:                             ;   in Loop: Header=BB6_3629 Depth=2
	v_and_b32_e32 v54, 0x7fffffff, v10
	v_and_b32_e32 v22, 0x80, v11
                                        ; implicit-def: $vgpr31
	s_mov_b32 s11, exec_lo
	s_delay_alu instid0(VALU_DEP_2)
	v_cmpx_gt_u64_e32 0x43e00001, v[54:55]
	s_xor_b32 s42, exec_lo, s11
	s_cbranch_execz .LBB6_4380
; %bb.4371:                             ;   in Loop: Header=BB6_3629 Depth=2
	v_mov_b32_e32 v31, 0
	s_mov_b32 s43, exec_lo
	v_cmpx_ne_u32_e32 0, v10
	s_cbranch_execz .LBB6_4379
; %bb.4372:                             ;   in Loop: Header=BB6_3629 Depth=2
	v_bfe_u32 v23, v10, 23, 8
	v_and_b32_e32 v20, 0x7fffff, v10
	s_delay_alu instid0(VALU_DEP_2) | instskip(NEXT) | instid1(VALU_DEP_2)
	v_cmp_gt_u32_e32 vcc_lo, 0x7a, v23
	v_or_b32_e32 v21, 0x800000, v20
	v_sub_nc_u32_e32 v11, 0x79, v23
	s_delay_alu instid0(VALU_DEP_1) | instskip(SKIP_1) | instid1(VALU_DEP_2)
	v_cndmask_b32_e32 v11, 0, v11, vcc_lo
	v_cmp_eq_u32_e32 vcc_lo, 0, v23
	v_cndmask_b32_e64 v31, v11, 0x78, vcc_lo
	s_delay_alu instid0(VALU_DEP_1) | instskip(SKIP_1) | instid1(VALU_DEP_2)
	v_dual_cndmask_b32 v54, v21, v20, vcc_lo :: v_dual_add_nc_u32 v10, 20, v31
	v_add_nc_u32_e32 v36, 19, v31
	v_lshlrev_b64_e64 v[10:11], v10, -1
	s_delay_alu instid0(VALU_DEP_2) | instskip(NEXT) | instid1(VALU_DEP_2)
	v_lshlrev_b64_e64 v[20:21], v36, 1
	v_bfi_b32 v37, v11, 0, 0
	s_delay_alu instid0(VALU_DEP_3) | instskip(SKIP_1) | instid1(VALU_DEP_2)
	v_bfi_b32 v36, v10, 0, v54
	v_lshrrev_b64 v[10:11], v31, v[54:55]
	v_cmp_eq_u64_e64 s11, v[36:37], v[20:21]
	s_delay_alu instid0(VALU_DEP_2)
	v_mov_b64_e32 v[20:21], v[10:11]
	s_and_saveexec_b32 s44, s11
; %bb.4373:                             ;   in Loop: Header=BB6_3629 Depth=2
	v_bfe_u32 v54, v10, 20, 1
	s_delay_alu instid0(VALU_DEP_1) | instskip(NEXT) | instid1(VALU_DEP_1)
	v_add_nc_u64_e32 v[20:21], v[10:11], v[54:55]
	v_add_nc_u64_e32 v[20:21], -1, v[20:21]
; %bb.4374:                             ;   in Loop: Header=BB6_3629 Depth=2
	s_or_b32 exec_lo, exec_lo, s44
	v_add_nc_u32_e32 v11, 0xffffff81, v23
	v_lshrrev_b32_e32 v21, 23, v10
	s_mov_b32 s11, exec_lo
	s_delay_alu instid0(VALU_DEP_2) | instskip(NEXT) | instid1(VALU_DEP_1)
	v_cndmask_b32_e64 v11, v11, 0xffffff82, vcc_lo
	v_add3_u32 v21, v31, v11, v21
	v_and_b32_e32 v11, 0xfffff, v20
                                        ; implicit-def: $vgpr20
	s_delay_alu instid0(VALU_DEP_1) | instskip(NEXT) | instid1(VALU_DEP_1)
	v_dual_add_nc_u32 v23, 6, v21 :: v_dual_add_nc_u32 v54, v11, v10
                                        ; implicit-def: $vgpr10_vgpr11
	v_cmpx_ne_u32_e32 0, v23
	s_xor_b32 s11, exec_lo, s11
; %bb.4375:                             ;   in Loop: Header=BB6_3629 Depth=2
	s_delay_alu instid0(VALU_DEP_2) | instskip(SKIP_1) | instid1(VALU_DEP_1)
	v_cmp_lt_u64_e32 vcc_lo, 0xffffff, v[54:55]
	v_add_nc_u32_e32 v10, 7, v21
	v_cndmask_b32_e32 v20, v23, v10, vcc_lo
	v_cndmask_b32_e64 v10, 0, 1, vcc_lo
	s_delay_alu instid0(VALU_DEP_1)
	v_lshrrev_b64 v[10:11], v10, v[54:55]
; %bb.4376:                             ;   in Loop: Header=BB6_3629 Depth=2
	s_and_not1_saveexec_b32 s11, s11
; %bb.4377:                             ;   in Loop: Header=BB6_3629 Depth=2
	v_mov_b64_e32 v[10:11], v[54:55]
	v_bfe_u32 v20, v54, 23, 1
; %bb.4378:                             ;   in Loop: Header=BB6_3629 Depth=2
	s_or_b32 exec_lo, exec_lo, s11
	s_delay_alu instid0(VALU_DEP_2) | instskip(NEXT) | instid1(VALU_DEP_2)
	v_lshrrev_b64 v[10:11], 20, v[10:11]
	v_cmp_gt_i32_e32 vcc_lo, 16, v20
	v_min_i32_e32 v21, 15, v20
	v_cmp_eq_u32_e64 s11, 0, v20
	s_delay_alu instid0(VALU_DEP_2) | instskip(SKIP_1) | instid1(VALU_DEP_2)
	v_dual_cndmask_b32 v11, 0, v11, vcc_lo :: v_dual_lshlrev_b32 v21, 3, v21
	v_cndmask_b32_e32 v10, 7, v10, vcc_lo
	v_and_b32_e32 v21, 0xf8, v21
	s_delay_alu instid0(VALU_DEP_2) | instskip(NEXT) | instid1(VALU_DEP_2)
	v_cmp_eq_u64_e32 vcc_lo, 0, v[10:11]
	v_and_or_b32 v10, v10, 7, v21
	s_and_b32 s11, s11, vcc_lo
	s_delay_alu instid0(VALU_DEP_1) | instid1(SALU_CYCLE_1)
	v_cndmask_b32_e64 v10, v10, 0, s11
	s_delay_alu instid0(VALU_DEP_1)
	v_or_b32_e32 v31, v10, v22
.LBB6_4379:                             ;   in Loop: Header=BB6_3629 Depth=2
	s_or_b32 exec_lo, exec_lo, s43
                                        ; implicit-def: $vgpr22
.LBB6_4380:                             ;   in Loop: Header=BB6_3629 Depth=2
	s_and_not1_saveexec_b32 s11, s42
; %bb.4381:                             ;   in Loop: Header=BB6_3629 Depth=2
	v_or_b32_e32 v31, 0x7e, v22
; %bb.4382:                             ;   in Loop: Header=BB6_3629 Depth=2
	s_or_b32 exec_lo, exec_lo, s11
                                        ; implicit-def: $vgpr11
.LBB6_4383:                             ;   in Loop: Header=BB6_3629 Depth=2
	s_and_not1_saveexec_b32 s11, s12
; %bb.4384:                             ;   in Loop: Header=BB6_3629 Depth=2
	v_or_b32_e32 v31, 0x7f, v11
; %bb.4385:                             ;   in Loop: Header=BB6_3629 Depth=2
	s_or_b32 exec_lo, exec_lo, s11
	v_dual_lshlrev_b32 v10, 24, v29 :: v_dual_lshlrev_b32 v11, 16, v26
	v_lshl_or_b32 v7, v7, 8, v5
	v_mov_b32_e32 v20, 0
	s_mov_b32 s11, exec_lo
	s_delay_alu instid0(VALU_DEP_2)
	v_or3_b32 v54, v11, v10, v7
	v_cmpx_ne_u32_e32 0, v5
	s_cbranch_execz .LBB6_4391
; %bb.4386:                             ;   in Loop: Header=BB6_3629 Depth=2
	v_bfrev_b32_e32 v20, 1
	s_mov_b32 s12, exec_lo
	v_cmpx_ne_u32_e32 0x80, v5
	s_cbranch_execz .LBB6_4390
; %bb.4387:                             ;   in Loop: Header=BB6_3629 Depth=2
	v_and_b32_e32 v10, 0x7f, v5
	v_mov_b32_e32 v20, 0x7f800001
	s_mov_b32 s42, exec_lo
	s_delay_alu instid0(VALU_DEP_2)
	v_cmpx_ne_u32_e32 0x7f, v10
	s_cbranch_execz .LBB6_4389
; %bb.4388:                             ;   in Loop: Header=BB6_3629 Depth=2
	v_dual_lshrrev_b32 v11, 3, v10 :: v_dual_bitop2_b32 v5, 7, v5 bitop3:0x40
	v_cmp_gt_u32_e32 vcc_lo, 8, v10
	s_delay_alu instid0(VALU_DEP_2) | instskip(NEXT) | instid1(VALU_DEP_1)
	v_clz_i32_u32_e32 v5, v5
	v_min_u32_e32 v5, 32, v5
	s_delay_alu instid0(VALU_DEP_1) | instskip(NEXT) | instid1(VALU_DEP_1)
	v_subrev_nc_u32_e32 v20, 28, v5
	v_dual_cndmask_b32 v10, 0, v20 :: v_dual_sub_nc_u32 v5, 29, v5
	s_delay_alu instid0(VALU_DEP_1) | instskip(NEXT) | instid1(VALU_DEP_2)
	v_cndmask_b32_e32 v5, v11, v5, vcc_lo
	v_lshlrev_b64_e32 v[10:11], v10, v[54:55]
	v_lshlrev_b32_e32 v11, 24, v54
	s_delay_alu instid0(VALU_DEP_3) | instskip(NEXT) | instid1(VALU_DEP_2)
	v_lshl_add_u32 v5, v5, 23, 0x3c000000
	v_and_b32_e32 v11, 0x80000000, v11
	s_delay_alu instid0(VALU_DEP_4) | instskip(NEXT) | instid1(VALU_DEP_1)
	v_lshlrev_b32_e32 v10, 20, v10
	v_and_b32_e32 v10, 0x700000, v10
	s_delay_alu instid0(VALU_DEP_1)
	v_or3_b32 v20, v10, v11, v5
.LBB6_4389:                             ;   in Loop: Header=BB6_3629 Depth=2
	s_or_b32 exec_lo, exec_lo, s42
.LBB6_4390:                             ;   in Loop: Header=BB6_3629 Depth=2
	s_delay_alu instid0(SALU_CYCLE_1)
	s_or_b32 exec_lo, exec_lo, s12
.LBB6_4391:                             ;   in Loop: Header=BB6_3629 Depth=2
	s_delay_alu instid0(SALU_CYCLE_1) | instskip(SKIP_4) | instid1(VALU_DEP_2)
	s_or_b32 exec_lo, exec_lo, s11
	v_and_b32_e32 v11, 0xff, v13
	v_mov_b32_e32 v10, v13
	s_mov_b32 s11, 0
	s_mov_b32 s12, exec_lo
	v_cmpx_lt_i16_e32 0x7f, v11
	s_xor_b32 s12, exec_lo, s12
	s_cbranch_execnz .LBB6_4422
; %bb.4392:                             ;   in Loop: Header=BB6_3629 Depth=2
	s_or_saveexec_b32 s12, s12
	v_bfrev_b32_e32 v5, 1
	s_xor_b32 exec_lo, exec_lo, s12
	s_cbranch_execnz .LBB6_4425
.LBB6_4393:                             ;   in Loop: Header=BB6_3629 Depth=2
	s_or_b32 exec_lo, exec_lo, s12
	v_mov_b32_e32 v11, v55
	s_and_saveexec_b32 s12, s11
	s_cbranch_execz .LBB6_4395
.LBB6_4394:                             ;   in Loop: Header=BB6_3629 Depth=2
	v_and_b32_e32 v21, 0x7f, v13
	v_bfe_u32 v22, v13, 3, 4
	s_delay_alu instid0(VALU_DEP_2) | instskip(SKIP_1) | instid1(VALU_DEP_1)
	v_cmp_gt_u32_e32 vcc_lo, 8, v21
	v_and_b32_e32 v5, 7, v13
	v_clz_i32_u32_e32 v5, v5
	s_delay_alu instid0(VALU_DEP_1) | instskip(NEXT) | instid1(VALU_DEP_1)
	v_min_u32_e32 v5, 32, v5
	v_subrev_nc_u32_e32 v23, 28, v5
	v_sub_nc_u32_e32 v5, 29, v5
	s_delay_alu instid0(VALU_DEP_1) | instskip(SKIP_1) | instid1(VALU_DEP_2)
	v_dual_cndmask_b32 v5, v22, v5 :: v_dual_cndmask_b32 v22, 0, v23
	v_cmp_ne_u32_e32 vcc_lo, 0x7f, v21
	v_lshlrev_b64_e32 v[22:23], v22, v[10:11]
	v_lshlrev_b32_e32 v11, 24, v10
	s_delay_alu instid0(VALU_DEP_1) | instskip(NEXT) | instid1(VALU_DEP_3)
	v_and_b32_e32 v11, 0x80000000, v11
	v_lshlrev_b32_e32 v22, 20, v22
	v_lshl_add_u32 v5, v5, 23, 0x3c000000
	s_delay_alu instid0(VALU_DEP_2) | instskip(NEXT) | instid1(VALU_DEP_1)
	v_and_b32_e32 v22, 0x700000, v22
	v_or3_b32 v5, v22, v11, v5
	s_delay_alu instid0(VALU_DEP_1)
	v_cndmask_b32_e32 v5, 0x7f800001, v5, vcc_lo
.LBB6_4395:                             ;   in Loop: Header=BB6_3629 Depth=2
	s_or_b32 exec_lo, exec_lo, s12
	s_delay_alu instid0(VALU_DEP_1) | instskip(SKIP_1) | instid1(VALU_DEP_1)
	v_dual_add_f32 v20, v20, v5 :: v_dual_mov_b32 v23, v55
                                        ; implicit-def: $vgpr5
	s_mov_b32 s11, exec_lo
	v_and_b32_e32 v22, 0x7f800000, v20
	v_lshrrev_b32_e32 v11, 24, v20
	s_delay_alu instid0(VALU_DEP_2)
	v_cmpx_ne_u64_e32 0x7f800000, v[22:23]
	s_xor_b32 s12, exec_lo, s11
	s_cbranch_execz .LBB6_4409
; %bb.4396:                             ;   in Loop: Header=BB6_3629 Depth=2
	v_and_b32_e32 v22, 0x7fffffff, v20
	v_mov_b32_e32 v23, v55
	v_and_b32_e32 v11, 0x80, v11
                                        ; implicit-def: $vgpr5
	s_mov_b32 s11, exec_lo
	s_delay_alu instid0(VALU_DEP_2)
	v_cmpx_gt_u64_e32 0x43e00001, v[22:23]
	s_xor_b32 s42, exec_lo, s11
	s_cbranch_execz .LBB6_4406
; %bb.4397:                             ;   in Loop: Header=BB6_3629 Depth=2
	v_mov_b32_e32 v5, 0
	s_mov_b32 s43, exec_lo
	v_cmpx_ne_u32_e32 0, v20
	s_cbranch_execz .LBB6_4405
; %bb.4398:                             ;   in Loop: Header=BB6_3629 Depth=2
	v_bfe_u32 v5, v20, 23, 8
	v_and_b32_e32 v22, 0x7fffff, v20
	s_mov_b32 s44, exec_lo
	s_delay_alu instid0(VALU_DEP_2) | instskip(NEXT) | instid1(VALU_DEP_2)
	v_cmp_gt_u32_e32 vcc_lo, 0x7a, v5
	v_or_b32_e32 v23, 0x800000, v22
	v_sub_nc_u32_e32 v21, 0x79, v5
	s_delay_alu instid0(VALU_DEP_1) | instskip(SKIP_1) | instid1(VALU_DEP_2)
	v_cndmask_b32_e32 v21, 0, v21, vcc_lo
	v_cmp_eq_u32_e32 vcc_lo, 0, v5
	v_cndmask_b32_e64 v26, v21, 0x78, vcc_lo
	v_cndmask_b32_e32 v22, v23, v22, vcc_lo
	s_delay_alu instid0(VALU_DEP_2) | instskip(SKIP_1) | instid1(VALU_DEP_2)
	v_dual_mov_b32 v23, v55 :: v_dual_add_nc_u32 v29, 19, v26
	v_add_nc_u32_e32 v20, 20, v26
	v_lshlrev_b64_e64 v[36:37], v29, 1
	s_delay_alu instid0(VALU_DEP_2) | instskip(NEXT) | instid1(VALU_DEP_1)
	v_lshlrev_b64_e64 v[20:21], v20, -1
	v_bfi_b32 v39, v21, 0, 0
	s_delay_alu instid0(VALU_DEP_2) | instskip(SKIP_1) | instid1(VALU_DEP_1)
	v_bfi_b32 v38, v20, 0, v22
	v_lshrrev_b64 v[20:21], v26, v[22:23]
	v_mov_b64_e32 v[22:23], v[20:21]
	s_delay_alu instid0(VALU_DEP_3)
	v_cmpx_eq_u64_e64 v[38:39], v[36:37]
; %bb.4399:                             ;   in Loop: Header=BB6_3629 Depth=2
	v_bfe_u32 v22, v20, 20, 1
	v_mov_b32_e32 v23, v55
	s_delay_alu instid0(VALU_DEP_1) | instskip(NEXT) | instid1(VALU_DEP_1)
	v_add_nc_u64_e32 v[22:23], v[20:21], v[22:23]
	v_add_nc_u64_e32 v[22:23], -1, v[22:23]
; %bb.4400:                             ;   in Loop: Header=BB6_3629 Depth=2
	s_or_b32 exec_lo, exec_lo, s44
	v_add_nc_u32_e32 v5, 0xffffff81, v5
	v_lshrrev_b32_e32 v21, 23, v20
	s_mov_b32 s11, exec_lo
	s_delay_alu instid0(VALU_DEP_2) | instskip(NEXT) | instid1(VALU_DEP_1)
	v_cndmask_b32_e64 v5, v5, 0xffffff82, vcc_lo
	v_add3_u32 v23, v26, v5, v21
	v_and_b32_e32 v5, 0xfffff, v22
	s_delay_alu instid0(VALU_DEP_2) | instskip(NEXT) | instid1(VALU_DEP_2)
	v_dual_mov_b32 v21, v55 :: v_dual_add_nc_u32 v22, 6, v23
	v_add_nc_u32_e32 v20, v5, v20
                                        ; implicit-def: $vgpr5
	s_delay_alu instid0(VALU_DEP_2)
	v_cmpx_ne_u32_e32 0, v22
	s_xor_b32 s11, exec_lo, s11
; %bb.4401:                             ;   in Loop: Header=BB6_3629 Depth=2
	s_delay_alu instid0(VALU_DEP_2) | instskip(SKIP_1) | instid1(VALU_DEP_1)
	v_cmp_lt_u64_e32 vcc_lo, 0xffffff, v[20:21]
	v_add_nc_u32_e32 v5, 7, v23
	v_cndmask_b32_e32 v5, v22, v5, vcc_lo
	v_cndmask_b32_e64 v22, 0, 1, vcc_lo
	s_delay_alu instid0(VALU_DEP_1)
	v_lshrrev_b64 v[20:21], v22, v[20:21]
; %bb.4402:                             ;   in Loop: Header=BB6_3629 Depth=2
	s_and_not1_saveexec_b32 s11, s11
; %bb.4403:                             ;   in Loop: Header=BB6_3629 Depth=2
	s_delay_alu instid0(VALU_DEP_1)
	v_bfe_u32 v5, v20, 23, 1
; %bb.4404:                             ;   in Loop: Header=BB6_3629 Depth=2
	s_or_b32 exec_lo, exec_lo, s11
	s_delay_alu instid0(VALU_DEP_2) | instskip(NEXT) | instid1(VALU_DEP_2)
	v_lshrrev_b64 v[20:21], 20, v[20:21]
	v_cmp_gt_i32_e32 vcc_lo, 16, v5
	v_min_i32_e32 v22, 15, v5
	v_cmp_eq_u32_e64 s11, 0, v5
	s_delay_alu instid0(VALU_DEP_2) | instskip(SKIP_1) | instid1(VALU_DEP_2)
	v_dual_cndmask_b32 v20, 7, v20, vcc_lo :: v_dual_lshlrev_b32 v22, 3, v22
	v_cndmask_b32_e32 v21, 0, v21, vcc_lo
	v_and_b32_e32 v22, 0xf8, v22
	s_delay_alu instid0(VALU_DEP_2) | instskip(NEXT) | instid1(VALU_DEP_2)
	v_cmp_eq_u64_e32 vcc_lo, 0, v[20:21]
	v_and_or_b32 v5, v20, 7, v22
	s_and_b32 s11, s11, vcc_lo
	s_delay_alu instid0(VALU_DEP_1) | instid1(SALU_CYCLE_1)
	v_cndmask_b32_e64 v5, v5, 0, s11
	s_delay_alu instid0(VALU_DEP_1)
	v_or_b32_e32 v5, v5, v11
.LBB6_4405:                             ;   in Loop: Header=BB6_3629 Depth=2
	s_or_b32 exec_lo, exec_lo, s43
                                        ; implicit-def: $vgpr11
.LBB6_4406:                             ;   in Loop: Header=BB6_3629 Depth=2
	s_and_not1_saveexec_b32 s11, s42
; %bb.4407:                             ;   in Loop: Header=BB6_3629 Depth=2
	v_or_b32_e32 v5, 0x7e, v11
; %bb.4408:                             ;   in Loop: Header=BB6_3629 Depth=2
	s_or_b32 exec_lo, exec_lo, s11
                                        ; implicit-def: $vgpr11
.LBB6_4409:                             ;   in Loop: Header=BB6_3629 Depth=2
	s_and_not1_saveexec_b32 s11, s12
; %bb.4410:                             ;   in Loop: Header=BB6_3629 Depth=2
	v_or_b32_e32 v5, 0x7f, v11
; %bb.4411:                             ;   in Loop: Header=BB6_3629 Depth=2
	s_or_b32 exec_lo, exec_lo, s11
	v_lshrrev_b16 v20, 8, v7
	v_mov_b32_e32 v11, 0
	s_mov_b32 s11, exec_lo
	s_delay_alu instid0(VALU_DEP_2)
	v_cmpx_ne_u16_e32 0, v20
	s_cbranch_execz .LBB6_4419
; %bb.4412:                             ;   in Loop: Header=BB6_3629 Depth=2
	v_bfrev_b32_e32 v11, 1
	s_mov_b32 s12, exec_lo
	v_cmpx_ne_u16_e32 0x80, v20
	s_cbranch_execz .LBB6_4418
; %bb.4413:                             ;   in Loop: Header=BB6_3629 Depth=2
	v_and_b32_e32 v20, 0xffff, v20
	v_mov_b32_e32 v11, 0x7f800001
	s_mov_b32 s42, exec_lo
	s_delay_alu instid0(VALU_DEP_2) | instskip(NEXT) | instid1(VALU_DEP_1)
	v_and_b32_e32 v22, 0x7f, v20
	v_cmpx_ne_u32_e32 0x7f, v22
	s_cbranch_execz .LBB6_4417
; %bb.4414:                             ;   in Loop: Header=BB6_3629 Depth=2
	v_dual_mov_b32 v21, v55 :: v_dual_bitop2_b32 v20, 7, v20 bitop3:0x40
	v_lshrrev_b32_e32 v11, 3, v22
	s_mov_b32 s43, exec_lo
	v_cmpx_gt_u32_e32 8, v22
; %bb.4415:                             ;   in Loop: Header=BB6_3629 Depth=2
	s_delay_alu instid0(VALU_DEP_3) | instskip(NEXT) | instid1(VALU_DEP_1)
	v_clz_i32_u32_e32 v11, v20
	v_min_u32_e32 v11, 32, v11
	s_delay_alu instid0(VALU_DEP_1) | instskip(NEXT) | instid1(VALU_DEP_1)
	v_subrev_nc_u32_e32 v22, 28, v11
	v_lshlrev_b64_e32 v[20:21], v22, v[20:21]
	s_delay_alu instid0(VALU_DEP_1)
	v_dual_sub_nc_u32 v11, 29, v11 :: v_dual_bitop2_b32 v20, 7, v20 bitop3:0x40
; %bb.4416:                             ;   in Loop: Header=BB6_3629 Depth=2
	s_or_b32 exec_lo, exec_lo, s43
	s_delay_alu instid0(VALU_DEP_1) | instskip(NEXT) | instid1(VALU_DEP_2)
	v_dual_lshlrev_b32 v7, 16, v7 :: v_dual_lshlrev_b32 v20, 20, v20
	v_lshl_add_u32 v11, v11, 23, 0x3c000000
	s_delay_alu instid0(VALU_DEP_2) | instskip(NEXT) | instid1(VALU_DEP_1)
	v_and_b32_e32 v7, 0x80000000, v7
	v_or3_b32 v11, v20, v7, v11
.LBB6_4417:                             ;   in Loop: Header=BB6_3629 Depth=2
	s_or_b32 exec_lo, exec_lo, s42
.LBB6_4418:                             ;   in Loop: Header=BB6_3629 Depth=2
	s_delay_alu instid0(SALU_CYCLE_1)
	s_or_b32 exec_lo, exec_lo, s12
.LBB6_4419:                             ;   in Loop: Header=BB6_3629 Depth=2
	s_delay_alu instid0(SALU_CYCLE_1) | instskip(SKIP_3) | instid1(VALU_DEP_1)
	s_or_b32 exec_lo, exec_lo, s11
	v_lshrrev_b16 v7, 8, v10
	s_mov_b32 s12, 0
	s_mov_b32 s11, exec_lo
	v_cmpx_lt_i16_e32 0x7f, v7
	s_xor_b32 s11, exec_lo, s11
	s_cbranch_execnz .LBB6_4426
; %bb.4420:                             ;   in Loop: Header=BB6_3629 Depth=2
	s_or_saveexec_b32 s11, s11
	v_bfrev_b32_e32 v20, 1
	s_xor_b32 exec_lo, exec_lo, s11
	s_cbranch_execnz .LBB6_4429
.LBB6_4421:                             ;   in Loop: Header=BB6_3629 Depth=2
	s_or_b32 exec_lo, exec_lo, s11
	s_and_saveexec_b32 s11, s12
	s_cbranch_execnz .LBB6_4430
	s_branch .LBB6_4433
.LBB6_4422:                             ;   in Loop: Header=BB6_3629 Depth=2
	s_mov_b32 s11, -1
	s_mov_b32 s42, exec_lo
	v_cmpx_eq_u16_e32 0x80, v11
; %bb.4423:                             ;   in Loop: Header=BB6_3629 Depth=2
	s_xor_b32 s11, exec_lo, -1
; %bb.4424:                             ;   in Loop: Header=BB6_3629 Depth=2
	s_or_b32 exec_lo, exec_lo, s42
	s_delay_alu instid0(SALU_CYCLE_1)
	s_and_b32 s11, s11, exec_lo
                                        ; implicit-def: $vgpr11
	s_or_saveexec_b32 s12, s12
	v_bfrev_b32_e32 v5, 1
	s_xor_b32 exec_lo, exec_lo, s12
	s_cbranch_execz .LBB6_4393
.LBB6_4425:                             ;   in Loop: Header=BB6_3629 Depth=2
	v_cmp_ne_u16_e32 vcc_lo, 0, v11
	v_mov_b32_e32 v5, 0
	s_and_not1_b32 s11, s11, exec_lo
	s_and_b32 s42, vcc_lo, exec_lo
	s_delay_alu instid0(SALU_CYCLE_1)
	s_or_b32 s11, s11, s42
	s_or_b32 exec_lo, exec_lo, s12
	v_mov_b32_e32 v11, v55
	s_and_saveexec_b32 s12, s11
	s_cbranch_execnz .LBB6_4394
	s_branch .LBB6_4395
.LBB6_4426:                             ;   in Loop: Header=BB6_3629 Depth=2
	s_mov_b32 s12, -1
	s_mov_b32 s42, exec_lo
	v_cmpx_eq_u16_e32 0x80, v7
; %bb.4427:                             ;   in Loop: Header=BB6_3629 Depth=2
	s_xor_b32 s12, exec_lo, -1
; %bb.4428:                             ;   in Loop: Header=BB6_3629 Depth=2
	s_or_b32 exec_lo, exec_lo, s42
	s_delay_alu instid0(SALU_CYCLE_1)
	s_and_b32 s12, s12, exec_lo
	s_or_saveexec_b32 s11, s11
	v_bfrev_b32_e32 v20, 1
	s_xor_b32 exec_lo, exec_lo, s11
	s_cbranch_execz .LBB6_4421
.LBB6_4429:                             ;   in Loop: Header=BB6_3629 Depth=2
	v_cmp_ne_u16_e32 vcc_lo, 0, v7
	v_mov_b32_e32 v20, 0
	s_and_not1_b32 s12, s12, exec_lo
	s_and_b32 s42, vcc_lo, exec_lo
	s_delay_alu instid0(SALU_CYCLE_1)
	s_or_b32 s12, s12, s42
	s_or_b32 exec_lo, exec_lo, s11
	s_and_saveexec_b32 s11, s12
	s_cbranch_execz .LBB6_4433
.LBB6_4430:                             ;   in Loop: Header=BB6_3629 Depth=2
	v_and_b32_e32 v10, 0xffff, v7
	v_mov_b32_e32 v20, 0x7f800001
	s_mov_b32 s12, exec_lo
	s_delay_alu instid0(VALU_DEP_2) | instskip(NEXT) | instid1(VALU_DEP_1)
	v_and_b32_e32 v21, 0x7f, v10
	v_cmpx_ne_u32_e32 0x7f, v21
	s_cbranch_execz .LBB6_4432
; %bb.4431:                             ;   in Loop: Header=BB6_3629 Depth=2
	v_and_b32_e32 v20, 7, v10
	v_cmp_gt_u32_e32 vcc_lo, 8, v21
	v_lshlrev_b32_e32 v7, 24, v7
	s_delay_alu instid0(VALU_DEP_3) | instskip(NEXT) | instid1(VALU_DEP_2)
	v_clz_i32_u32_e32 v22, v20
	v_and_b32_e32 v7, 0x80000000, v7
	s_delay_alu instid0(VALU_DEP_2) | instskip(NEXT) | instid1(VALU_DEP_1)
	v_min_u32_e32 v26, 32, v22
	v_subrev_nc_u32_e32 v22, 28, v26
	s_delay_alu instid0(VALU_DEP_1) | instskip(SKIP_1) | instid1(VALU_DEP_1)
	v_lshlrev_b64_e32 v[22:23], v22, v[10:11]
	v_dual_lshrrev_b32 v10, 3, v21 :: v_dual_sub_nc_u32 v23, 29, v26
	v_dual_cndmask_b32 v10, v10, v23, vcc_lo :: v_dual_bitop2_b32 v21, 7, v22 bitop3:0x40
	s_delay_alu instid0(VALU_DEP_1) | instskip(NEXT) | instid1(VALU_DEP_2)
	v_cndmask_b32_e32 v20, v20, v21, vcc_lo
	v_lshl_add_u32 v10, v10, 23, 0x3c000000
	s_delay_alu instid0(VALU_DEP_2) | instskip(NEXT) | instid1(VALU_DEP_1)
	v_lshlrev_b32_e32 v20, 20, v20
	v_or3_b32 v20, v20, v7, v10
.LBB6_4432:                             ;   in Loop: Header=BB6_3629 Depth=2
	s_or_b32 exec_lo, exec_lo, s12
.LBB6_4433:                             ;   in Loop: Header=BB6_3629 Depth=2
	s_delay_alu instid0(SALU_CYCLE_1) | instskip(NEXT) | instid1(VALU_DEP_1)
	s_or_b32 exec_lo, exec_lo, s11
	v_add_f32_e32 v10, v11, v20
	v_mov_b32_e32 v21, v55
                                        ; implicit-def: $vgpr7
	s_mov_b32 s11, exec_lo
	s_delay_alu instid0(VALU_DEP_2) | instskip(SKIP_1) | instid1(VALU_DEP_2)
	v_and_b32_e32 v20, 0x7f800000, v10
	v_lshrrev_b32_e32 v11, 24, v10
	v_cmpx_ne_u64_e32 0x7f800000, v[20:21]
	s_xor_b32 s12, exec_lo, s11
	s_cbranch_execz .LBB6_4447
; %bb.4434:                             ;   in Loop: Header=BB6_3629 Depth=2
	v_and_b32_e32 v20, 0x7fffffff, v10
	v_mov_b32_e32 v21, v55
	v_and_b32_e32 v22, 0x80, v11
                                        ; implicit-def: $vgpr7
	s_mov_b32 s11, exec_lo
	s_delay_alu instid0(VALU_DEP_2)
	v_cmpx_gt_u64_e32 0x43e00001, v[20:21]
	s_xor_b32 s42, exec_lo, s11
	s_cbranch_execz .LBB6_4444
; %bb.4435:                             ;   in Loop: Header=BB6_3629 Depth=2
	v_mov_b32_e32 v7, 0
	s_mov_b32 s43, exec_lo
	v_cmpx_ne_u32_e32 0, v10
	s_cbranch_execz .LBB6_4443
; %bb.4436:                             ;   in Loop: Header=BB6_3629 Depth=2
	v_bfe_u32 v7, v10, 23, 8
	v_and_b32_e32 v20, 0x7fffff, v10
	s_mov_b32 s44, exec_lo
	s_delay_alu instid0(VALU_DEP_2) | instskip(NEXT) | instid1(VALU_DEP_2)
	v_cmp_gt_u32_e32 vcc_lo, 0x7a, v7
	v_or_b32_e32 v21, 0x800000, v20
	v_sub_nc_u32_e32 v11, 0x79, v7
	s_delay_alu instid0(VALU_DEP_1) | instskip(SKIP_1) | instid1(VALU_DEP_4)
	v_cndmask_b32_e32 v11, 0, v11, vcc_lo
	v_cmp_eq_u32_e32 vcc_lo, 0, v7
	v_dual_cndmask_b32 v20, v21, v20 :: v_dual_mov_b32 v21, v55
	s_delay_alu instid0(VALU_DEP_3) | instskip(NEXT) | instid1(VALU_DEP_1)
	v_cndmask_b32_e64 v23, v11, 0x78, vcc_lo
	v_dual_add_nc_u32 v10, 20, v23 :: v_dual_add_nc_u32 v26, 19, v23
	s_delay_alu instid0(VALU_DEP_1) | instskip(NEXT) | instid1(VALU_DEP_2)
	v_lshlrev_b64_e64 v[10:11], v10, -1
	v_lshlrev_b64_e64 v[36:37], v26, 1
	s_delay_alu instid0(VALU_DEP_2) | instskip(NEXT) | instid1(VALU_DEP_3)
	v_bfi_b32 v39, v11, 0, 0
	v_bfi_b32 v38, v10, 0, v20
	v_lshrrev_b64 v[10:11], v23, v[20:21]
	s_delay_alu instid0(VALU_DEP_1) | instskip(NEXT) | instid1(VALU_DEP_3)
	v_mov_b64_e32 v[20:21], v[10:11]
	v_cmpx_eq_u64_e64 v[38:39], v[36:37]
; %bb.4437:                             ;   in Loop: Header=BB6_3629 Depth=2
	v_bfe_u32 v20, v10, 20, 1
	v_mov_b32_e32 v21, v55
	s_delay_alu instid0(VALU_DEP_1) | instskip(NEXT) | instid1(VALU_DEP_1)
	v_add_nc_u64_e32 v[20:21], v[10:11], v[20:21]
	v_add_nc_u64_e32 v[20:21], -1, v[20:21]
; %bb.4438:                             ;   in Loop: Header=BB6_3629 Depth=2
	s_or_b32 exec_lo, exec_lo, s44
	v_add_nc_u32_e32 v7, 0xffffff81, v7
	v_lshrrev_b32_e32 v11, 23, v10
	s_mov_b32 s11, exec_lo
	s_delay_alu instid0(VALU_DEP_2) | instskip(NEXT) | instid1(VALU_DEP_1)
	v_cndmask_b32_e64 v7, v7, 0xffffff82, vcc_lo
	v_add3_u32 v21, v23, v7, v11
	v_and_b32_e32 v7, 0xfffff, v20
	s_delay_alu instid0(VALU_DEP_2) | instskip(NEXT) | instid1(VALU_DEP_2)
	v_dual_mov_b32 v11, v55 :: v_dual_add_nc_u32 v20, 6, v21
	v_add_nc_u32_e32 v10, v7, v10
                                        ; implicit-def: $vgpr7
	s_delay_alu instid0(VALU_DEP_2)
	v_cmpx_ne_u32_e32 0, v20
	s_xor_b32 s11, exec_lo, s11
; %bb.4439:                             ;   in Loop: Header=BB6_3629 Depth=2
	s_delay_alu instid0(VALU_DEP_2) | instskip(SKIP_1) | instid1(VALU_DEP_1)
	v_cmp_lt_u64_e32 vcc_lo, 0xffffff, v[10:11]
	v_add_nc_u32_e32 v7, 7, v21
	v_cndmask_b32_e32 v7, v20, v7, vcc_lo
	v_cndmask_b32_e64 v20, 0, 1, vcc_lo
	s_delay_alu instid0(VALU_DEP_1)
	v_lshrrev_b64 v[10:11], v20, v[10:11]
; %bb.4440:                             ;   in Loop: Header=BB6_3629 Depth=2
	s_and_not1_saveexec_b32 s11, s11
; %bb.4441:                             ;   in Loop: Header=BB6_3629 Depth=2
	s_delay_alu instid0(VALU_DEP_1)
	v_bfe_u32 v7, v10, 23, 1
; %bb.4442:                             ;   in Loop: Header=BB6_3629 Depth=2
	s_or_b32 exec_lo, exec_lo, s11
	s_delay_alu instid0(VALU_DEP_2) | instskip(NEXT) | instid1(VALU_DEP_2)
	v_lshrrev_b64 v[10:11], 20, v[10:11]
	v_cmp_gt_i32_e32 vcc_lo, 16, v7
	v_min_i32_e32 v20, 15, v7
	v_cmp_eq_u32_e64 s11, 0, v7
	s_delay_alu instid0(VALU_DEP_2) | instskip(SKIP_1) | instid1(VALU_DEP_2)
	v_dual_cndmask_b32 v10, 7, v10, vcc_lo :: v_dual_lshlrev_b32 v20, 3, v20
	v_cndmask_b32_e32 v11, 0, v11, vcc_lo
	v_and_b32_e32 v20, 0xf8, v20
	s_delay_alu instid0(VALU_DEP_2) | instskip(NEXT) | instid1(VALU_DEP_2)
	v_cmp_eq_u64_e32 vcc_lo, 0, v[10:11]
	v_and_or_b32 v7, v10, 7, v20
	s_and_b32 s11, s11, vcc_lo
	s_delay_alu instid0(VALU_DEP_1) | instid1(SALU_CYCLE_1)
	v_cndmask_b32_e64 v7, v7, 0, s11
	s_delay_alu instid0(VALU_DEP_1)
	v_or_b32_e32 v7, v7, v22
.LBB6_4443:                             ;   in Loop: Header=BB6_3629 Depth=2
	s_or_b32 exec_lo, exec_lo, s43
                                        ; implicit-def: $vgpr22
.LBB6_4444:                             ;   in Loop: Header=BB6_3629 Depth=2
	s_and_not1_saveexec_b32 s11, s42
; %bb.4445:                             ;   in Loop: Header=BB6_3629 Depth=2
	v_or_b32_e32 v7, 0x7e, v22
; %bb.4446:                             ;   in Loop: Header=BB6_3629 Depth=2
	s_or_b32 exec_lo, exec_lo, s11
                                        ; implicit-def: $vgpr11
.LBB6_4447:                             ;   in Loop: Header=BB6_3629 Depth=2
	s_and_not1_saveexec_b32 s11, s12
; %bb.4448:                             ;   in Loop: Header=BB6_3629 Depth=2
	v_or_b32_e32 v7, 0x7f, v11
; %bb.4449:                             ;   in Loop: Header=BB6_3629 Depth=2
	s_or_b32 exec_lo, exec_lo, s11
	v_dual_mov_b32 v11, 0 :: v_dual_lshrrev_b32 v20, 16, v54
	s_mov_b32 s11, exec_lo
	s_delay_alu instid0(VALU_DEP_1) | instskip(NEXT) | instid1(VALU_DEP_1)
	v_and_b32_e32 v10, 0xff, v20
	v_cmpx_ne_u16_e32 0, v10
	s_cbranch_execz .LBB6_4457
; %bb.4450:                             ;   in Loop: Header=BB6_3629 Depth=2
	v_bfrev_b32_e32 v11, 1
	s_mov_b32 s12, exec_lo
	v_cmpx_ne_u16_e32 0x80, v10
	s_cbranch_execz .LBB6_4456
; %bb.4451:                             ;   in Loop: Header=BB6_3629 Depth=2
	v_bfe_u32 v22, v54, 16, 7
	v_mov_b32_e32 v11, 0x7f800001
	s_mov_b32 s42, exec_lo
	s_delay_alu instid0(VALU_DEP_2)
	v_cmpx_ne_u32_e32 0x7f, v22
	s_cbranch_execz .LBB6_4455
; %bb.4452:                             ;   in Loop: Header=BB6_3629 Depth=2
	v_dual_mov_b32 v11, v55 :: v_dual_bitop2_b32 v10, 7, v20 bitop3:0x40
	v_lshrrev_b32_e32 v21, 3, v22
	s_mov_b32 s43, exec_lo
	v_cmpx_gt_u32_e32 8, v22
; %bb.4453:                             ;   in Loop: Header=BB6_3629 Depth=2
	s_delay_alu instid0(VALU_DEP_3) | instskip(NEXT) | instid1(VALU_DEP_1)
	v_clz_i32_u32_e32 v21, v10
	v_min_u32_e32 v21, 32, v21
	s_delay_alu instid0(VALU_DEP_1) | instskip(NEXT) | instid1(VALU_DEP_1)
	v_subrev_nc_u32_e32 v22, 28, v21
	v_lshlrev_b64_e32 v[10:11], v22, v[10:11]
	s_delay_alu instid0(VALU_DEP_1)
	v_dual_sub_nc_u32 v21, 29, v21 :: v_dual_bitop2_b32 v10, 7, v10 bitop3:0x40
; %bb.4454:                             ;   in Loop: Header=BB6_3629 Depth=2
	s_or_b32 exec_lo, exec_lo, s43
	s_delay_alu instid0(VALU_DEP_1) | instskip(NEXT) | instid1(VALU_DEP_2)
	v_dual_lshlrev_b32 v11, 24, v20 :: v_dual_lshlrev_b32 v10, 20, v10
	v_lshl_add_u32 v20, v21, 23, 0x3c000000
	s_delay_alu instid0(VALU_DEP_2) | instskip(NEXT) | instid1(VALU_DEP_1)
	v_and_b32_e32 v11, 0x80000000, v11
	v_or3_b32 v11, v10, v11, v20
.LBB6_4455:                             ;   in Loop: Header=BB6_3629 Depth=2
	s_or_b32 exec_lo, exec_lo, s42
.LBB6_4456:                             ;   in Loop: Header=BB6_3629 Depth=2
	s_delay_alu instid0(SALU_CYCLE_1)
	s_or_b32 exec_lo, exec_lo, s12
.LBB6_4457:                             ;   in Loop: Header=BB6_3629 Depth=2
	s_delay_alu instid0(SALU_CYCLE_1) | instskip(SKIP_3) | instid1(VALU_DEP_1)
	s_or_b32 exec_lo, exec_lo, s11
	v_lshrrev_b32_e32 v10, 16, v13
	s_mov_b32 s12, 0
	s_mov_b32 s11, exec_lo
	v_and_b32_e32 v21, 0xff, v10
	s_delay_alu instid0(VALU_DEP_1)
	v_cmpx_lt_i16_e32 0x7f, v21
	s_xor_b32 s11, exec_lo, s11
	s_cbranch_execnz .LBB6_4460
; %bb.4458:                             ;   in Loop: Header=BB6_3629 Depth=2
	s_or_saveexec_b32 s11, s11
	v_bfrev_b32_e32 v20, 1
	s_xor_b32 exec_lo, exec_lo, s11
	s_cbranch_execnz .LBB6_4463
.LBB6_4459:                             ;   in Loop: Header=BB6_3629 Depth=2
	s_or_b32 exec_lo, exec_lo, s11
	s_and_saveexec_b32 s11, s12
	s_cbranch_execnz .LBB6_4464
	s_branch .LBB6_4467
.LBB6_4460:                             ;   in Loop: Header=BB6_3629 Depth=2
	s_mov_b32 s12, -1
	s_mov_b32 s42, exec_lo
	v_cmpx_eq_u16_e32 0x80, v21
; %bb.4461:                             ;   in Loop: Header=BB6_3629 Depth=2
	s_xor_b32 s12, exec_lo, -1
; %bb.4462:                             ;   in Loop: Header=BB6_3629 Depth=2
	s_or_b32 exec_lo, exec_lo, s42
	s_delay_alu instid0(SALU_CYCLE_1)
	s_and_b32 s12, s12, exec_lo
                                        ; implicit-def: $vgpr21
	s_or_saveexec_b32 s11, s11
	v_bfrev_b32_e32 v20, 1
	s_xor_b32 exec_lo, exec_lo, s11
	s_cbranch_execz .LBB6_4459
.LBB6_4463:                             ;   in Loop: Header=BB6_3629 Depth=2
	v_cmp_ne_u16_e32 vcc_lo, 0, v21
	v_mov_b32_e32 v20, 0
	s_and_not1_b32 s12, s12, exec_lo
	s_and_b32 s42, vcc_lo, exec_lo
	s_delay_alu instid0(SALU_CYCLE_1)
	s_or_b32 s12, s12, s42
	s_or_b32 exec_lo, exec_lo, s11
	s_and_saveexec_b32 s11, s12
	s_cbranch_execz .LBB6_4467
.LBB6_4464:                             ;   in Loop: Header=BB6_3629 Depth=2
	v_and_b32_e32 v21, 0x7f, v10
	v_mov_b32_e32 v20, 0x7f800001
	s_mov_b32 s12, exec_lo
	s_delay_alu instid0(VALU_DEP_2)
	v_cmpx_ne_u32_e32 0x7f, v21
	s_cbranch_execz .LBB6_4466
; %bb.4465:                             ;   in Loop: Header=BB6_3629 Depth=2
	v_and_b32_e32 v20, 7, v10
	v_cmp_gt_u32_e32 vcc_lo, 8, v21
	s_delay_alu instid0(VALU_DEP_2) | instskip(NEXT) | instid1(VALU_DEP_1)
	v_clz_i32_u32_e32 v22, v20
	v_min_u32_e32 v26, 32, v22
	s_delay_alu instid0(VALU_DEP_1) | instskip(NEXT) | instid1(VALU_DEP_1)
	v_subrev_nc_u32_e32 v22, 28, v26
	v_lshlrev_b64_e32 v[22:23], v22, v[10:11]
	v_dual_lshrrev_b32 v23, 3, v21 :: v_dual_lshlrev_b32 v10, 24, v10
	s_delay_alu instid0(VALU_DEP_1) | instskip(NEXT) | instid1(VALU_DEP_3)
	v_and_b32_e32 v10, 0x80000000, v10
	v_and_b32_e32 v21, 7, v22
	s_delay_alu instid0(VALU_DEP_1) | instskip(NEXT) | instid1(VALU_DEP_1)
	v_dual_sub_nc_u32 v26, 29, v26 :: v_dual_cndmask_b32 v20, v20, v21, vcc_lo
	v_dual_cndmask_b32 v22, v23, v26, vcc_lo :: v_dual_lshlrev_b32 v20, 20, v20
	s_delay_alu instid0(VALU_DEP_1) | instskip(NEXT) | instid1(VALU_DEP_1)
	v_lshl_add_u32 v21, v22, 23, 0x3c000000
	v_or3_b32 v20, v20, v10, v21
.LBB6_4466:                             ;   in Loop: Header=BB6_3629 Depth=2
	s_or_b32 exec_lo, exec_lo, s12
.LBB6_4467:                             ;   in Loop: Header=BB6_3629 Depth=2
	s_delay_alu instid0(SALU_CYCLE_1) | instskip(NEXT) | instid1(VALU_DEP_1)
	s_or_b32 exec_lo, exec_lo, s11
	v_add_f32_e32 v10, v11, v20
	s_delay_alu instid0(VALU_DEP_1) | instskip(SKIP_1) | instid1(VALU_DEP_1)
	v_dual_mov_b32 v21, v55 :: v_dual_lshrrev_b32 v11, 24, v10
	v_and_b32_e32 v20, 0x7f800000, v10
	v_cmp_ne_u64_e32 vcc_lo, 0x7f800000, v[20:21]
                                        ; implicit-def: $vgpr20
	s_and_saveexec_b32 s11, vcc_lo
	s_delay_alu instid0(SALU_CYCLE_1)
	s_xor_b32 s12, exec_lo, s11
	s_cbranch_execz .LBB6_4481
; %bb.4468:                             ;   in Loop: Header=BB6_3629 Depth=2
	v_and_b32_e32 v20, 0x7fffffff, v10
	v_mov_b32_e32 v21, v55
	v_and_b32_e32 v22, 0x80, v11
	s_delay_alu instid0(VALU_DEP_2) | instskip(SKIP_1) | instid1(SALU_CYCLE_1)
	v_cmp_gt_u64_e32 vcc_lo, 0x43e00001, v[20:21]
                                        ; implicit-def: $vgpr20
	s_and_saveexec_b32 s11, vcc_lo
	s_xor_b32 s42, exec_lo, s11
	s_cbranch_execz .LBB6_4478
; %bb.4469:                             ;   in Loop: Header=BB6_3629 Depth=2
	v_mov_b32_e32 v20, 0
	s_mov_b32 s43, exec_lo
	v_cmpx_ne_u32_e32 0, v10
	s_cbranch_execz .LBB6_4477
; %bb.4470:                             ;   in Loop: Header=BB6_3629 Depth=2
	v_bfe_u32 v23, v10, 23, 8
	v_and_b32_e32 v20, 0x7fffff, v10
	s_mov_b32 s44, exec_lo
	s_delay_alu instid0(VALU_DEP_2) | instskip(NEXT) | instid1(VALU_DEP_2)
	v_cmp_gt_u32_e32 vcc_lo, 0x7a, v23
	v_or_b32_e32 v21, 0x800000, v20
	v_sub_nc_u32_e32 v11, 0x79, v23
	s_delay_alu instid0(VALU_DEP_1) | instskip(SKIP_1) | instid1(VALU_DEP_2)
	v_cndmask_b32_e32 v11, 0, v11, vcc_lo
	v_cmp_eq_u32_e32 vcc_lo, 0, v23
	v_cndmask_b32_e64 v26, v11, 0x78, vcc_lo
	v_dual_cndmask_b32 v20, v21, v20 :: v_dual_mov_b32 v21, v55
	s_delay_alu instid0(VALU_DEP_2) | instskip(NEXT) | instid1(VALU_DEP_1)
	v_dual_add_nc_u32 v29, 19, v26 :: v_dual_add_nc_u32 v10, 20, v26
	v_lshlrev_b64_e64 v[36:37], v29, 1
	s_delay_alu instid0(VALU_DEP_2) | instskip(NEXT) | instid1(VALU_DEP_1)
	v_lshlrev_b64_e64 v[10:11], v10, -1
	v_bfi_b32 v39, v11, 0, 0
	s_delay_alu instid0(VALU_DEP_2) | instskip(SKIP_1) | instid1(VALU_DEP_1)
	v_bfi_b32 v38, v10, 0, v20
	v_lshrrev_b64 v[10:11], v26, v[20:21]
	v_mov_b64_e32 v[20:21], v[10:11]
	s_delay_alu instid0(VALU_DEP_3)
	v_cmpx_eq_u64_e64 v[38:39], v[36:37]
; %bb.4471:                             ;   in Loop: Header=BB6_3629 Depth=2
	v_bfe_u32 v20, v10, 20, 1
	v_mov_b32_e32 v21, v55
	s_delay_alu instid0(VALU_DEP_1) | instskip(NEXT) | instid1(VALU_DEP_1)
	v_add_nc_u64_e32 v[20:21], v[10:11], v[20:21]
	v_add_nc_u64_e32 v[20:21], -1, v[20:21]
; %bb.4472:                             ;   in Loop: Header=BB6_3629 Depth=2
	s_or_b32 exec_lo, exec_lo, s44
	v_add_nc_u32_e32 v11, 0xffffff81, v23
	v_lshrrev_b32_e32 v21, 23, v10
	s_mov_b32 s11, exec_lo
	s_delay_alu instid0(VALU_DEP_2) | instskip(NEXT) | instid1(VALU_DEP_1)
	v_cndmask_b32_e64 v11, v11, 0xffffff82, vcc_lo
	v_add3_u32 v21, v26, v11, v21
	v_and_b32_e32 v11, 0xfffff, v20
                                        ; implicit-def: $vgpr20
	s_delay_alu instid0(VALU_DEP_1) | instskip(SKIP_1) | instid1(VALU_DEP_2)
	v_dual_add_nc_u32 v23, 6, v21 :: v_dual_add_nc_u32 v10, v11, v10
	v_mov_b32_e32 v11, v55
	v_cmpx_ne_u32_e32 0, v23
	s_xor_b32 s11, exec_lo, s11
; %bb.4473:                             ;   in Loop: Header=BB6_3629 Depth=2
	s_delay_alu instid0(VALU_DEP_2) | instskip(SKIP_2) | instid1(VALU_DEP_2)
	v_cmp_lt_u64_e32 vcc_lo, 0xffffff, v[10:11]
	v_add_nc_u32_e32 v20, 7, v21
	v_cndmask_b32_e64 v21, 0, 1, vcc_lo
	v_cndmask_b32_e32 v20, v23, v20, vcc_lo
	s_delay_alu instid0(VALU_DEP_2)
	v_lshrrev_b64 v[10:11], v21, v[10:11]
; %bb.4474:                             ;   in Loop: Header=BB6_3629 Depth=2
	s_and_not1_saveexec_b32 s11, s11
; %bb.4475:                             ;   in Loop: Header=BB6_3629 Depth=2
	s_delay_alu instid0(VALU_DEP_1)
	v_bfe_u32 v20, v10, 23, 1
; %bb.4476:                             ;   in Loop: Header=BB6_3629 Depth=2
	s_or_b32 exec_lo, exec_lo, s11
	s_delay_alu instid0(VALU_DEP_2) | instskip(NEXT) | instid1(VALU_DEP_2)
	v_lshrrev_b64 v[10:11], 20, v[10:11]
	v_cmp_gt_i32_e32 vcc_lo, 16, v20
	v_min_i32_e32 v21, 15, v20
	v_cmp_eq_u32_e64 s11, 0, v20
	s_delay_alu instid0(VALU_DEP_2) | instskip(SKIP_1) | instid1(VALU_DEP_2)
	v_dual_cndmask_b32 v11, 0, v11, vcc_lo :: v_dual_lshlrev_b32 v21, 3, v21
	v_cndmask_b32_e32 v10, 7, v10, vcc_lo
	v_and_b32_e32 v21, 0xf8, v21
	s_delay_alu instid0(VALU_DEP_2) | instskip(NEXT) | instid1(VALU_DEP_2)
	v_cmp_eq_u64_e32 vcc_lo, 0, v[10:11]
	v_and_or_b32 v10, v10, 7, v21
	s_and_b32 s11, s11, vcc_lo
	s_delay_alu instid0(VALU_DEP_1) | instid1(SALU_CYCLE_1)
	v_cndmask_b32_e64 v10, v10, 0, s11
	s_delay_alu instid0(VALU_DEP_1)
	v_or_b32_e32 v20, v10, v22
.LBB6_4477:                             ;   in Loop: Header=BB6_3629 Depth=2
	s_or_b32 exec_lo, exec_lo, s43
                                        ; implicit-def: $vgpr22
.LBB6_4478:                             ;   in Loop: Header=BB6_3629 Depth=2
	s_and_not1_saveexec_b32 s11, s42
; %bb.4479:                             ;   in Loop: Header=BB6_3629 Depth=2
	v_or_b32_e32 v20, 0x7e, v22
; %bb.4480:                             ;   in Loop: Header=BB6_3629 Depth=2
	s_or_b32 exec_lo, exec_lo, s11
                                        ; implicit-def: $vgpr11
.LBB6_4481:                             ;   in Loop: Header=BB6_3629 Depth=2
	s_and_not1_saveexec_b32 s11, s12
; %bb.4482:                             ;   in Loop: Header=BB6_3629 Depth=2
	v_or_b32_e32 v20, 0x7f, v11
; %bb.4483:                             ;   in Loop: Header=BB6_3629 Depth=2
	s_or_b32 exec_lo, exec_lo, s11
	v_mov_b32_e32 v11, 0
	s_mov_b32 s11, exec_lo
	v_cmpx_lt_u32_e32 0xffffff, v54
	s_cbranch_execz .LBB6_4491
; %bb.4484:                             ;   in Loop: Header=BB6_3629 Depth=2
	v_lshrrev_b32_e32 v21, 24, v54
	v_bfrev_b32_e32 v11, 1
	s_mov_b32 s12, exec_lo
	s_delay_alu instid0(VALU_DEP_2)
	v_cmpx_ne_u32_e32 0x80, v21
	s_cbranch_execz .LBB6_4490
; %bb.4485:                             ;   in Loop: Header=BB6_3629 Depth=2
	v_bfe_u32 v10, v54, 24, 7
	v_mov_b32_e32 v11, 0x7f800001
	s_mov_b32 s42, exec_lo
	s_delay_alu instid0(VALU_DEP_2)
	v_cmpx_ne_u32_e32 0x7f, v10
	s_cbranch_execz .LBB6_4489
; %bb.4486:                             ;   in Loop: Header=BB6_3629 Depth=2
	v_dual_lshrrev_b32 v22, 3, v10 :: v_dual_bitop2_b32 v54, 7, v21 bitop3:0x40
	v_cmp_gt_u32_e32 vcc_lo, 8, v10
	s_delay_alu instid0(VALU_DEP_2)
	v_mov_b64_e32 v[10:11], v[54:55]
	s_and_saveexec_b32 s43, vcc_lo
; %bb.4487:                             ;   in Loop: Header=BB6_3629 Depth=2
	v_clz_i32_u32_e32 v10, v54
	s_delay_alu instid0(VALU_DEP_1) | instskip(NEXT) | instid1(VALU_DEP_1)
	v_min_u32_e32 v22, 32, v10
	v_subrev_nc_u32_e32 v10, 28, v22
	v_sub_nc_u32_e32 v22, 29, v22
	s_delay_alu instid0(VALU_DEP_2) | instskip(NEXT) | instid1(VALU_DEP_1)
	v_lshlrev_b64_e32 v[10:11], v10, v[54:55]
	v_and_b32_e32 v10, 7, v10
; %bb.4488:                             ;   in Loop: Header=BB6_3629 Depth=2
	s_or_b32 exec_lo, exec_lo, s43
	s_delay_alu instid0(VALU_DEP_1) | instskip(SKIP_1) | instid1(VALU_DEP_2)
	v_dual_lshlrev_b32 v11, 24, v21 :: v_dual_lshlrev_b32 v10, 20, v10
	v_lshl_add_u32 v21, v22, 23, 0x3c000000
	v_and_b32_e32 v11, 0x80000000, v11
	s_delay_alu instid0(VALU_DEP_1)
	v_or3_b32 v11, v10, v11, v21
.LBB6_4489:                             ;   in Loop: Header=BB6_3629 Depth=2
	s_or_b32 exec_lo, exec_lo, s42
.LBB6_4490:                             ;   in Loop: Header=BB6_3629 Depth=2
	s_delay_alu instid0(SALU_CYCLE_1)
	s_or_b32 exec_lo, exec_lo, s12
.LBB6_4491:                             ;   in Loop: Header=BB6_3629 Depth=2
	s_delay_alu instid0(SALU_CYCLE_1) | instskip(SKIP_3) | instid1(VALU_DEP_3)
	s_or_b32 exec_lo, exec_lo, s11
	v_lshrrev_b32_e32 v10, 24, v13
	v_bfe_u32 v21, v13, 24, 7
	v_cmp_gt_u64_e64 s12, s[16:17], v[12:13]
	v_cmp_eq_u32_e64 s11, 0x80, v10
	s_delay_alu instid0(VALU_DEP_3) | instskip(NEXT) | instid1(VALU_DEP_2)
	v_cmp_eq_u32_e32 vcc_lo, 0x7f, v21
	v_cndmask_b32_e64 v22, 0x7f800001, v45, s11
	s_or_b32 s11, s11, vcc_lo
	s_delay_alu instid0(VALU_DEP_1) | instskip(SKIP_1) | instid1(SALU_CYCLE_1)
	v_cndmask_b32_e64 v12, v22, 0, s12
	s_nor_b32 s12, s12, s11
	s_and_saveexec_b32 s11, s12
	s_cbranch_execz .LBB6_4493
; %bb.4492:                             ;   in Loop: Header=BB6_3629 Depth=2
	v_and_b32_e32 v22, 7, v10
	v_cmp_gt_u32_e32 vcc_lo, 8, v21
	s_delay_alu instid0(VALU_DEP_2) | instskip(NEXT) | instid1(VALU_DEP_1)
	v_clz_i32_u32_e32 v12, v22
	v_min_u32_e32 v23, 32, v12
	s_delay_alu instid0(VALU_DEP_1) | instskip(NEXT) | instid1(VALU_DEP_1)
	v_subrev_nc_u32_e32 v12, 28, v23
	v_lshlrev_b64_e32 v[12:13], v12, v[10:11]
	v_dual_lshrrev_b32 v13, 3, v21 :: v_dual_sub_nc_u32 v23, 29, v23
	s_delay_alu instid0(VALU_DEP_2) | instskip(NEXT) | instid1(VALU_DEP_1)
	v_dual_lshlrev_b32 v10, 24, v10 :: v_dual_bitop2_b32 v12, 7, v12 bitop3:0x40
	v_dual_cndmask_b32 v13, v13, v23 :: v_dual_cndmask_b32 v12, v22, v12
	s_delay_alu instid0(VALU_DEP_2) | instskip(NEXT) | instid1(VALU_DEP_2)
	v_and_b32_e32 v10, 0x80000000, v10
	v_lshl_add_u32 v13, v13, 23, 0x3c000000
	s_delay_alu instid0(VALU_DEP_3) | instskip(NEXT) | instid1(VALU_DEP_1)
	v_lshlrev_b32_e32 v12, 20, v12
	v_or3_b32 v12, v12, v10, v13
.LBB6_4493:                             ;   in Loop: Header=BB6_3629 Depth=2
	s_or_b32 exec_lo, exec_lo, s11
	s_delay_alu instid0(VALU_DEP_1) | instskip(SKIP_1) | instid1(VALU_DEP_1)
	v_add_f32_e32 v11, v11, v12
                                        ; implicit-def: $vgpr10
	s_mov_b32 s11, exec_lo
	v_and_b32_e32 v54, 0x7f800000, v11
	v_lshrrev_b32_e32 v12, 24, v11
	s_delay_alu instid0(VALU_DEP_2)
	v_cmpx_ne_u64_e32 0x7f800000, v[54:55]
	s_xor_b32 s12, exec_lo, s11
	s_cbranch_execz .LBB6_4507
; %bb.4494:                             ;   in Loop: Header=BB6_3629 Depth=2
	v_and_b32_e32 v54, 0x7fffffff, v11
	v_and_b32_e32 v21, 0x80, v12
                                        ; implicit-def: $vgpr10
	s_mov_b32 s11, exec_lo
	s_delay_alu instid0(VALU_DEP_2)
	v_cmpx_gt_u64_e32 0x43e00001, v[54:55]
	s_xor_b32 s42, exec_lo, s11
	s_cbranch_execz .LBB6_4504
; %bb.4495:                             ;   in Loop: Header=BB6_3629 Depth=2
	v_mov_b32_e32 v10, 0
	s_mov_b32 s43, exec_lo
	v_cmpx_ne_u32_e32 0, v11
	s_cbranch_execz .LBB6_4503
; %bb.4496:                             ;   in Loop: Header=BB6_3629 Depth=2
	v_bfe_u32 v22, v11, 23, 8
	v_and_b32_e32 v12, 0x7fffff, v11
	s_delay_alu instid0(VALU_DEP_2) | instskip(SKIP_1) | instid1(VALU_DEP_3)
	v_sub_nc_u32_e32 v10, 0x79, v22
	v_cmp_gt_u32_e32 vcc_lo, 0x7a, v22
	v_or_b32_e32 v13, 0x800000, v12
	s_delay_alu instid0(VALU_DEP_3) | instskip(SKIP_1) | instid1(VALU_DEP_2)
	v_cndmask_b32_e32 v10, 0, v10, vcc_lo
	v_cmp_eq_u32_e32 vcc_lo, 0, v22
	v_cndmask_b32_e64 v23, v10, 0x78, vcc_lo
	s_delay_alu instid0(VALU_DEP_1) | instskip(SKIP_1) | instid1(VALU_DEP_2)
	v_dual_cndmask_b32 v54, v13, v12, vcc_lo :: v_dual_add_nc_u32 v10, 20, v23
	v_add_nc_u32_e32 v26, 19, v23
	v_lshlrev_b64_e64 v[10:11], v10, -1
	s_delay_alu instid0(VALU_DEP_2) | instskip(NEXT) | instid1(VALU_DEP_2)
	v_lshlrev_b64_e64 v[12:13], v26, 1
	v_bfi_b32 v37, v11, 0, 0
	s_delay_alu instid0(VALU_DEP_3) | instskip(SKIP_1) | instid1(VALU_DEP_2)
	v_bfi_b32 v36, v10, 0, v54
	v_lshrrev_b64 v[10:11], v23, v[54:55]
	v_cmp_eq_u64_e64 s11, v[36:37], v[12:13]
	s_delay_alu instid0(VALU_DEP_2)
	v_mov_b64_e32 v[12:13], v[10:11]
	s_and_saveexec_b32 s44, s11
; %bb.4497:                             ;   in Loop: Header=BB6_3629 Depth=2
	v_bfe_u32 v54, v10, 20, 1
	s_delay_alu instid0(VALU_DEP_1) | instskip(NEXT) | instid1(VALU_DEP_1)
	v_add_nc_u64_e32 v[12:13], v[10:11], v[54:55]
	v_add_nc_u64_e32 v[12:13], -1, v[12:13]
; %bb.4498:                             ;   in Loop: Header=BB6_3629 Depth=2
	s_or_b32 exec_lo, exec_lo, s44
	v_add_nc_u32_e32 v11, 0xffffff81, v22
	v_lshrrev_b32_e32 v13, 23, v10
	s_mov_b32 s11, exec_lo
	s_delay_alu instid0(VALU_DEP_2) | instskip(NEXT) | instid1(VALU_DEP_1)
	v_cndmask_b32_e64 v11, v11, 0xffffff82, vcc_lo
	v_add3_u32 v13, v23, v11, v13
	v_and_b32_e32 v11, 0xfffff, v12
                                        ; implicit-def: $vgpr12
	s_delay_alu instid0(VALU_DEP_1) | instskip(NEXT) | instid1(VALU_DEP_1)
	v_dual_add_nc_u32 v22, 6, v13 :: v_dual_add_nc_u32 v54, v11, v10
                                        ; implicit-def: $vgpr10_vgpr11
	v_cmpx_ne_u32_e32 0, v22
	s_xor_b32 s11, exec_lo, s11
; %bb.4499:                             ;   in Loop: Header=BB6_3629 Depth=2
	s_delay_alu instid0(VALU_DEP_2) | instskip(SKIP_1) | instid1(VALU_DEP_1)
	v_cmp_lt_u64_e32 vcc_lo, 0xffffff, v[54:55]
	v_add_nc_u32_e32 v10, 7, v13
	v_cndmask_b32_e32 v12, v22, v10, vcc_lo
	v_cndmask_b32_e64 v10, 0, 1, vcc_lo
	s_delay_alu instid0(VALU_DEP_1)
	v_lshrrev_b64 v[10:11], v10, v[54:55]
; %bb.4500:                             ;   in Loop: Header=BB6_3629 Depth=2
	s_and_not1_saveexec_b32 s11, s11
; %bb.4501:                             ;   in Loop: Header=BB6_3629 Depth=2
	v_mov_b64_e32 v[10:11], v[54:55]
	v_bfe_u32 v12, v54, 23, 1
; %bb.4502:                             ;   in Loop: Header=BB6_3629 Depth=2
	s_or_b32 exec_lo, exec_lo, s11
	s_delay_alu instid0(VALU_DEP_2) | instskip(NEXT) | instid1(VALU_DEP_2)
	v_lshrrev_b64 v[10:11], 20, v[10:11]
	v_cmp_gt_i32_e32 vcc_lo, 16, v12
	v_min_i32_e32 v13, 15, v12
	v_cmp_eq_u32_e64 s11, 0, v12
	s_delay_alu instid0(VALU_DEP_2) | instskip(SKIP_1) | instid1(VALU_DEP_2)
	v_dual_cndmask_b32 v11, 0, v11, vcc_lo :: v_dual_lshlrev_b32 v13, 3, v13
	v_cndmask_b32_e32 v10, 7, v10, vcc_lo
	v_and_b32_e32 v13, 0xf8, v13
	s_delay_alu instid0(VALU_DEP_2) | instskip(NEXT) | instid1(VALU_DEP_2)
	v_cmp_eq_u64_e32 vcc_lo, 0, v[10:11]
	v_and_or_b32 v10, v10, 7, v13
	s_and_b32 s11, s11, vcc_lo
	s_delay_alu instid0(VALU_DEP_1) | instid1(SALU_CYCLE_1)
	v_cndmask_b32_e64 v10, v10, 0, s11
	s_delay_alu instid0(VALU_DEP_1)
	v_or_b32_e32 v10, v10, v21
.LBB6_4503:                             ;   in Loop: Header=BB6_3629 Depth=2
	s_or_b32 exec_lo, exec_lo, s43
                                        ; implicit-def: $vgpr21
.LBB6_4504:                             ;   in Loop: Header=BB6_3629 Depth=2
	s_and_not1_saveexec_b32 s11, s42
; %bb.4505:                             ;   in Loop: Header=BB6_3629 Depth=2
	v_or_b32_e32 v10, 0x7e, v21
; %bb.4506:                             ;   in Loop: Header=BB6_3629 Depth=2
	s_or_b32 exec_lo, exec_lo, s11
                                        ; implicit-def: $vgpr12
.LBB6_4507:                             ;   in Loop: Header=BB6_3629 Depth=2
	s_and_not1_saveexec_b32 s11, s12
	s_cbranch_execz .LBB6_3628
; %bb.4508:                             ;   in Loop: Header=BB6_3629 Depth=2
	v_or_b32_e32 v10, 0x7f, v12
	s_branch .LBB6_3628
.LBB6_4509:                             ;   in Loop: Header=BB6_49 Depth=1
	s_or_b32 exec_lo, exec_lo, s29
.LBB6_4510:                             ;   in Loop: Header=BB6_49 Depth=1
	s_delay_alu instid0(SALU_CYCLE_1) | instskip(SKIP_3) | instid1(VALU_DEP_2)
	s_or_b32 exec_lo, exec_lo, s28
	v_cmp_lt_i32_e32 vcc_lo, 0, v2
	v_and_b32_e32 v3, 15, v87
	v_and_b32_e32 v4, 0x1f0, v87
	v_dual_cndmask_b32 v5, 0, v64, vcc_lo :: v_dual_cndmask_b32 v3, v1, v3, s10
	s_delay_alu instid0(VALU_DEP_1) | instskip(NEXT) | instid1(VALU_DEP_2)
	v_dual_cndmask_b32 v1, 0, v4, s10 :: v_dual_sub_nc_u32 v4, v5, v2
	v_cmp_ne_u32_e32 vcc_lo, 0, v3
	s_delay_alu instid0(VALU_DEP_2) | instskip(NEXT) | instid1(VALU_DEP_3)
	v_and_or_b32 v2, 0x3ffffe00, v87, v1
	v_lshl_add_u32 v20, v4, 5, v0
	s_and_b32 s10, vcc_lo, exec_lo
.LBB6_4511:                             ;   in Loop: Header=BB6_49 Depth=1
	s_or_b32 exec_lo, exec_lo, s27
	s_and_saveexec_b32 s12, s10
	s_cbranch_execz .LBB6_6640
.LBB6_4512:                             ;   in Loop: Header=BB6_49 Depth=1
	s_wait_loadcnt 0x0
	v_dual_ashrrev_i32 v0, 31, v20 :: v_dual_lshrrev_b32 v1, 10, v3
	s_mov_b32 s27, exec_lo
	s_delay_alu instid0(VALU_DEP_1) | instskip(NEXT) | instid1(VALU_DEP_1)
	v_lshrrev_b32_e32 v0, 27, v0
	v_add_nc_u32_e32 v0, v20, v0
	s_delay_alu instid0(VALU_DEP_1) | instskip(NEXT) | instid1(VALU_DEP_1)
	v_ashrrev_i32_e32 v21, 5, v0
	v_sub_nc_u32_e32 v22, v1, v21
	s_delay_alu instid0(VALU_DEP_1)
	v_cmpx_lt_i32_e32 0, v22
	s_cbranch_execz .LBB6_6568
; %bb.4513:                             ;   in Loop: Header=BB6_49 Depth=1
	v_and_b32_e32 v4, 0xffffffe0, v0
	s_trap 2
	ds_load_b64 v[0:1], v0
	v_lshlrev_b32_e32 v5, 10, v21
	v_add_nc_u64_e32 v[6:7], 0x3e0, v[52:53]
	v_sub_nc_u32_e32 v4, v20, v4
	s_mov_b32 s28, 0
	s_delay_alu instid0(VALU_DEP_1) | instskip(NEXT) | instid1(VALU_DEP_1)
	v_add3_u32 v4, v2, v4, v5
	v_ashrrev_i32_e32 v5, 31, v4
	s_delay_alu instid0(VALU_DEP_1)
	v_add_nc_u64_e32 v[10:11], v[4:5], v[98:99]
	v_add_nc_u64_e32 v[14:15], v[6:7], v[4:5]
	s_wait_dscnt 0x0
	v_add_nc_u64_e32 v[12:13], v[0:1], v[4:5]
	s_branch .LBB6_4515
.LBB6_4514:                             ;   in Loop: Header=BB6_4515 Depth=2
	s_or_b32 exec_lo, exec_lo, s10
	v_sub_nc_u32_e32 v22, v22, v64
	s_clause 0x1f
	flat_store_b8 v[14:15], v5 offset:-992 th:TH_STORE_NT
	flat_store_b8 v[14:15], v26 offset:-960 th:TH_STORE_NT
	;; [unrolled: 1-line block ×31, first 2 shown]
	flat_store_b8 v[14:15], v1 th:TH_STORE_NT
	v_add_nc_u64_e32 v[10:11], v[10:11], v[80:81]
	v_add_nc_u64_e32 v[12:13], v[12:13], v[80:81]
	v_cmp_gt_i32_e32 vcc_lo, 1, v22
	s_wait_xcnt 0x0
	v_add_nc_u64_e32 v[14:15], v[14:15], v[80:81]
	s_or_b32 s28, vcc_lo, s28
	s_delay_alu instid0(SALU_CYCLE_1)
	s_and_not1_b32 exec_lo, exec_lo, s28
	s_cbranch_execz .LBB6_6567
.LBB6_4515:                             ;   Parent Loop BB6_49 Depth=1
                                        ; =>  This Inner Loop Header: Depth=2
	s_trap 2
	ds_load_b64 v[4:5], v0
	s_mov_b32 s29, 0
	s_wait_dscnt 0x0
	v_and_b32_e32 v0, 0xff, v4
	v_readfirstlane_b32 s10, v4
	v_readfirstlane_b32 s11, v5
	s_delay_alu instid0(VALU_DEP_3)
	v_cmp_eq_u32_e32 vcc_lo, 0, v0
	s_cbranch_vccnz .LBB6_4519
; %bb.4516:                             ;   in Loop: Header=BB6_4515 Depth=2
	v_cmp_eq_u32_e32 vcc_lo, 0x80, v0
	s_brev_b32 s29, 1
	s_cbranch_vccnz .LBB6_4519
; %bb.4517:                             ;   in Loop: Header=BB6_4515 Depth=2
	s_and_b32 s40, s10, 0x7f
	s_mov_b32 s29, 0x7f800001
	s_cmp_eq_u32 s40, 0x7f
	s_cbranch_scc1 .LBB6_4519
; %bb.4518:                             ;   in Loop: Header=BB6_4515 Depth=2
	s_and_b32 s29, s10, 7
	s_lshr_b32 s41, s40, 3
	s_clz_i32_u32 s29, s29
	s_delay_alu instid0(SALU_CYCLE_1) | instskip(NEXT) | instid1(SALU_CYCLE_1)
	s_min_u32 s29, s29, 32
	s_sub_co_i32 s42, s29, 28
	s_sub_co_i32 s29, 29, s29
	s_cmp_lt_u32 s40, 8
	s_cselect_b32 s40, s42, 0
	s_cselect_b32 s29, s29, s41
	s_lshl_b64 s[40:41], s[10:11], s40
	s_lshl_b32 s10, s10, 24
	s_lshl_b32 s11, s40, 20
	s_lshl_b32 s29, s29, 23
	s_and_b32 s11, s11, 0x700000
	s_and_b32 s10, s10, 0x80000000
	s_add_co_i32 s29, s29, 0x3c000000
	s_or_b32 s10, s11, s10
	s_delay_alu instid0(SALU_CYCLE_1)
	s_or_b32 s29, s29, s10
.LBB6_4519:                             ;   in Loop: Header=BB6_4515 Depth=2
	flat_load_u8 v0, v[10:11] th:TH_LOAD_NT
	v_mov_b32_e32 v1, 0
	s_mov_b32 s10, exec_lo
	s_wait_loadcnt_dscnt 0x0
	s_wait_xcnt 0x0
	v_cmpx_ne_u16_e32 0, v0
	s_cbranch_execz .LBB6_4527
; %bb.4520:                             ;   in Loop: Header=BB6_4515 Depth=2
	v_bfrev_b32_e32 v1, 1
	s_mov_b32 s11, exec_lo
	v_cmpx_ne_u16_e32 0x80, v0
	s_cbranch_execz .LBB6_4526
; %bb.4521:                             ;   in Loop: Header=BB6_4515 Depth=2
	v_and_b32_e32 v5, 0xffff, v0
	v_mov_b32_e32 v1, 0x7f800001
	s_mov_b32 s40, exec_lo
	s_delay_alu instid0(VALU_DEP_2) | instskip(NEXT) | instid1(VALU_DEP_1)
	v_and_b32_e32 v4, 0x7f, v5
	v_cmpx_ne_u32_e32 0x7f, v4
	s_cbranch_execz .LBB6_4525
; %bb.4522:                             ;   in Loop: Header=BB6_4515 Depth=2
	v_dual_lshrrev_b32 v1, 3, v4 :: v_dual_bitop2_b32 v54, 7, v5 bitop3:0x40
	s_mov_b32 s41, exec_lo
	s_delay_alu instid0(VALU_DEP_1)
	v_mov_b64_e32 v[16:17], v[54:55]
	v_cmpx_gt_u32_e32 8, v4
; %bb.4523:                             ;   in Loop: Header=BB6_4515 Depth=2
	v_clz_i32_u32_e32 v1, v54
	s_delay_alu instid0(VALU_DEP_1) | instskip(NEXT) | instid1(VALU_DEP_1)
	v_min_u32_e32 v1, 32, v1
	v_subrev_nc_u32_e32 v4, 28, v1
	s_delay_alu instid0(VALU_DEP_1) | instskip(NEXT) | instid1(VALU_DEP_1)
	v_lshlrev_b64_e32 v[4:5], v4, v[54:55]
	v_dual_sub_nc_u32 v1, 29, v1 :: v_dual_bitop2_b32 v16, 7, v4 bitop3:0x40
; %bb.4524:                             ;   in Loop: Header=BB6_4515 Depth=2
	s_or_b32 exec_lo, exec_lo, s41
	v_lshlrev_b32_e32 v0, 24, v0
	s_delay_alu instid0(VALU_DEP_2) | instskip(NEXT) | instid1(VALU_DEP_3)
	v_lshlrev_b32_e32 v4, 20, v16
	v_lshl_add_u32 v1, v1, 23, 0x3c000000
	s_delay_alu instid0(VALU_DEP_3) | instskip(NEXT) | instid1(VALU_DEP_1)
	v_and_b32_e32 v0, 0x80000000, v0
	v_or3_b32 v1, v4, v0, v1
.LBB6_4525:                             ;   in Loop: Header=BB6_4515 Depth=2
	s_or_b32 exec_lo, exec_lo, s40
.LBB6_4526:                             ;   in Loop: Header=BB6_4515 Depth=2
	s_delay_alu instid0(SALU_CYCLE_1)
	s_or_b32 exec_lo, exec_lo, s11
.LBB6_4527:                             ;   in Loop: Header=BB6_4515 Depth=2
	s_delay_alu instid0(SALU_CYCLE_1) | instskip(NEXT) | instid1(VALU_DEP_1)
	s_or_b32 exec_lo, exec_lo, s10
	v_mul_f32_e32 v1, s29, v1
                                        ; implicit-def: $vgpr5
	s_mov_b32 s10, exec_lo
	s_delay_alu instid0(VALU_DEP_1) | instskip(SKIP_1) | instid1(VALU_DEP_2)
	v_and_b32_e32 v54, 0x7f800000, v1
	v_lshrrev_b32_e32 v0, 24, v1
	v_cmpx_ne_u64_e32 0x7f800000, v[54:55]
	s_xor_b32 s11, exec_lo, s10
	s_cbranch_execz .LBB6_4545
; %bb.4528:                             ;   in Loop: Header=BB6_4515 Depth=2
	v_and_b32_e32 v54, 0x7fffffff, v1
	v_and_b32_e32 v0, 0x80, v0
                                        ; implicit-def: $vgpr5
	s_mov_b32 s10, exec_lo
	s_delay_alu instid0(VALU_DEP_2)
	v_cmpx_gt_u64_e32 0x43e00001, v[54:55]
	s_xor_b32 s40, exec_lo, s10
	s_cbranch_execz .LBB6_4542
; %bb.4529:                             ;   in Loop: Header=BB6_4515 Depth=2
	v_mov_b32_e32 v5, 0
	s_mov_b32 s41, exec_lo
	v_cmpx_ne_u32_e32 0, v1
	s_cbranch_execz .LBB6_4541
; %bb.4530:                             ;   in Loop: Header=BB6_4515 Depth=2
	v_bfe_u32 v4, v1, 23, 8
	v_and_b32_e32 v1, 0x7fffff, v1
	s_mov_b32 s42, exec_lo
	s_delay_alu instid0(VALU_DEP_2) | instskip(NEXT) | instid1(VALU_DEP_2)
	v_cmp_gt_u32_e32 vcc_lo, 0x7a, v4
	v_or_b32_e32 v8, 0x800000, v1
	v_sub_nc_u32_e32 v5, 0x79, v4
	s_delay_alu instid0(VALU_DEP_1) | instskip(SKIP_1) | instid1(VALU_DEP_2)
	v_cndmask_b32_e32 v5, 0, v5, vcc_lo
	v_cmp_eq_u32_e32 vcc_lo, 0, v4
	v_cndmask_b32_e64 v5, v5, 0x78, vcc_lo
	v_cndmask_b32_e32 v54, v8, v1, vcc_lo
	s_delay_alu instid0(VALU_DEP_2) | instskip(NEXT) | instid1(VALU_DEP_2)
	v_dual_add_nc_u32 v6, 20, v5 :: v_dual_add_nc_u32 v9, 19, v5
	v_lshrrev_b64 v[16:17], v5, v[54:55]
	s_delay_alu instid0(VALU_DEP_2) | instskip(NEXT) | instid1(VALU_DEP_3)
	v_lshlrev_b64_e64 v[6:7], v6, -1
	v_lshlrev_b64_e64 v[8:9], v9, 1
	s_delay_alu instid0(VALU_DEP_3) | instskip(NEXT) | instid1(VALU_DEP_3)
	v_mov_b64_e32 v[18:19], v[16:17]
	v_bfi_b32 v7, v7, 0, 0
	s_delay_alu instid0(VALU_DEP_4) | instskip(NEXT) | instid1(VALU_DEP_1)
	v_bfi_b32 v6, v6, 0, v54
	v_cmpx_eq_u64_e64 v[6:7], v[8:9]
; %bb.4531:                             ;   in Loop: Header=BB6_4515 Depth=2
	v_bfe_u32 v54, v16, 20, 1
	s_delay_alu instid0(VALU_DEP_1) | instskip(NEXT) | instid1(VALU_DEP_1)
	v_add_nc_u64_e32 v[6:7], v[16:17], v[54:55]
	v_add_nc_u64_e32 v[18:19], -1, v[6:7]
; %bb.4532:                             ;   in Loop: Header=BB6_4515 Depth=2
	s_or_b32 exec_lo, exec_lo, s42
	v_add_nc_u32_e32 v1, 0xffffff81, v4
	v_lshrrev_b32_e32 v4, 23, v16
	s_mov_b32 s10, exec_lo
	s_delay_alu instid0(VALU_DEP_2) | instskip(NEXT) | instid1(VALU_DEP_1)
	v_cndmask_b32_e64 v1, v1, 0xffffff82, vcc_lo
	v_add3_u32 v4, v5, v1, v4
	v_and_b32_e32 v1, 0xfffff, v18
	s_delay_alu instid0(VALU_DEP_2) | instskip(NEXT) | instid1(VALU_DEP_2)
	v_add_nc_u32_e32 v5, 6, v4
	v_add_nc_u32_e32 v54, v1, v16
                                        ; implicit-def: $vgpr16_vgpr17
                                        ; implicit-def: $vgpr1
	s_delay_alu instid0(VALU_DEP_2)
	v_cmpx_ne_u32_e32 0, v5
	s_xor_b32 s10, exec_lo, s10
; %bb.4533:                             ;   in Loop: Header=BB6_4515 Depth=2
	s_delay_alu instid0(VALU_DEP_2) | instskip(SKIP_2) | instid1(VALU_DEP_2)
	v_cmp_lt_u64_e32 vcc_lo, 0xffffff, v[54:55]
	v_add_nc_u32_e32 v1, 7, v4
	v_cndmask_b32_e64 v4, 0, 1, vcc_lo
	v_cndmask_b32_e32 v1, v5, v1, vcc_lo
	s_delay_alu instid0(VALU_DEP_2)
	v_lshrrev_b64 v[16:17], v4, v[54:55]
; %bb.4534:                             ;   in Loop: Header=BB6_4515 Depth=2
	s_and_not1_saveexec_b32 s10, s10
; %bb.4535:                             ;   in Loop: Header=BB6_4515 Depth=2
	v_mov_b64_e32 v[16:17], v[54:55]
	v_bfe_u32 v1, v54, 23, 1
; %bb.4536:                             ;   in Loop: Header=BB6_4515 Depth=2
	s_or_b32 exec_lo, exec_lo, s10
	s_delay_alu instid0(VALU_DEP_2) | instskip(NEXT) | instid1(VALU_DEP_2)
	v_lshrrev_b64 v[4:5], 20, v[16:17]
	v_cmp_gt_i32_e32 vcc_lo, 16, v1
	v_cmp_ne_u32_e64 s10, 0, v1
	s_delay_alu instid0(VALU_DEP_3) | instskip(NEXT) | instid1(VALU_DEP_1)
	v_dual_cndmask_b32 v17, 0, v5 :: v_dual_cndmask_b32 v16, 7, v4
                                        ; implicit-def: $vgpr5
	v_cmp_ne_u64_e32 vcc_lo, 0, v[16:17]
	s_or_b32 s10, s10, vcc_lo
	s_delay_alu instid0(SALU_CYCLE_1) | instskip(NEXT) | instid1(SALU_CYCLE_1)
	s_and_saveexec_b32 s42, s10
	s_xor_b32 s10, exec_lo, s42
; %bb.4537:                             ;   in Loop: Header=BB6_4515 Depth=2
	v_min_i32_e32 v1, 15, v1
	s_delay_alu instid0(VALU_DEP_1) | instskip(NEXT) | instid1(VALU_DEP_1)
	v_lshl_or_b32 v0, v1, 3, v0
	v_and_or_b32 v5, v16, 7, v0
                                        ; implicit-def: $vgpr0
; %bb.4538:                             ;   in Loop: Header=BB6_4515 Depth=2
	s_and_not1_saveexec_b32 s10, s10
; %bb.4539:                             ;   in Loop: Header=BB6_4515 Depth=2
	v_mov_b32_e32 v5, v0
; %bb.4540:                             ;   in Loop: Header=BB6_4515 Depth=2
	s_or_b32 exec_lo, exec_lo, s10
.LBB6_4541:                             ;   in Loop: Header=BB6_4515 Depth=2
	s_delay_alu instid0(SALU_CYCLE_1)
	s_or_b32 exec_lo, exec_lo, s41
                                        ; implicit-def: $vgpr0
.LBB6_4542:                             ;   in Loop: Header=BB6_4515 Depth=2
	s_and_not1_saveexec_b32 s10, s40
; %bb.4543:                             ;   in Loop: Header=BB6_4515 Depth=2
	v_or_b32_e32 v5, 0x7e, v0
; %bb.4544:                             ;   in Loop: Header=BB6_4515 Depth=2
	s_or_b32 exec_lo, exec_lo, s10
                                        ; implicit-def: $vgpr0
.LBB6_4545:                             ;   in Loop: Header=BB6_4515 Depth=2
	s_and_not1_saveexec_b32 s10, s11
; %bb.4546:                             ;   in Loop: Header=BB6_4515 Depth=2
	v_or_b32_e32 v5, 0x7f, v0
; %bb.4547:                             ;   in Loop: Header=BB6_4515 Depth=2
	s_or_b32 exec_lo, exec_lo, s10
	flat_load_u8 v0, v[10:11] offset:32 th:TH_LOAD_NT
	v_mov_b32_e32 v1, 0
	s_mov_b32 s10, exec_lo
	s_wait_loadcnt_dscnt 0x0
	s_wait_xcnt 0x0
	v_cmpx_ne_u16_e32 0, v0
	s_cbranch_execz .LBB6_4555
; %bb.4548:                             ;   in Loop: Header=BB6_4515 Depth=2
	v_bfrev_b32_e32 v1, 1
	s_mov_b32 s11, exec_lo
	v_cmpx_ne_u16_e32 0x80, v0
	s_cbranch_execz .LBB6_4554
; %bb.4549:                             ;   in Loop: Header=BB6_4515 Depth=2
	v_and_b32_e32 v6, 0xffff, v0
	v_mov_b32_e32 v1, 0x7f800001
	s_mov_b32 s40, exec_lo
	s_delay_alu instid0(VALU_DEP_2) | instskip(NEXT) | instid1(VALU_DEP_1)
	v_and_b32_e32 v4, 0x7f, v6
	v_cmpx_ne_u32_e32 0x7f, v4
	s_cbranch_execz .LBB6_4553
; %bb.4550:                             ;   in Loop: Header=BB6_4515 Depth=2
	v_dual_lshrrev_b32 v1, 3, v4 :: v_dual_bitop2_b32 v54, 7, v6 bitop3:0x40
	s_mov_b32 s41, exec_lo
	s_delay_alu instid0(VALU_DEP_1)
	v_mov_b64_e32 v[16:17], v[54:55]
	v_cmpx_gt_u32_e32 8, v4
; %bb.4551:                             ;   in Loop: Header=BB6_4515 Depth=2
	v_clz_i32_u32_e32 v1, v54
	s_delay_alu instid0(VALU_DEP_1) | instskip(NEXT) | instid1(VALU_DEP_1)
	v_min_u32_e32 v1, 32, v1
	v_subrev_nc_u32_e32 v4, 28, v1
	s_delay_alu instid0(VALU_DEP_1) | instskip(NEXT) | instid1(VALU_DEP_1)
	v_lshlrev_b64_e32 v[6:7], v4, v[54:55]
	v_dual_sub_nc_u32 v1, 29, v1 :: v_dual_bitop2_b32 v16, 7, v6 bitop3:0x40
; %bb.4552:                             ;   in Loop: Header=BB6_4515 Depth=2
	s_or_b32 exec_lo, exec_lo, s41
	v_lshlrev_b32_e32 v0, 24, v0
	s_delay_alu instid0(VALU_DEP_2) | instskip(NEXT) | instid1(VALU_DEP_3)
	v_lshlrev_b32_e32 v4, 20, v16
	v_lshl_add_u32 v1, v1, 23, 0x3c000000
	s_delay_alu instid0(VALU_DEP_3) | instskip(NEXT) | instid1(VALU_DEP_1)
	v_and_b32_e32 v0, 0x80000000, v0
	v_or3_b32 v1, v4, v0, v1
.LBB6_4553:                             ;   in Loop: Header=BB6_4515 Depth=2
	s_or_b32 exec_lo, exec_lo, s40
.LBB6_4554:                             ;   in Loop: Header=BB6_4515 Depth=2
	s_delay_alu instid0(SALU_CYCLE_1)
	s_or_b32 exec_lo, exec_lo, s11
.LBB6_4555:                             ;   in Loop: Header=BB6_4515 Depth=2
	s_delay_alu instid0(SALU_CYCLE_1) | instskip(NEXT) | instid1(VALU_DEP_1)
	s_or_b32 exec_lo, exec_lo, s10
	v_mul_f32_e32 v1, s29, v1
                                        ; implicit-def: $vgpr26
	s_mov_b32 s10, exec_lo
	s_delay_alu instid0(VALU_DEP_1) | instskip(SKIP_1) | instid1(VALU_DEP_2)
	v_and_b32_e32 v54, 0x7f800000, v1
	v_lshrrev_b32_e32 v0, 24, v1
	v_cmpx_ne_u64_e32 0x7f800000, v[54:55]
	s_xor_b32 s11, exec_lo, s10
	s_cbranch_execz .LBB6_4573
; %bb.4556:                             ;   in Loop: Header=BB6_4515 Depth=2
	v_and_b32_e32 v54, 0x7fffffff, v1
	v_and_b32_e32 v0, 0x80, v0
                                        ; implicit-def: $vgpr26
	s_mov_b32 s10, exec_lo
	s_delay_alu instid0(VALU_DEP_2)
	v_cmpx_gt_u64_e32 0x43e00001, v[54:55]
	s_xor_b32 s40, exec_lo, s10
	s_cbranch_execz .LBB6_4570
; %bb.4557:                             ;   in Loop: Header=BB6_4515 Depth=2
	v_mov_b32_e32 v26, 0
	s_mov_b32 s41, exec_lo
	v_cmpx_ne_u32_e32 0, v1
	s_cbranch_execz .LBB6_4569
; %bb.4558:                             ;   in Loop: Header=BB6_4515 Depth=2
	v_bfe_u32 v4, v1, 23, 8
	v_and_b32_e32 v1, 0x7fffff, v1
	s_delay_alu instid0(VALU_DEP_2) | instskip(SKIP_1) | instid1(VALU_DEP_3)
	v_sub_nc_u32_e32 v6, 0x79, v4
	v_cmp_gt_u32_e32 vcc_lo, 0x7a, v4
	v_or_b32_e32 v16, 0x800000, v1
	s_delay_alu instid0(VALU_DEP_3) | instskip(SKIP_1) | instid1(VALU_DEP_3)
	v_cndmask_b32_e32 v6, 0, v6, vcc_lo
	v_cmp_eq_u32_e32 vcc_lo, 0, v4
	v_cndmask_b32_e32 v54, v16, v1, vcc_lo
	s_delay_alu instid0(VALU_DEP_3) | instskip(NEXT) | instid1(VALU_DEP_1)
	v_cndmask_b32_e64 v6, v6, 0x78, vcc_lo
	v_add_nc_u32_e32 v7, 20, v6
	s_delay_alu instid0(VALU_DEP_3) | instskip(NEXT) | instid1(VALU_DEP_2)
	v_lshrrev_b64 v[16:17], v6, v[54:55]
	v_lshlrev_b64_e64 v[8:9], v7, -1
	v_add_nc_u32_e32 v7, 19, v6
	s_delay_alu instid0(VALU_DEP_1) | instskip(NEXT) | instid1(VALU_DEP_3)
	v_lshlrev_b64_e64 v[18:19], v7, 1
	v_bfi_b32 v9, v9, 0, 0
	s_delay_alu instid0(VALU_DEP_4) | instskip(NEXT) | instid1(VALU_DEP_1)
	v_bfi_b32 v8, v8, 0, v54
	v_cmp_eq_u64_e64 s10, v[8:9], v[18:19]
	v_mov_b64_e32 v[18:19], v[16:17]
	s_and_saveexec_b32 s42, s10
; %bb.4559:                             ;   in Loop: Header=BB6_4515 Depth=2
	v_bfe_u32 v54, v16, 20, 1
	s_delay_alu instid0(VALU_DEP_1) | instskip(NEXT) | instid1(VALU_DEP_1)
	v_add_nc_u64_e32 v[8:9], v[16:17], v[54:55]
	v_add_nc_u64_e32 v[18:19], -1, v[8:9]
; %bb.4560:                             ;   in Loop: Header=BB6_4515 Depth=2
	s_or_b32 exec_lo, exec_lo, s42
	v_add_nc_u32_e32 v1, 0xffffff81, v4
	v_lshrrev_b32_e32 v4, 23, v16
	s_mov_b32 s10, exec_lo
	s_delay_alu instid0(VALU_DEP_2) | instskip(NEXT) | instid1(VALU_DEP_1)
	v_cndmask_b32_e64 v1, v1, 0xffffff82, vcc_lo
	v_add3_u32 v4, v6, v1, v4
	v_and_b32_e32 v1, 0xfffff, v18
	s_delay_alu instid0(VALU_DEP_2) | instskip(NEXT) | instid1(VALU_DEP_2)
	v_add_nc_u32_e32 v6, 6, v4
	v_add_nc_u32_e32 v54, v1, v16
                                        ; implicit-def: $vgpr16_vgpr17
                                        ; implicit-def: $vgpr1
	s_delay_alu instid0(VALU_DEP_2)
	v_cmpx_ne_u32_e32 0, v6
	s_xor_b32 s10, exec_lo, s10
; %bb.4561:                             ;   in Loop: Header=BB6_4515 Depth=2
	s_delay_alu instid0(VALU_DEP_2) | instskip(SKIP_2) | instid1(VALU_DEP_2)
	v_cmp_lt_u64_e32 vcc_lo, 0xffffff, v[54:55]
	v_add_nc_u32_e32 v1, 7, v4
	v_cndmask_b32_e64 v4, 0, 1, vcc_lo
	v_cndmask_b32_e32 v1, v6, v1, vcc_lo
	s_delay_alu instid0(VALU_DEP_2)
	v_lshrrev_b64 v[16:17], v4, v[54:55]
; %bb.4562:                             ;   in Loop: Header=BB6_4515 Depth=2
	s_and_not1_saveexec_b32 s10, s10
; %bb.4563:                             ;   in Loop: Header=BB6_4515 Depth=2
	v_mov_b64_e32 v[16:17], v[54:55]
	v_bfe_u32 v1, v54, 23, 1
; %bb.4564:                             ;   in Loop: Header=BB6_4515 Depth=2
	s_or_b32 exec_lo, exec_lo, s10
	s_delay_alu instid0(VALU_DEP_2) | instskip(NEXT) | instid1(VALU_DEP_2)
	v_lshrrev_b64 v[6:7], 20, v[16:17]
	v_cmp_gt_i32_e32 vcc_lo, 16, v1
	v_cmp_ne_u32_e64 s10, 0, v1
                                        ; implicit-def: $vgpr26
	s_delay_alu instid0(VALU_DEP_3) | instskip(NEXT) | instid1(VALU_DEP_1)
	v_dual_cndmask_b32 v17, 0, v7 :: v_dual_cndmask_b32 v16, 7, v6
	v_cmp_ne_u64_e32 vcc_lo, 0, v[16:17]
	s_or_b32 s10, s10, vcc_lo
	s_delay_alu instid0(SALU_CYCLE_1) | instskip(NEXT) | instid1(SALU_CYCLE_1)
	s_and_saveexec_b32 s42, s10
	s_xor_b32 s10, exec_lo, s42
; %bb.4565:                             ;   in Loop: Header=BB6_4515 Depth=2
	v_min_i32_e32 v1, 15, v1
	s_delay_alu instid0(VALU_DEP_1) | instskip(NEXT) | instid1(VALU_DEP_1)
	v_lshl_or_b32 v0, v1, 3, v0
	v_and_or_b32 v26, v16, 7, v0
                                        ; implicit-def: $vgpr0
; %bb.4566:                             ;   in Loop: Header=BB6_4515 Depth=2
	s_and_not1_saveexec_b32 s10, s10
; %bb.4567:                             ;   in Loop: Header=BB6_4515 Depth=2
	v_mov_b32_e32 v26, v0
; %bb.4568:                             ;   in Loop: Header=BB6_4515 Depth=2
	s_or_b32 exec_lo, exec_lo, s10
.LBB6_4569:                             ;   in Loop: Header=BB6_4515 Depth=2
	s_delay_alu instid0(SALU_CYCLE_1)
	s_or_b32 exec_lo, exec_lo, s41
                                        ; implicit-def: $vgpr0
.LBB6_4570:                             ;   in Loop: Header=BB6_4515 Depth=2
	s_and_not1_saveexec_b32 s10, s40
; %bb.4571:                             ;   in Loop: Header=BB6_4515 Depth=2
	v_or_b32_e32 v26, 0x7e, v0
; %bb.4572:                             ;   in Loop: Header=BB6_4515 Depth=2
	s_or_b32 exec_lo, exec_lo, s10
                                        ; implicit-def: $vgpr0
.LBB6_4573:                             ;   in Loop: Header=BB6_4515 Depth=2
	s_and_not1_saveexec_b32 s10, s11
; %bb.4574:                             ;   in Loop: Header=BB6_4515 Depth=2
	v_or_b32_e32 v26, 0x7f, v0
; %bb.4575:                             ;   in Loop: Header=BB6_4515 Depth=2
	s_or_b32 exec_lo, exec_lo, s10
	flat_load_u8 v0, v[10:11] offset:64 th:TH_LOAD_NT
	v_mov_b32_e32 v1, 0
	s_mov_b32 s10, exec_lo
	s_wait_loadcnt_dscnt 0x0
	s_wait_xcnt 0x0
	v_cmpx_ne_u16_e32 0, v0
	s_cbranch_execz .LBB6_4583
; %bb.4576:                             ;   in Loop: Header=BB6_4515 Depth=2
	v_bfrev_b32_e32 v1, 1
	s_mov_b32 s11, exec_lo
	v_cmpx_ne_u16_e32 0x80, v0
	s_cbranch_execz .LBB6_4582
; %bb.4577:                             ;   in Loop: Header=BB6_4515 Depth=2
	v_and_b32_e32 v6, 0xffff, v0
	v_mov_b32_e32 v1, 0x7f800001
	s_mov_b32 s40, exec_lo
	s_delay_alu instid0(VALU_DEP_2) | instskip(NEXT) | instid1(VALU_DEP_1)
	v_and_b32_e32 v4, 0x7f, v6
	v_cmpx_ne_u32_e32 0x7f, v4
	s_cbranch_execz .LBB6_4581
; %bb.4578:                             ;   in Loop: Header=BB6_4515 Depth=2
	v_dual_lshrrev_b32 v1, 3, v4 :: v_dual_bitop2_b32 v54, 7, v6 bitop3:0x40
	s_mov_b32 s41, exec_lo
	s_delay_alu instid0(VALU_DEP_1)
	v_mov_b64_e32 v[16:17], v[54:55]
	v_cmpx_gt_u32_e32 8, v4
; %bb.4579:                             ;   in Loop: Header=BB6_4515 Depth=2
	v_clz_i32_u32_e32 v1, v54
	s_delay_alu instid0(VALU_DEP_1) | instskip(NEXT) | instid1(VALU_DEP_1)
	v_min_u32_e32 v1, 32, v1
	v_subrev_nc_u32_e32 v4, 28, v1
	s_delay_alu instid0(VALU_DEP_1) | instskip(NEXT) | instid1(VALU_DEP_1)
	v_lshlrev_b64_e32 v[6:7], v4, v[54:55]
	v_dual_sub_nc_u32 v1, 29, v1 :: v_dual_bitop2_b32 v16, 7, v6 bitop3:0x40
; %bb.4580:                             ;   in Loop: Header=BB6_4515 Depth=2
	s_or_b32 exec_lo, exec_lo, s41
	v_lshlrev_b32_e32 v0, 24, v0
	s_delay_alu instid0(VALU_DEP_2) | instskip(NEXT) | instid1(VALU_DEP_3)
	v_lshlrev_b32_e32 v4, 20, v16
	v_lshl_add_u32 v1, v1, 23, 0x3c000000
	s_delay_alu instid0(VALU_DEP_3) | instskip(NEXT) | instid1(VALU_DEP_1)
	v_and_b32_e32 v0, 0x80000000, v0
	v_or3_b32 v1, v4, v0, v1
.LBB6_4581:                             ;   in Loop: Header=BB6_4515 Depth=2
	s_or_b32 exec_lo, exec_lo, s40
.LBB6_4582:                             ;   in Loop: Header=BB6_4515 Depth=2
	s_delay_alu instid0(SALU_CYCLE_1)
	s_or_b32 exec_lo, exec_lo, s11
.LBB6_4583:                             ;   in Loop: Header=BB6_4515 Depth=2
	s_delay_alu instid0(SALU_CYCLE_1) | instskip(NEXT) | instid1(VALU_DEP_1)
	s_or_b32 exec_lo, exec_lo, s10
	v_mul_f32_e32 v1, s29, v1
                                        ; implicit-def: $vgpr36
	s_mov_b32 s10, exec_lo
	s_delay_alu instid0(VALU_DEP_1) | instskip(SKIP_1) | instid1(VALU_DEP_2)
	v_and_b32_e32 v54, 0x7f800000, v1
	v_lshrrev_b32_e32 v0, 24, v1
	v_cmpx_ne_u64_e32 0x7f800000, v[54:55]
	s_xor_b32 s11, exec_lo, s10
	s_cbranch_execz .LBB6_4601
; %bb.4584:                             ;   in Loop: Header=BB6_4515 Depth=2
	v_and_b32_e32 v54, 0x7fffffff, v1
	v_and_b32_e32 v0, 0x80, v0
                                        ; implicit-def: $vgpr36
	s_mov_b32 s10, exec_lo
	s_delay_alu instid0(VALU_DEP_2)
	v_cmpx_gt_u64_e32 0x43e00001, v[54:55]
	s_xor_b32 s40, exec_lo, s10
	s_cbranch_execz .LBB6_4598
; %bb.4585:                             ;   in Loop: Header=BB6_4515 Depth=2
	v_mov_b32_e32 v36, 0
	s_mov_b32 s41, exec_lo
	v_cmpx_ne_u32_e32 0, v1
	s_cbranch_execz .LBB6_4597
; %bb.4586:                             ;   in Loop: Header=BB6_4515 Depth=2
	v_bfe_u32 v4, v1, 23, 8
	v_and_b32_e32 v1, 0x7fffff, v1
	s_delay_alu instid0(VALU_DEP_2) | instskip(SKIP_1) | instid1(VALU_DEP_3)
	v_sub_nc_u32_e32 v6, 0x79, v4
	v_cmp_gt_u32_e32 vcc_lo, 0x7a, v4
	v_or_b32_e32 v16, 0x800000, v1
	s_delay_alu instid0(VALU_DEP_3) | instskip(SKIP_1) | instid1(VALU_DEP_3)
	v_cndmask_b32_e32 v6, 0, v6, vcc_lo
	v_cmp_eq_u32_e32 vcc_lo, 0, v4
	v_cndmask_b32_e32 v54, v16, v1, vcc_lo
	s_delay_alu instid0(VALU_DEP_3) | instskip(NEXT) | instid1(VALU_DEP_1)
	v_cndmask_b32_e64 v6, v6, 0x78, vcc_lo
	v_add_nc_u32_e32 v7, 20, v6
	s_delay_alu instid0(VALU_DEP_3) | instskip(NEXT) | instid1(VALU_DEP_2)
	v_lshrrev_b64 v[16:17], v6, v[54:55]
	v_lshlrev_b64_e64 v[8:9], v7, -1
	v_add_nc_u32_e32 v7, 19, v6
	s_delay_alu instid0(VALU_DEP_1) | instskip(NEXT) | instid1(VALU_DEP_3)
	v_lshlrev_b64_e64 v[18:19], v7, 1
	v_bfi_b32 v9, v9, 0, 0
	s_delay_alu instid0(VALU_DEP_4) | instskip(NEXT) | instid1(VALU_DEP_1)
	v_bfi_b32 v8, v8, 0, v54
	v_cmp_eq_u64_e64 s10, v[8:9], v[18:19]
	v_mov_b64_e32 v[18:19], v[16:17]
	s_and_saveexec_b32 s42, s10
; %bb.4587:                             ;   in Loop: Header=BB6_4515 Depth=2
	v_bfe_u32 v54, v16, 20, 1
	s_delay_alu instid0(VALU_DEP_1) | instskip(NEXT) | instid1(VALU_DEP_1)
	v_add_nc_u64_e32 v[8:9], v[16:17], v[54:55]
	v_add_nc_u64_e32 v[18:19], -1, v[8:9]
; %bb.4588:                             ;   in Loop: Header=BB6_4515 Depth=2
	s_or_b32 exec_lo, exec_lo, s42
	v_add_nc_u32_e32 v1, 0xffffff81, v4
	v_lshrrev_b32_e32 v4, 23, v16
	s_mov_b32 s10, exec_lo
	s_delay_alu instid0(VALU_DEP_2) | instskip(NEXT) | instid1(VALU_DEP_1)
	v_cndmask_b32_e64 v1, v1, 0xffffff82, vcc_lo
	v_add3_u32 v4, v6, v1, v4
	v_and_b32_e32 v1, 0xfffff, v18
	s_delay_alu instid0(VALU_DEP_2) | instskip(NEXT) | instid1(VALU_DEP_2)
	v_add_nc_u32_e32 v6, 6, v4
	v_add_nc_u32_e32 v54, v1, v16
                                        ; implicit-def: $vgpr16_vgpr17
                                        ; implicit-def: $vgpr1
	s_delay_alu instid0(VALU_DEP_2)
	v_cmpx_ne_u32_e32 0, v6
	s_xor_b32 s10, exec_lo, s10
; %bb.4589:                             ;   in Loop: Header=BB6_4515 Depth=2
	s_delay_alu instid0(VALU_DEP_2) | instskip(SKIP_2) | instid1(VALU_DEP_2)
	v_cmp_lt_u64_e32 vcc_lo, 0xffffff, v[54:55]
	v_add_nc_u32_e32 v1, 7, v4
	v_cndmask_b32_e64 v4, 0, 1, vcc_lo
	v_cndmask_b32_e32 v1, v6, v1, vcc_lo
	s_delay_alu instid0(VALU_DEP_2)
	v_lshrrev_b64 v[16:17], v4, v[54:55]
; %bb.4590:                             ;   in Loop: Header=BB6_4515 Depth=2
	s_and_not1_saveexec_b32 s10, s10
; %bb.4591:                             ;   in Loop: Header=BB6_4515 Depth=2
	v_mov_b64_e32 v[16:17], v[54:55]
	v_bfe_u32 v1, v54, 23, 1
; %bb.4592:                             ;   in Loop: Header=BB6_4515 Depth=2
	s_or_b32 exec_lo, exec_lo, s10
	s_delay_alu instid0(VALU_DEP_2) | instskip(NEXT) | instid1(VALU_DEP_2)
	v_lshrrev_b64 v[6:7], 20, v[16:17]
	v_cmp_gt_i32_e32 vcc_lo, 16, v1
	v_cmp_ne_u32_e64 s10, 0, v1
                                        ; implicit-def: $vgpr36
	s_delay_alu instid0(VALU_DEP_3) | instskip(NEXT) | instid1(VALU_DEP_1)
	v_dual_cndmask_b32 v17, 0, v7 :: v_dual_cndmask_b32 v16, 7, v6
	v_cmp_ne_u64_e32 vcc_lo, 0, v[16:17]
	s_or_b32 s10, s10, vcc_lo
	s_delay_alu instid0(SALU_CYCLE_1) | instskip(NEXT) | instid1(SALU_CYCLE_1)
	s_and_saveexec_b32 s42, s10
	s_xor_b32 s10, exec_lo, s42
; %bb.4593:                             ;   in Loop: Header=BB6_4515 Depth=2
	v_min_i32_e32 v1, 15, v1
	s_delay_alu instid0(VALU_DEP_1) | instskip(NEXT) | instid1(VALU_DEP_1)
	v_lshl_or_b32 v0, v1, 3, v0
	v_and_or_b32 v36, v16, 7, v0
                                        ; implicit-def: $vgpr0
; %bb.4594:                             ;   in Loop: Header=BB6_4515 Depth=2
	s_and_not1_saveexec_b32 s10, s10
; %bb.4595:                             ;   in Loop: Header=BB6_4515 Depth=2
	v_mov_b32_e32 v36, v0
; %bb.4596:                             ;   in Loop: Header=BB6_4515 Depth=2
	s_or_b32 exec_lo, exec_lo, s10
.LBB6_4597:                             ;   in Loop: Header=BB6_4515 Depth=2
	s_delay_alu instid0(SALU_CYCLE_1)
	s_or_b32 exec_lo, exec_lo, s41
                                        ; implicit-def: $vgpr0
.LBB6_4598:                             ;   in Loop: Header=BB6_4515 Depth=2
	s_and_not1_saveexec_b32 s10, s40
; %bb.4599:                             ;   in Loop: Header=BB6_4515 Depth=2
	v_or_b32_e32 v36, 0x7e, v0
; %bb.4600:                             ;   in Loop: Header=BB6_4515 Depth=2
	s_or_b32 exec_lo, exec_lo, s10
                                        ; implicit-def: $vgpr0
.LBB6_4601:                             ;   in Loop: Header=BB6_4515 Depth=2
	s_and_not1_saveexec_b32 s10, s11
; %bb.4602:                             ;   in Loop: Header=BB6_4515 Depth=2
	v_or_b32_e32 v36, 0x7f, v0
; %bb.4603:                             ;   in Loop: Header=BB6_4515 Depth=2
	s_or_b32 exec_lo, exec_lo, s10
	flat_load_u8 v0, v[10:11] offset:96 th:TH_LOAD_NT
	v_mov_b32_e32 v1, 0
	s_mov_b32 s10, exec_lo
	s_wait_loadcnt_dscnt 0x0
	s_wait_xcnt 0x0
	v_cmpx_ne_u16_e32 0, v0
	s_cbranch_execz .LBB6_4611
; %bb.4604:                             ;   in Loop: Header=BB6_4515 Depth=2
	v_bfrev_b32_e32 v1, 1
	s_mov_b32 s11, exec_lo
	v_cmpx_ne_u16_e32 0x80, v0
	s_cbranch_execz .LBB6_4610
; %bb.4605:                             ;   in Loop: Header=BB6_4515 Depth=2
	v_and_b32_e32 v6, 0xffff, v0
	v_mov_b32_e32 v1, 0x7f800001
	s_mov_b32 s40, exec_lo
	s_delay_alu instid0(VALU_DEP_2) | instskip(NEXT) | instid1(VALU_DEP_1)
	v_and_b32_e32 v4, 0x7f, v6
	v_cmpx_ne_u32_e32 0x7f, v4
	s_cbranch_execz .LBB6_4609
; %bb.4606:                             ;   in Loop: Header=BB6_4515 Depth=2
	v_dual_lshrrev_b32 v1, 3, v4 :: v_dual_bitop2_b32 v54, 7, v6 bitop3:0x40
	s_mov_b32 s41, exec_lo
	s_delay_alu instid0(VALU_DEP_1)
	v_mov_b64_e32 v[16:17], v[54:55]
	v_cmpx_gt_u32_e32 8, v4
; %bb.4607:                             ;   in Loop: Header=BB6_4515 Depth=2
	v_clz_i32_u32_e32 v1, v54
	s_delay_alu instid0(VALU_DEP_1) | instskip(NEXT) | instid1(VALU_DEP_1)
	v_min_u32_e32 v1, 32, v1
	v_subrev_nc_u32_e32 v4, 28, v1
	s_delay_alu instid0(VALU_DEP_1) | instskip(NEXT) | instid1(VALU_DEP_1)
	v_lshlrev_b64_e32 v[6:7], v4, v[54:55]
	v_dual_sub_nc_u32 v1, 29, v1 :: v_dual_bitop2_b32 v16, 7, v6 bitop3:0x40
; %bb.4608:                             ;   in Loop: Header=BB6_4515 Depth=2
	s_or_b32 exec_lo, exec_lo, s41
	v_lshlrev_b32_e32 v0, 24, v0
	s_delay_alu instid0(VALU_DEP_2) | instskip(NEXT) | instid1(VALU_DEP_3)
	v_lshlrev_b32_e32 v4, 20, v16
	v_lshl_add_u32 v1, v1, 23, 0x3c000000
	s_delay_alu instid0(VALU_DEP_3) | instskip(NEXT) | instid1(VALU_DEP_1)
	v_and_b32_e32 v0, 0x80000000, v0
	v_or3_b32 v1, v4, v0, v1
.LBB6_4609:                             ;   in Loop: Header=BB6_4515 Depth=2
	s_or_b32 exec_lo, exec_lo, s40
.LBB6_4610:                             ;   in Loop: Header=BB6_4515 Depth=2
	s_delay_alu instid0(SALU_CYCLE_1)
	s_or_b32 exec_lo, exec_lo, s11
.LBB6_4611:                             ;   in Loop: Header=BB6_4515 Depth=2
	s_delay_alu instid0(SALU_CYCLE_1) | instskip(NEXT) | instid1(VALU_DEP_1)
	s_or_b32 exec_lo, exec_lo, s10
	v_mul_f32_e32 v1, s29, v1
                                        ; implicit-def: $vgpr53
	s_mov_b32 s10, exec_lo
	s_delay_alu instid0(VALU_DEP_1) | instskip(SKIP_1) | instid1(VALU_DEP_2)
	v_and_b32_e32 v54, 0x7f800000, v1
	v_lshrrev_b32_e32 v0, 24, v1
	v_cmpx_ne_u64_e32 0x7f800000, v[54:55]
	s_xor_b32 s11, exec_lo, s10
	s_cbranch_execz .LBB6_4629
; %bb.4612:                             ;   in Loop: Header=BB6_4515 Depth=2
	v_and_b32_e32 v54, 0x7fffffff, v1
	v_and_b32_e32 v0, 0x80, v0
                                        ; implicit-def: $vgpr53
	s_mov_b32 s10, exec_lo
	s_delay_alu instid0(VALU_DEP_2)
	v_cmpx_gt_u64_e32 0x43e00001, v[54:55]
	s_xor_b32 s40, exec_lo, s10
	s_cbranch_execz .LBB6_4626
; %bb.4613:                             ;   in Loop: Header=BB6_4515 Depth=2
	v_mov_b32_e32 v53, 0
	s_mov_b32 s41, exec_lo
	v_cmpx_ne_u32_e32 0, v1
	s_cbranch_execz .LBB6_4625
; %bb.4614:                             ;   in Loop: Header=BB6_4515 Depth=2
	v_bfe_u32 v4, v1, 23, 8
	v_and_b32_e32 v1, 0x7fffff, v1
	s_delay_alu instid0(VALU_DEP_2) | instskip(SKIP_1) | instid1(VALU_DEP_3)
	v_sub_nc_u32_e32 v6, 0x79, v4
	v_cmp_gt_u32_e32 vcc_lo, 0x7a, v4
	v_or_b32_e32 v16, 0x800000, v1
	s_delay_alu instid0(VALU_DEP_3) | instskip(SKIP_1) | instid1(VALU_DEP_3)
	v_cndmask_b32_e32 v6, 0, v6, vcc_lo
	v_cmp_eq_u32_e32 vcc_lo, 0, v4
	v_cndmask_b32_e32 v54, v16, v1, vcc_lo
	s_delay_alu instid0(VALU_DEP_3) | instskip(NEXT) | instid1(VALU_DEP_1)
	v_cndmask_b32_e64 v6, v6, 0x78, vcc_lo
	v_add_nc_u32_e32 v7, 20, v6
	s_delay_alu instid0(VALU_DEP_3) | instskip(NEXT) | instid1(VALU_DEP_2)
	v_lshrrev_b64 v[16:17], v6, v[54:55]
	v_lshlrev_b64_e64 v[8:9], v7, -1
	v_add_nc_u32_e32 v7, 19, v6
	s_delay_alu instid0(VALU_DEP_1) | instskip(NEXT) | instid1(VALU_DEP_3)
	v_lshlrev_b64_e64 v[18:19], v7, 1
	v_bfi_b32 v9, v9, 0, 0
	s_delay_alu instid0(VALU_DEP_4) | instskip(NEXT) | instid1(VALU_DEP_1)
	v_bfi_b32 v8, v8, 0, v54
	v_cmp_eq_u64_e64 s10, v[8:9], v[18:19]
	v_mov_b64_e32 v[18:19], v[16:17]
	s_and_saveexec_b32 s42, s10
; %bb.4615:                             ;   in Loop: Header=BB6_4515 Depth=2
	v_bfe_u32 v54, v16, 20, 1
	s_delay_alu instid0(VALU_DEP_1) | instskip(NEXT) | instid1(VALU_DEP_1)
	v_add_nc_u64_e32 v[8:9], v[16:17], v[54:55]
	v_add_nc_u64_e32 v[18:19], -1, v[8:9]
; %bb.4616:                             ;   in Loop: Header=BB6_4515 Depth=2
	s_or_b32 exec_lo, exec_lo, s42
	v_add_nc_u32_e32 v1, 0xffffff81, v4
	v_lshrrev_b32_e32 v4, 23, v16
	s_mov_b32 s10, exec_lo
	s_delay_alu instid0(VALU_DEP_2) | instskip(NEXT) | instid1(VALU_DEP_1)
	v_cndmask_b32_e64 v1, v1, 0xffffff82, vcc_lo
	v_add3_u32 v4, v6, v1, v4
	v_and_b32_e32 v1, 0xfffff, v18
	s_delay_alu instid0(VALU_DEP_2) | instskip(NEXT) | instid1(VALU_DEP_2)
	v_add_nc_u32_e32 v6, 6, v4
	v_add_nc_u32_e32 v54, v1, v16
                                        ; implicit-def: $vgpr16_vgpr17
                                        ; implicit-def: $vgpr1
	s_delay_alu instid0(VALU_DEP_2)
	v_cmpx_ne_u32_e32 0, v6
	s_xor_b32 s10, exec_lo, s10
; %bb.4617:                             ;   in Loop: Header=BB6_4515 Depth=2
	s_delay_alu instid0(VALU_DEP_2) | instskip(SKIP_2) | instid1(VALU_DEP_2)
	v_cmp_lt_u64_e32 vcc_lo, 0xffffff, v[54:55]
	v_add_nc_u32_e32 v1, 7, v4
	v_cndmask_b32_e64 v4, 0, 1, vcc_lo
	v_cndmask_b32_e32 v1, v6, v1, vcc_lo
	s_delay_alu instid0(VALU_DEP_2)
	v_lshrrev_b64 v[16:17], v4, v[54:55]
; %bb.4618:                             ;   in Loop: Header=BB6_4515 Depth=2
	s_and_not1_saveexec_b32 s10, s10
; %bb.4619:                             ;   in Loop: Header=BB6_4515 Depth=2
	v_mov_b64_e32 v[16:17], v[54:55]
	v_bfe_u32 v1, v54, 23, 1
; %bb.4620:                             ;   in Loop: Header=BB6_4515 Depth=2
	s_or_b32 exec_lo, exec_lo, s10
	s_delay_alu instid0(VALU_DEP_2) | instskip(NEXT) | instid1(VALU_DEP_2)
	v_lshrrev_b64 v[6:7], 20, v[16:17]
	v_cmp_gt_i32_e32 vcc_lo, 16, v1
	v_cmp_ne_u32_e64 s10, 0, v1
                                        ; implicit-def: $vgpr53
	s_delay_alu instid0(VALU_DEP_3) | instskip(NEXT) | instid1(VALU_DEP_1)
	v_dual_cndmask_b32 v17, 0, v7 :: v_dual_cndmask_b32 v16, 7, v6
	v_cmp_ne_u64_e32 vcc_lo, 0, v[16:17]
	s_or_b32 s10, s10, vcc_lo
	s_delay_alu instid0(SALU_CYCLE_1) | instskip(NEXT) | instid1(SALU_CYCLE_1)
	s_and_saveexec_b32 s42, s10
	s_xor_b32 s10, exec_lo, s42
; %bb.4621:                             ;   in Loop: Header=BB6_4515 Depth=2
	v_min_i32_e32 v1, 15, v1
	s_delay_alu instid0(VALU_DEP_1) | instskip(NEXT) | instid1(VALU_DEP_1)
	v_lshl_or_b32 v0, v1, 3, v0
	v_and_or_b32 v53, v16, 7, v0
                                        ; implicit-def: $vgpr0
; %bb.4622:                             ;   in Loop: Header=BB6_4515 Depth=2
	s_and_not1_saveexec_b32 s10, s10
; %bb.4623:                             ;   in Loop: Header=BB6_4515 Depth=2
	v_mov_b32_e32 v53, v0
; %bb.4624:                             ;   in Loop: Header=BB6_4515 Depth=2
	s_or_b32 exec_lo, exec_lo, s10
.LBB6_4625:                             ;   in Loop: Header=BB6_4515 Depth=2
	s_delay_alu instid0(SALU_CYCLE_1)
	s_or_b32 exec_lo, exec_lo, s41
                                        ; implicit-def: $vgpr0
.LBB6_4626:                             ;   in Loop: Header=BB6_4515 Depth=2
	s_and_not1_saveexec_b32 s10, s40
; %bb.4627:                             ;   in Loop: Header=BB6_4515 Depth=2
	v_or_b32_e32 v53, 0x7e, v0
; %bb.4628:                             ;   in Loop: Header=BB6_4515 Depth=2
	s_or_b32 exec_lo, exec_lo, s10
                                        ; implicit-def: $vgpr0
.LBB6_4629:                             ;   in Loop: Header=BB6_4515 Depth=2
	s_and_not1_saveexec_b32 s10, s11
; %bb.4630:                             ;   in Loop: Header=BB6_4515 Depth=2
	v_or_b32_e32 v53, 0x7f, v0
; %bb.4631:                             ;   in Loop: Header=BB6_4515 Depth=2
	s_or_b32 exec_lo, exec_lo, s10
	flat_load_u8 v0, v[10:11] offset:128 th:TH_LOAD_NT
	v_mov_b32_e32 v1, 0
	s_mov_b32 s10, exec_lo
	s_wait_loadcnt_dscnt 0x0
	s_wait_xcnt 0x0
	v_cmpx_ne_u16_e32 0, v0
	s_cbranch_execz .LBB6_4639
; %bb.4632:                             ;   in Loop: Header=BB6_4515 Depth=2
	v_bfrev_b32_e32 v1, 1
	s_mov_b32 s11, exec_lo
	v_cmpx_ne_u16_e32 0x80, v0
	s_cbranch_execz .LBB6_4638
; %bb.4633:                             ;   in Loop: Header=BB6_4515 Depth=2
	v_and_b32_e32 v6, 0xffff, v0
	v_mov_b32_e32 v1, 0x7f800001
	s_mov_b32 s40, exec_lo
	s_delay_alu instid0(VALU_DEP_2) | instskip(NEXT) | instid1(VALU_DEP_1)
	v_and_b32_e32 v4, 0x7f, v6
	v_cmpx_ne_u32_e32 0x7f, v4
	s_cbranch_execz .LBB6_4637
; %bb.4634:                             ;   in Loop: Header=BB6_4515 Depth=2
	v_dual_lshrrev_b32 v1, 3, v4 :: v_dual_bitop2_b32 v54, 7, v6 bitop3:0x40
	s_mov_b32 s41, exec_lo
	s_delay_alu instid0(VALU_DEP_1)
	v_mov_b64_e32 v[16:17], v[54:55]
	v_cmpx_gt_u32_e32 8, v4
; %bb.4635:                             ;   in Loop: Header=BB6_4515 Depth=2
	v_clz_i32_u32_e32 v1, v54
	s_delay_alu instid0(VALU_DEP_1) | instskip(NEXT) | instid1(VALU_DEP_1)
	v_min_u32_e32 v1, 32, v1
	v_subrev_nc_u32_e32 v4, 28, v1
	s_delay_alu instid0(VALU_DEP_1) | instskip(NEXT) | instid1(VALU_DEP_1)
	v_lshlrev_b64_e32 v[6:7], v4, v[54:55]
	v_dual_sub_nc_u32 v1, 29, v1 :: v_dual_bitop2_b32 v16, 7, v6 bitop3:0x40
; %bb.4636:                             ;   in Loop: Header=BB6_4515 Depth=2
	s_or_b32 exec_lo, exec_lo, s41
	v_lshlrev_b32_e32 v0, 24, v0
	s_delay_alu instid0(VALU_DEP_2) | instskip(NEXT) | instid1(VALU_DEP_3)
	v_lshlrev_b32_e32 v4, 20, v16
	v_lshl_add_u32 v1, v1, 23, 0x3c000000
	s_delay_alu instid0(VALU_DEP_3) | instskip(NEXT) | instid1(VALU_DEP_1)
	v_and_b32_e32 v0, 0x80000000, v0
	v_or3_b32 v1, v4, v0, v1
.LBB6_4637:                             ;   in Loop: Header=BB6_4515 Depth=2
	s_or_b32 exec_lo, exec_lo, s40
.LBB6_4638:                             ;   in Loop: Header=BB6_4515 Depth=2
	s_delay_alu instid0(SALU_CYCLE_1)
	s_or_b32 exec_lo, exec_lo, s11
.LBB6_4639:                             ;   in Loop: Header=BB6_4515 Depth=2
	s_delay_alu instid0(SALU_CYCLE_1) | instskip(NEXT) | instid1(VALU_DEP_1)
	s_or_b32 exec_lo, exec_lo, s10
	v_mul_f32_e32 v1, s29, v1
                                        ; implicit-def: $vgpr100
	s_mov_b32 s10, exec_lo
	s_delay_alu instid0(VALU_DEP_1) | instskip(SKIP_1) | instid1(VALU_DEP_2)
	v_and_b32_e32 v54, 0x7f800000, v1
	v_lshrrev_b32_e32 v0, 24, v1
	v_cmpx_ne_u64_e32 0x7f800000, v[54:55]
	s_xor_b32 s11, exec_lo, s10
	s_cbranch_execz .LBB6_4657
; %bb.4640:                             ;   in Loop: Header=BB6_4515 Depth=2
	v_and_b32_e32 v54, 0x7fffffff, v1
	v_and_b32_e32 v0, 0x80, v0
                                        ; implicit-def: $vgpr100
	s_mov_b32 s10, exec_lo
	s_delay_alu instid0(VALU_DEP_2)
	v_cmpx_gt_u64_e32 0x43e00001, v[54:55]
	s_xor_b32 s40, exec_lo, s10
	s_cbranch_execz .LBB6_4654
; %bb.4641:                             ;   in Loop: Header=BB6_4515 Depth=2
	v_mov_b32_e32 v100, 0
	s_mov_b32 s41, exec_lo
	v_cmpx_ne_u32_e32 0, v1
	s_cbranch_execz .LBB6_4653
; %bb.4642:                             ;   in Loop: Header=BB6_4515 Depth=2
	v_bfe_u32 v4, v1, 23, 8
	v_and_b32_e32 v1, 0x7fffff, v1
	s_delay_alu instid0(VALU_DEP_2) | instskip(SKIP_1) | instid1(VALU_DEP_3)
	v_sub_nc_u32_e32 v6, 0x79, v4
	v_cmp_gt_u32_e32 vcc_lo, 0x7a, v4
	v_or_b32_e32 v16, 0x800000, v1
	s_delay_alu instid0(VALU_DEP_3) | instskip(SKIP_1) | instid1(VALU_DEP_3)
	v_cndmask_b32_e32 v6, 0, v6, vcc_lo
	v_cmp_eq_u32_e32 vcc_lo, 0, v4
	v_cndmask_b32_e32 v54, v16, v1, vcc_lo
	s_delay_alu instid0(VALU_DEP_3) | instskip(NEXT) | instid1(VALU_DEP_1)
	v_cndmask_b32_e64 v6, v6, 0x78, vcc_lo
	v_add_nc_u32_e32 v7, 20, v6
	s_delay_alu instid0(VALU_DEP_3) | instskip(NEXT) | instid1(VALU_DEP_2)
	v_lshrrev_b64 v[16:17], v6, v[54:55]
	v_lshlrev_b64_e64 v[8:9], v7, -1
	v_add_nc_u32_e32 v7, 19, v6
	s_delay_alu instid0(VALU_DEP_1) | instskip(NEXT) | instid1(VALU_DEP_3)
	v_lshlrev_b64_e64 v[18:19], v7, 1
	v_bfi_b32 v9, v9, 0, 0
	s_delay_alu instid0(VALU_DEP_4) | instskip(NEXT) | instid1(VALU_DEP_1)
	v_bfi_b32 v8, v8, 0, v54
	v_cmp_eq_u64_e64 s10, v[8:9], v[18:19]
	v_mov_b64_e32 v[18:19], v[16:17]
	s_and_saveexec_b32 s42, s10
; %bb.4643:                             ;   in Loop: Header=BB6_4515 Depth=2
	v_bfe_u32 v54, v16, 20, 1
	s_delay_alu instid0(VALU_DEP_1) | instskip(NEXT) | instid1(VALU_DEP_1)
	v_add_nc_u64_e32 v[8:9], v[16:17], v[54:55]
	v_add_nc_u64_e32 v[18:19], -1, v[8:9]
; %bb.4644:                             ;   in Loop: Header=BB6_4515 Depth=2
	s_or_b32 exec_lo, exec_lo, s42
	v_add_nc_u32_e32 v1, 0xffffff81, v4
	v_lshrrev_b32_e32 v4, 23, v16
	s_mov_b32 s10, exec_lo
	s_delay_alu instid0(VALU_DEP_2) | instskip(NEXT) | instid1(VALU_DEP_1)
	v_cndmask_b32_e64 v1, v1, 0xffffff82, vcc_lo
	v_add3_u32 v4, v6, v1, v4
	v_and_b32_e32 v1, 0xfffff, v18
	s_delay_alu instid0(VALU_DEP_2) | instskip(NEXT) | instid1(VALU_DEP_2)
	v_add_nc_u32_e32 v6, 6, v4
	v_add_nc_u32_e32 v54, v1, v16
                                        ; implicit-def: $vgpr16_vgpr17
                                        ; implicit-def: $vgpr1
	s_delay_alu instid0(VALU_DEP_2)
	v_cmpx_ne_u32_e32 0, v6
	s_xor_b32 s10, exec_lo, s10
; %bb.4645:                             ;   in Loop: Header=BB6_4515 Depth=2
	s_delay_alu instid0(VALU_DEP_2) | instskip(SKIP_2) | instid1(VALU_DEP_2)
	v_cmp_lt_u64_e32 vcc_lo, 0xffffff, v[54:55]
	v_add_nc_u32_e32 v1, 7, v4
	v_cndmask_b32_e64 v4, 0, 1, vcc_lo
	v_cndmask_b32_e32 v1, v6, v1, vcc_lo
	s_delay_alu instid0(VALU_DEP_2)
	v_lshrrev_b64 v[16:17], v4, v[54:55]
; %bb.4646:                             ;   in Loop: Header=BB6_4515 Depth=2
	s_and_not1_saveexec_b32 s10, s10
; %bb.4647:                             ;   in Loop: Header=BB6_4515 Depth=2
	v_mov_b64_e32 v[16:17], v[54:55]
	v_bfe_u32 v1, v54, 23, 1
; %bb.4648:                             ;   in Loop: Header=BB6_4515 Depth=2
	s_or_b32 exec_lo, exec_lo, s10
	s_delay_alu instid0(VALU_DEP_2) | instskip(NEXT) | instid1(VALU_DEP_2)
	v_lshrrev_b64 v[6:7], 20, v[16:17]
	v_cmp_gt_i32_e32 vcc_lo, 16, v1
	v_cmp_ne_u32_e64 s10, 0, v1
                                        ; implicit-def: $vgpr100
	s_delay_alu instid0(VALU_DEP_3) | instskip(NEXT) | instid1(VALU_DEP_1)
	v_dual_cndmask_b32 v17, 0, v7 :: v_dual_cndmask_b32 v16, 7, v6
	v_cmp_ne_u64_e32 vcc_lo, 0, v[16:17]
	s_or_b32 s10, s10, vcc_lo
	s_delay_alu instid0(SALU_CYCLE_1) | instskip(NEXT) | instid1(SALU_CYCLE_1)
	s_and_saveexec_b32 s42, s10
	s_xor_b32 s10, exec_lo, s42
; %bb.4649:                             ;   in Loop: Header=BB6_4515 Depth=2
	v_min_i32_e32 v1, 15, v1
	s_delay_alu instid0(VALU_DEP_1) | instskip(NEXT) | instid1(VALU_DEP_1)
	v_lshl_or_b32 v0, v1, 3, v0
	v_and_or_b32 v100, v16, 7, v0
                                        ; implicit-def: $vgpr0
; %bb.4650:                             ;   in Loop: Header=BB6_4515 Depth=2
	s_and_not1_saveexec_b32 s10, s10
; %bb.4651:                             ;   in Loop: Header=BB6_4515 Depth=2
	v_mov_b32_e32 v100, v0
; %bb.4652:                             ;   in Loop: Header=BB6_4515 Depth=2
	s_or_b32 exec_lo, exec_lo, s10
.LBB6_4653:                             ;   in Loop: Header=BB6_4515 Depth=2
	s_delay_alu instid0(SALU_CYCLE_1)
	s_or_b32 exec_lo, exec_lo, s41
                                        ; implicit-def: $vgpr0
.LBB6_4654:                             ;   in Loop: Header=BB6_4515 Depth=2
	s_and_not1_saveexec_b32 s10, s40
; %bb.4655:                             ;   in Loop: Header=BB6_4515 Depth=2
	v_or_b32_e32 v100, 0x7e, v0
; %bb.4656:                             ;   in Loop: Header=BB6_4515 Depth=2
	s_or_b32 exec_lo, exec_lo, s10
                                        ; implicit-def: $vgpr0
.LBB6_4657:                             ;   in Loop: Header=BB6_4515 Depth=2
	s_and_not1_saveexec_b32 s10, s11
; %bb.4658:                             ;   in Loop: Header=BB6_4515 Depth=2
	v_or_b32_e32 v100, 0x7f, v0
; %bb.4659:                             ;   in Loop: Header=BB6_4515 Depth=2
	s_or_b32 exec_lo, exec_lo, s10
	flat_load_u8 v0, v[10:11] offset:160 th:TH_LOAD_NT
	v_mov_b32_e32 v1, 0
	s_mov_b32 s10, exec_lo
	s_wait_loadcnt_dscnt 0x0
	s_wait_xcnt 0x0
	v_cmpx_ne_u16_e32 0, v0
	s_cbranch_execz .LBB6_4667
; %bb.4660:                             ;   in Loop: Header=BB6_4515 Depth=2
	v_bfrev_b32_e32 v1, 1
	s_mov_b32 s11, exec_lo
	v_cmpx_ne_u16_e32 0x80, v0
	s_cbranch_execz .LBB6_4666
; %bb.4661:                             ;   in Loop: Header=BB6_4515 Depth=2
	v_and_b32_e32 v6, 0xffff, v0
	v_mov_b32_e32 v1, 0x7f800001
	s_mov_b32 s40, exec_lo
	s_delay_alu instid0(VALU_DEP_2) | instskip(NEXT) | instid1(VALU_DEP_1)
	v_and_b32_e32 v4, 0x7f, v6
	v_cmpx_ne_u32_e32 0x7f, v4
	s_cbranch_execz .LBB6_4665
; %bb.4662:                             ;   in Loop: Header=BB6_4515 Depth=2
	v_dual_lshrrev_b32 v1, 3, v4 :: v_dual_bitop2_b32 v54, 7, v6 bitop3:0x40
	s_mov_b32 s41, exec_lo
	s_delay_alu instid0(VALU_DEP_1)
	v_mov_b64_e32 v[16:17], v[54:55]
	v_cmpx_gt_u32_e32 8, v4
; %bb.4663:                             ;   in Loop: Header=BB6_4515 Depth=2
	v_clz_i32_u32_e32 v1, v54
	s_delay_alu instid0(VALU_DEP_1) | instskip(NEXT) | instid1(VALU_DEP_1)
	v_min_u32_e32 v1, 32, v1
	v_subrev_nc_u32_e32 v4, 28, v1
	s_delay_alu instid0(VALU_DEP_1) | instskip(NEXT) | instid1(VALU_DEP_1)
	v_lshlrev_b64_e32 v[6:7], v4, v[54:55]
	v_dual_sub_nc_u32 v1, 29, v1 :: v_dual_bitop2_b32 v16, 7, v6 bitop3:0x40
; %bb.4664:                             ;   in Loop: Header=BB6_4515 Depth=2
	s_or_b32 exec_lo, exec_lo, s41
	v_lshlrev_b32_e32 v0, 24, v0
	s_delay_alu instid0(VALU_DEP_2) | instskip(NEXT) | instid1(VALU_DEP_3)
	v_lshlrev_b32_e32 v4, 20, v16
	v_lshl_add_u32 v1, v1, 23, 0x3c000000
	s_delay_alu instid0(VALU_DEP_3) | instskip(NEXT) | instid1(VALU_DEP_1)
	v_and_b32_e32 v0, 0x80000000, v0
	v_or3_b32 v1, v4, v0, v1
.LBB6_4665:                             ;   in Loop: Header=BB6_4515 Depth=2
	s_or_b32 exec_lo, exec_lo, s40
.LBB6_4666:                             ;   in Loop: Header=BB6_4515 Depth=2
	s_delay_alu instid0(SALU_CYCLE_1)
	s_or_b32 exec_lo, exec_lo, s11
.LBB6_4667:                             ;   in Loop: Header=BB6_4515 Depth=2
	s_delay_alu instid0(SALU_CYCLE_1) | instskip(NEXT) | instid1(VALU_DEP_1)
	s_or_b32 exec_lo, exec_lo, s10
	v_mul_f32_e32 v1, s29, v1
                                        ; implicit-def: $vgpr114
	s_mov_b32 s10, exec_lo
	s_delay_alu instid0(VALU_DEP_1) | instskip(SKIP_1) | instid1(VALU_DEP_2)
	v_and_b32_e32 v54, 0x7f800000, v1
	v_lshrrev_b32_e32 v0, 24, v1
	v_cmpx_ne_u64_e32 0x7f800000, v[54:55]
	s_xor_b32 s11, exec_lo, s10
	s_cbranch_execz .LBB6_4685
; %bb.4668:                             ;   in Loop: Header=BB6_4515 Depth=2
	v_and_b32_e32 v54, 0x7fffffff, v1
	v_and_b32_e32 v0, 0x80, v0
                                        ; implicit-def: $vgpr114
	s_mov_b32 s10, exec_lo
	s_delay_alu instid0(VALU_DEP_2)
	v_cmpx_gt_u64_e32 0x43e00001, v[54:55]
	s_xor_b32 s40, exec_lo, s10
	s_cbranch_execz .LBB6_4682
; %bb.4669:                             ;   in Loop: Header=BB6_4515 Depth=2
	v_mov_b32_e32 v114, 0
	s_mov_b32 s41, exec_lo
	v_cmpx_ne_u32_e32 0, v1
	s_cbranch_execz .LBB6_4681
; %bb.4670:                             ;   in Loop: Header=BB6_4515 Depth=2
	v_bfe_u32 v4, v1, 23, 8
	v_and_b32_e32 v1, 0x7fffff, v1
	s_delay_alu instid0(VALU_DEP_2) | instskip(SKIP_1) | instid1(VALU_DEP_3)
	v_sub_nc_u32_e32 v6, 0x79, v4
	v_cmp_gt_u32_e32 vcc_lo, 0x7a, v4
	v_or_b32_e32 v16, 0x800000, v1
	s_delay_alu instid0(VALU_DEP_3) | instskip(SKIP_1) | instid1(VALU_DEP_3)
	v_cndmask_b32_e32 v6, 0, v6, vcc_lo
	v_cmp_eq_u32_e32 vcc_lo, 0, v4
	v_cndmask_b32_e32 v54, v16, v1, vcc_lo
	s_delay_alu instid0(VALU_DEP_3) | instskip(NEXT) | instid1(VALU_DEP_1)
	v_cndmask_b32_e64 v6, v6, 0x78, vcc_lo
	v_add_nc_u32_e32 v7, 20, v6
	s_delay_alu instid0(VALU_DEP_3) | instskip(NEXT) | instid1(VALU_DEP_2)
	v_lshrrev_b64 v[16:17], v6, v[54:55]
	v_lshlrev_b64_e64 v[8:9], v7, -1
	v_add_nc_u32_e32 v7, 19, v6
	s_delay_alu instid0(VALU_DEP_1) | instskip(NEXT) | instid1(VALU_DEP_3)
	v_lshlrev_b64_e64 v[18:19], v7, 1
	v_bfi_b32 v9, v9, 0, 0
	s_delay_alu instid0(VALU_DEP_4) | instskip(NEXT) | instid1(VALU_DEP_1)
	v_bfi_b32 v8, v8, 0, v54
	v_cmp_eq_u64_e64 s10, v[8:9], v[18:19]
	v_mov_b64_e32 v[18:19], v[16:17]
	s_and_saveexec_b32 s42, s10
; %bb.4671:                             ;   in Loop: Header=BB6_4515 Depth=2
	v_bfe_u32 v54, v16, 20, 1
	s_delay_alu instid0(VALU_DEP_1) | instskip(NEXT) | instid1(VALU_DEP_1)
	v_add_nc_u64_e32 v[8:9], v[16:17], v[54:55]
	v_add_nc_u64_e32 v[18:19], -1, v[8:9]
; %bb.4672:                             ;   in Loop: Header=BB6_4515 Depth=2
	s_or_b32 exec_lo, exec_lo, s42
	v_add_nc_u32_e32 v1, 0xffffff81, v4
	v_lshrrev_b32_e32 v4, 23, v16
	s_mov_b32 s10, exec_lo
	s_delay_alu instid0(VALU_DEP_2) | instskip(NEXT) | instid1(VALU_DEP_1)
	v_cndmask_b32_e64 v1, v1, 0xffffff82, vcc_lo
	v_add3_u32 v4, v6, v1, v4
	v_and_b32_e32 v1, 0xfffff, v18
	s_delay_alu instid0(VALU_DEP_2) | instskip(NEXT) | instid1(VALU_DEP_2)
	v_add_nc_u32_e32 v6, 6, v4
	v_add_nc_u32_e32 v54, v1, v16
                                        ; implicit-def: $vgpr16_vgpr17
                                        ; implicit-def: $vgpr1
	s_delay_alu instid0(VALU_DEP_2)
	v_cmpx_ne_u32_e32 0, v6
	s_xor_b32 s10, exec_lo, s10
; %bb.4673:                             ;   in Loop: Header=BB6_4515 Depth=2
	s_delay_alu instid0(VALU_DEP_2) | instskip(SKIP_2) | instid1(VALU_DEP_2)
	v_cmp_lt_u64_e32 vcc_lo, 0xffffff, v[54:55]
	v_add_nc_u32_e32 v1, 7, v4
	v_cndmask_b32_e64 v4, 0, 1, vcc_lo
	v_cndmask_b32_e32 v1, v6, v1, vcc_lo
	s_delay_alu instid0(VALU_DEP_2)
	v_lshrrev_b64 v[16:17], v4, v[54:55]
; %bb.4674:                             ;   in Loop: Header=BB6_4515 Depth=2
	s_and_not1_saveexec_b32 s10, s10
; %bb.4675:                             ;   in Loop: Header=BB6_4515 Depth=2
	v_mov_b64_e32 v[16:17], v[54:55]
	v_bfe_u32 v1, v54, 23, 1
; %bb.4676:                             ;   in Loop: Header=BB6_4515 Depth=2
	s_or_b32 exec_lo, exec_lo, s10
	s_delay_alu instid0(VALU_DEP_2) | instskip(NEXT) | instid1(VALU_DEP_2)
	v_lshrrev_b64 v[6:7], 20, v[16:17]
	v_cmp_gt_i32_e32 vcc_lo, 16, v1
	v_cmp_ne_u32_e64 s10, 0, v1
                                        ; implicit-def: $vgpr114
	s_delay_alu instid0(VALU_DEP_3) | instskip(NEXT) | instid1(VALU_DEP_1)
	v_dual_cndmask_b32 v17, 0, v7 :: v_dual_cndmask_b32 v16, 7, v6
	v_cmp_ne_u64_e32 vcc_lo, 0, v[16:17]
	s_or_b32 s10, s10, vcc_lo
	s_delay_alu instid0(SALU_CYCLE_1) | instskip(NEXT) | instid1(SALU_CYCLE_1)
	s_and_saveexec_b32 s42, s10
	s_xor_b32 s10, exec_lo, s42
; %bb.4677:                             ;   in Loop: Header=BB6_4515 Depth=2
	v_min_i32_e32 v1, 15, v1
	s_delay_alu instid0(VALU_DEP_1) | instskip(NEXT) | instid1(VALU_DEP_1)
	v_lshl_or_b32 v0, v1, 3, v0
	v_and_or_b32 v114, v16, 7, v0
                                        ; implicit-def: $vgpr0
; %bb.4678:                             ;   in Loop: Header=BB6_4515 Depth=2
	s_and_not1_saveexec_b32 s10, s10
; %bb.4679:                             ;   in Loop: Header=BB6_4515 Depth=2
	v_mov_b32_e32 v114, v0
; %bb.4680:                             ;   in Loop: Header=BB6_4515 Depth=2
	s_or_b32 exec_lo, exec_lo, s10
.LBB6_4681:                             ;   in Loop: Header=BB6_4515 Depth=2
	s_delay_alu instid0(SALU_CYCLE_1)
	s_or_b32 exec_lo, exec_lo, s41
                                        ; implicit-def: $vgpr0
.LBB6_4682:                             ;   in Loop: Header=BB6_4515 Depth=2
	s_and_not1_saveexec_b32 s10, s40
; %bb.4683:                             ;   in Loop: Header=BB6_4515 Depth=2
	v_or_b32_e32 v114, 0x7e, v0
; %bb.4684:                             ;   in Loop: Header=BB6_4515 Depth=2
	s_or_b32 exec_lo, exec_lo, s10
                                        ; implicit-def: $vgpr0
.LBB6_4685:                             ;   in Loop: Header=BB6_4515 Depth=2
	s_and_not1_saveexec_b32 s10, s11
; %bb.4686:                             ;   in Loop: Header=BB6_4515 Depth=2
	v_or_b32_e32 v114, 0x7f, v0
; %bb.4687:                             ;   in Loop: Header=BB6_4515 Depth=2
	s_or_b32 exec_lo, exec_lo, s10
	flat_load_u8 v0, v[10:11] offset:192 th:TH_LOAD_NT
	v_mov_b32_e32 v1, 0
	s_mov_b32 s10, exec_lo
	s_wait_loadcnt_dscnt 0x0
	s_wait_xcnt 0x0
	v_cmpx_ne_u16_e32 0, v0
	s_cbranch_execz .LBB6_4695
; %bb.4688:                             ;   in Loop: Header=BB6_4515 Depth=2
	v_bfrev_b32_e32 v1, 1
	s_mov_b32 s11, exec_lo
	v_cmpx_ne_u16_e32 0x80, v0
	s_cbranch_execz .LBB6_4694
; %bb.4689:                             ;   in Loop: Header=BB6_4515 Depth=2
	v_and_b32_e32 v6, 0xffff, v0
	v_mov_b32_e32 v1, 0x7f800001
	s_mov_b32 s40, exec_lo
	s_delay_alu instid0(VALU_DEP_2) | instskip(NEXT) | instid1(VALU_DEP_1)
	v_and_b32_e32 v4, 0x7f, v6
	v_cmpx_ne_u32_e32 0x7f, v4
	s_cbranch_execz .LBB6_4693
; %bb.4690:                             ;   in Loop: Header=BB6_4515 Depth=2
	v_dual_lshrrev_b32 v1, 3, v4 :: v_dual_bitop2_b32 v54, 7, v6 bitop3:0x40
	s_mov_b32 s41, exec_lo
	s_delay_alu instid0(VALU_DEP_1)
	v_mov_b64_e32 v[16:17], v[54:55]
	v_cmpx_gt_u32_e32 8, v4
; %bb.4691:                             ;   in Loop: Header=BB6_4515 Depth=2
	v_clz_i32_u32_e32 v1, v54
	s_delay_alu instid0(VALU_DEP_1) | instskip(NEXT) | instid1(VALU_DEP_1)
	v_min_u32_e32 v1, 32, v1
	v_subrev_nc_u32_e32 v4, 28, v1
	s_delay_alu instid0(VALU_DEP_1) | instskip(NEXT) | instid1(VALU_DEP_1)
	v_lshlrev_b64_e32 v[6:7], v4, v[54:55]
	v_dual_sub_nc_u32 v1, 29, v1 :: v_dual_bitop2_b32 v16, 7, v6 bitop3:0x40
; %bb.4692:                             ;   in Loop: Header=BB6_4515 Depth=2
	s_or_b32 exec_lo, exec_lo, s41
	v_lshlrev_b32_e32 v0, 24, v0
	s_delay_alu instid0(VALU_DEP_2) | instskip(NEXT) | instid1(VALU_DEP_3)
	v_lshlrev_b32_e32 v4, 20, v16
	v_lshl_add_u32 v1, v1, 23, 0x3c000000
	s_delay_alu instid0(VALU_DEP_3) | instskip(NEXT) | instid1(VALU_DEP_1)
	v_and_b32_e32 v0, 0x80000000, v0
	v_or3_b32 v1, v4, v0, v1
.LBB6_4693:                             ;   in Loop: Header=BB6_4515 Depth=2
	s_or_b32 exec_lo, exec_lo, s40
.LBB6_4694:                             ;   in Loop: Header=BB6_4515 Depth=2
	s_delay_alu instid0(SALU_CYCLE_1)
	s_or_b32 exec_lo, exec_lo, s11
.LBB6_4695:                             ;   in Loop: Header=BB6_4515 Depth=2
	s_delay_alu instid0(SALU_CYCLE_1) | instskip(NEXT) | instid1(VALU_DEP_1)
	s_or_b32 exec_lo, exec_lo, s10
	v_mul_f32_e32 v1, s29, v1
                                        ; implicit-def: $vgpr112
	s_mov_b32 s10, exec_lo
	s_delay_alu instid0(VALU_DEP_1) | instskip(SKIP_1) | instid1(VALU_DEP_2)
	v_and_b32_e32 v54, 0x7f800000, v1
	v_lshrrev_b32_e32 v0, 24, v1
	v_cmpx_ne_u64_e32 0x7f800000, v[54:55]
	s_xor_b32 s11, exec_lo, s10
	s_cbranch_execz .LBB6_4713
; %bb.4696:                             ;   in Loop: Header=BB6_4515 Depth=2
	v_and_b32_e32 v54, 0x7fffffff, v1
	v_and_b32_e32 v0, 0x80, v0
                                        ; implicit-def: $vgpr112
	s_mov_b32 s10, exec_lo
	s_delay_alu instid0(VALU_DEP_2)
	v_cmpx_gt_u64_e32 0x43e00001, v[54:55]
	s_xor_b32 s40, exec_lo, s10
	s_cbranch_execz .LBB6_4710
; %bb.4697:                             ;   in Loop: Header=BB6_4515 Depth=2
	v_mov_b32_e32 v112, 0
	s_mov_b32 s41, exec_lo
	v_cmpx_ne_u32_e32 0, v1
	s_cbranch_execz .LBB6_4709
; %bb.4698:                             ;   in Loop: Header=BB6_4515 Depth=2
	v_bfe_u32 v4, v1, 23, 8
	v_and_b32_e32 v1, 0x7fffff, v1
	s_delay_alu instid0(VALU_DEP_2) | instskip(SKIP_1) | instid1(VALU_DEP_3)
	v_sub_nc_u32_e32 v6, 0x79, v4
	v_cmp_gt_u32_e32 vcc_lo, 0x7a, v4
	v_or_b32_e32 v16, 0x800000, v1
	s_delay_alu instid0(VALU_DEP_3) | instskip(SKIP_1) | instid1(VALU_DEP_3)
	v_cndmask_b32_e32 v6, 0, v6, vcc_lo
	v_cmp_eq_u32_e32 vcc_lo, 0, v4
	v_cndmask_b32_e32 v54, v16, v1, vcc_lo
	s_delay_alu instid0(VALU_DEP_3) | instskip(NEXT) | instid1(VALU_DEP_1)
	v_cndmask_b32_e64 v6, v6, 0x78, vcc_lo
	v_add_nc_u32_e32 v7, 20, v6
	s_delay_alu instid0(VALU_DEP_3) | instskip(NEXT) | instid1(VALU_DEP_2)
	v_lshrrev_b64 v[16:17], v6, v[54:55]
	v_lshlrev_b64_e64 v[8:9], v7, -1
	v_add_nc_u32_e32 v7, 19, v6
	s_delay_alu instid0(VALU_DEP_1) | instskip(NEXT) | instid1(VALU_DEP_3)
	v_lshlrev_b64_e64 v[18:19], v7, 1
	v_bfi_b32 v9, v9, 0, 0
	s_delay_alu instid0(VALU_DEP_4) | instskip(NEXT) | instid1(VALU_DEP_1)
	v_bfi_b32 v8, v8, 0, v54
	v_cmp_eq_u64_e64 s10, v[8:9], v[18:19]
	v_mov_b64_e32 v[18:19], v[16:17]
	s_and_saveexec_b32 s42, s10
; %bb.4699:                             ;   in Loop: Header=BB6_4515 Depth=2
	v_bfe_u32 v54, v16, 20, 1
	s_delay_alu instid0(VALU_DEP_1) | instskip(NEXT) | instid1(VALU_DEP_1)
	v_add_nc_u64_e32 v[8:9], v[16:17], v[54:55]
	v_add_nc_u64_e32 v[18:19], -1, v[8:9]
; %bb.4700:                             ;   in Loop: Header=BB6_4515 Depth=2
	s_or_b32 exec_lo, exec_lo, s42
	v_add_nc_u32_e32 v1, 0xffffff81, v4
	v_lshrrev_b32_e32 v4, 23, v16
	s_mov_b32 s10, exec_lo
	s_delay_alu instid0(VALU_DEP_2) | instskip(NEXT) | instid1(VALU_DEP_1)
	v_cndmask_b32_e64 v1, v1, 0xffffff82, vcc_lo
	v_add3_u32 v4, v6, v1, v4
	v_and_b32_e32 v1, 0xfffff, v18
	s_delay_alu instid0(VALU_DEP_2) | instskip(NEXT) | instid1(VALU_DEP_2)
	v_add_nc_u32_e32 v6, 6, v4
	v_add_nc_u32_e32 v54, v1, v16
                                        ; implicit-def: $vgpr16_vgpr17
                                        ; implicit-def: $vgpr1
	s_delay_alu instid0(VALU_DEP_2)
	v_cmpx_ne_u32_e32 0, v6
	s_xor_b32 s10, exec_lo, s10
; %bb.4701:                             ;   in Loop: Header=BB6_4515 Depth=2
	s_delay_alu instid0(VALU_DEP_2) | instskip(SKIP_2) | instid1(VALU_DEP_2)
	v_cmp_lt_u64_e32 vcc_lo, 0xffffff, v[54:55]
	v_add_nc_u32_e32 v1, 7, v4
	v_cndmask_b32_e64 v4, 0, 1, vcc_lo
	v_cndmask_b32_e32 v1, v6, v1, vcc_lo
	s_delay_alu instid0(VALU_DEP_2)
	v_lshrrev_b64 v[16:17], v4, v[54:55]
; %bb.4702:                             ;   in Loop: Header=BB6_4515 Depth=2
	s_and_not1_saveexec_b32 s10, s10
; %bb.4703:                             ;   in Loop: Header=BB6_4515 Depth=2
	v_mov_b64_e32 v[16:17], v[54:55]
	v_bfe_u32 v1, v54, 23, 1
; %bb.4704:                             ;   in Loop: Header=BB6_4515 Depth=2
	s_or_b32 exec_lo, exec_lo, s10
	s_delay_alu instid0(VALU_DEP_2) | instskip(NEXT) | instid1(VALU_DEP_2)
	v_lshrrev_b64 v[6:7], 20, v[16:17]
	v_cmp_gt_i32_e32 vcc_lo, 16, v1
	v_cmp_ne_u32_e64 s10, 0, v1
                                        ; implicit-def: $vgpr112
	s_delay_alu instid0(VALU_DEP_3) | instskip(NEXT) | instid1(VALU_DEP_1)
	v_dual_cndmask_b32 v17, 0, v7 :: v_dual_cndmask_b32 v16, 7, v6
	v_cmp_ne_u64_e32 vcc_lo, 0, v[16:17]
	s_or_b32 s10, s10, vcc_lo
	s_delay_alu instid0(SALU_CYCLE_1) | instskip(NEXT) | instid1(SALU_CYCLE_1)
	s_and_saveexec_b32 s42, s10
	s_xor_b32 s10, exec_lo, s42
; %bb.4705:                             ;   in Loop: Header=BB6_4515 Depth=2
	v_min_i32_e32 v1, 15, v1
	s_delay_alu instid0(VALU_DEP_1) | instskip(NEXT) | instid1(VALU_DEP_1)
	v_lshl_or_b32 v0, v1, 3, v0
	v_and_or_b32 v112, v16, 7, v0
                                        ; implicit-def: $vgpr0
; %bb.4706:                             ;   in Loop: Header=BB6_4515 Depth=2
	s_and_not1_saveexec_b32 s10, s10
; %bb.4707:                             ;   in Loop: Header=BB6_4515 Depth=2
	v_mov_b32_e32 v112, v0
; %bb.4708:                             ;   in Loop: Header=BB6_4515 Depth=2
	s_or_b32 exec_lo, exec_lo, s10
.LBB6_4709:                             ;   in Loop: Header=BB6_4515 Depth=2
	s_delay_alu instid0(SALU_CYCLE_1)
	s_or_b32 exec_lo, exec_lo, s41
                                        ; implicit-def: $vgpr0
.LBB6_4710:                             ;   in Loop: Header=BB6_4515 Depth=2
	s_and_not1_saveexec_b32 s10, s40
; %bb.4711:                             ;   in Loop: Header=BB6_4515 Depth=2
	v_or_b32_e32 v112, 0x7e, v0
; %bb.4712:                             ;   in Loop: Header=BB6_4515 Depth=2
	s_or_b32 exec_lo, exec_lo, s10
                                        ; implicit-def: $vgpr0
.LBB6_4713:                             ;   in Loop: Header=BB6_4515 Depth=2
	s_and_not1_saveexec_b32 s10, s11
; %bb.4714:                             ;   in Loop: Header=BB6_4515 Depth=2
	v_or_b32_e32 v112, 0x7f, v0
; %bb.4715:                             ;   in Loop: Header=BB6_4515 Depth=2
	s_or_b32 exec_lo, exec_lo, s10
	flat_load_u8 v0, v[10:11] offset:224 th:TH_LOAD_NT
	v_mov_b32_e32 v1, 0
	s_mov_b32 s10, exec_lo
	s_wait_loadcnt_dscnt 0x0
	s_wait_xcnt 0x0
	v_cmpx_ne_u16_e32 0, v0
	s_cbranch_execz .LBB6_4723
; %bb.4716:                             ;   in Loop: Header=BB6_4515 Depth=2
	v_bfrev_b32_e32 v1, 1
	s_mov_b32 s11, exec_lo
	v_cmpx_ne_u16_e32 0x80, v0
	s_cbranch_execz .LBB6_4722
; %bb.4717:                             ;   in Loop: Header=BB6_4515 Depth=2
	v_and_b32_e32 v6, 0xffff, v0
	v_mov_b32_e32 v1, 0x7f800001
	s_mov_b32 s40, exec_lo
	s_delay_alu instid0(VALU_DEP_2) | instskip(NEXT) | instid1(VALU_DEP_1)
	v_and_b32_e32 v4, 0x7f, v6
	v_cmpx_ne_u32_e32 0x7f, v4
	s_cbranch_execz .LBB6_4721
; %bb.4718:                             ;   in Loop: Header=BB6_4515 Depth=2
	v_dual_lshrrev_b32 v1, 3, v4 :: v_dual_bitop2_b32 v54, 7, v6 bitop3:0x40
	s_mov_b32 s41, exec_lo
	s_delay_alu instid0(VALU_DEP_1)
	v_mov_b64_e32 v[16:17], v[54:55]
	v_cmpx_gt_u32_e32 8, v4
; %bb.4719:                             ;   in Loop: Header=BB6_4515 Depth=2
	v_clz_i32_u32_e32 v1, v54
	s_delay_alu instid0(VALU_DEP_1) | instskip(NEXT) | instid1(VALU_DEP_1)
	v_min_u32_e32 v1, 32, v1
	v_subrev_nc_u32_e32 v4, 28, v1
	s_delay_alu instid0(VALU_DEP_1) | instskip(NEXT) | instid1(VALU_DEP_1)
	v_lshlrev_b64_e32 v[6:7], v4, v[54:55]
	v_dual_sub_nc_u32 v1, 29, v1 :: v_dual_bitop2_b32 v16, 7, v6 bitop3:0x40
; %bb.4720:                             ;   in Loop: Header=BB6_4515 Depth=2
	s_or_b32 exec_lo, exec_lo, s41
	v_lshlrev_b32_e32 v0, 24, v0
	s_delay_alu instid0(VALU_DEP_2) | instskip(NEXT) | instid1(VALU_DEP_3)
	v_lshlrev_b32_e32 v4, 20, v16
	v_lshl_add_u32 v1, v1, 23, 0x3c000000
	s_delay_alu instid0(VALU_DEP_3) | instskip(NEXT) | instid1(VALU_DEP_1)
	v_and_b32_e32 v0, 0x80000000, v0
	v_or3_b32 v1, v4, v0, v1
.LBB6_4721:                             ;   in Loop: Header=BB6_4515 Depth=2
	s_or_b32 exec_lo, exec_lo, s40
.LBB6_4722:                             ;   in Loop: Header=BB6_4515 Depth=2
	s_delay_alu instid0(SALU_CYCLE_1)
	s_or_b32 exec_lo, exec_lo, s11
.LBB6_4723:                             ;   in Loop: Header=BB6_4515 Depth=2
	s_delay_alu instid0(SALU_CYCLE_1) | instskip(NEXT) | instid1(VALU_DEP_1)
	s_or_b32 exec_lo, exec_lo, s10
	v_mul_f32_e32 v1, s29, v1
                                        ; implicit-def: $vgpr103
	s_mov_b32 s10, exec_lo
	s_delay_alu instid0(VALU_DEP_1) | instskip(SKIP_1) | instid1(VALU_DEP_2)
	v_and_b32_e32 v54, 0x7f800000, v1
	v_lshrrev_b32_e32 v0, 24, v1
	v_cmpx_ne_u64_e32 0x7f800000, v[54:55]
	s_xor_b32 s11, exec_lo, s10
	s_cbranch_execz .LBB6_4741
; %bb.4724:                             ;   in Loop: Header=BB6_4515 Depth=2
	v_and_b32_e32 v54, 0x7fffffff, v1
	v_and_b32_e32 v0, 0x80, v0
                                        ; implicit-def: $vgpr103
	s_mov_b32 s10, exec_lo
	s_delay_alu instid0(VALU_DEP_2)
	v_cmpx_gt_u64_e32 0x43e00001, v[54:55]
	s_xor_b32 s40, exec_lo, s10
	s_cbranch_execz .LBB6_4738
; %bb.4725:                             ;   in Loop: Header=BB6_4515 Depth=2
	v_mov_b32_e32 v103, 0
	s_mov_b32 s41, exec_lo
	v_cmpx_ne_u32_e32 0, v1
	s_cbranch_execz .LBB6_4737
; %bb.4726:                             ;   in Loop: Header=BB6_4515 Depth=2
	v_bfe_u32 v4, v1, 23, 8
	v_and_b32_e32 v1, 0x7fffff, v1
	s_delay_alu instid0(VALU_DEP_2) | instskip(SKIP_1) | instid1(VALU_DEP_3)
	v_sub_nc_u32_e32 v6, 0x79, v4
	v_cmp_gt_u32_e32 vcc_lo, 0x7a, v4
	v_or_b32_e32 v16, 0x800000, v1
	s_delay_alu instid0(VALU_DEP_3) | instskip(SKIP_1) | instid1(VALU_DEP_3)
	v_cndmask_b32_e32 v6, 0, v6, vcc_lo
	v_cmp_eq_u32_e32 vcc_lo, 0, v4
	v_cndmask_b32_e32 v54, v16, v1, vcc_lo
	s_delay_alu instid0(VALU_DEP_3) | instskip(NEXT) | instid1(VALU_DEP_1)
	v_cndmask_b32_e64 v6, v6, 0x78, vcc_lo
	v_add_nc_u32_e32 v7, 20, v6
	s_delay_alu instid0(VALU_DEP_3) | instskip(NEXT) | instid1(VALU_DEP_2)
	v_lshrrev_b64 v[16:17], v6, v[54:55]
	v_lshlrev_b64_e64 v[8:9], v7, -1
	v_add_nc_u32_e32 v7, 19, v6
	s_delay_alu instid0(VALU_DEP_1) | instskip(NEXT) | instid1(VALU_DEP_3)
	v_lshlrev_b64_e64 v[18:19], v7, 1
	v_bfi_b32 v9, v9, 0, 0
	s_delay_alu instid0(VALU_DEP_4) | instskip(NEXT) | instid1(VALU_DEP_1)
	v_bfi_b32 v8, v8, 0, v54
	v_cmp_eq_u64_e64 s10, v[8:9], v[18:19]
	v_mov_b64_e32 v[18:19], v[16:17]
	s_and_saveexec_b32 s42, s10
; %bb.4727:                             ;   in Loop: Header=BB6_4515 Depth=2
	v_bfe_u32 v54, v16, 20, 1
	s_delay_alu instid0(VALU_DEP_1) | instskip(NEXT) | instid1(VALU_DEP_1)
	v_add_nc_u64_e32 v[8:9], v[16:17], v[54:55]
	v_add_nc_u64_e32 v[18:19], -1, v[8:9]
; %bb.4728:                             ;   in Loop: Header=BB6_4515 Depth=2
	s_or_b32 exec_lo, exec_lo, s42
	v_add_nc_u32_e32 v1, 0xffffff81, v4
	v_lshrrev_b32_e32 v4, 23, v16
	s_mov_b32 s10, exec_lo
	s_delay_alu instid0(VALU_DEP_2) | instskip(NEXT) | instid1(VALU_DEP_1)
	v_cndmask_b32_e64 v1, v1, 0xffffff82, vcc_lo
	v_add3_u32 v4, v6, v1, v4
	v_and_b32_e32 v1, 0xfffff, v18
	s_delay_alu instid0(VALU_DEP_2) | instskip(NEXT) | instid1(VALU_DEP_2)
	v_add_nc_u32_e32 v6, 6, v4
	v_add_nc_u32_e32 v54, v1, v16
                                        ; implicit-def: $vgpr16_vgpr17
                                        ; implicit-def: $vgpr1
	s_delay_alu instid0(VALU_DEP_2)
	v_cmpx_ne_u32_e32 0, v6
	s_xor_b32 s10, exec_lo, s10
; %bb.4729:                             ;   in Loop: Header=BB6_4515 Depth=2
	s_delay_alu instid0(VALU_DEP_2) | instskip(SKIP_2) | instid1(VALU_DEP_2)
	v_cmp_lt_u64_e32 vcc_lo, 0xffffff, v[54:55]
	v_add_nc_u32_e32 v1, 7, v4
	v_cndmask_b32_e64 v4, 0, 1, vcc_lo
	v_cndmask_b32_e32 v1, v6, v1, vcc_lo
	s_delay_alu instid0(VALU_DEP_2)
	v_lshrrev_b64 v[16:17], v4, v[54:55]
; %bb.4730:                             ;   in Loop: Header=BB6_4515 Depth=2
	s_and_not1_saveexec_b32 s10, s10
; %bb.4731:                             ;   in Loop: Header=BB6_4515 Depth=2
	v_mov_b64_e32 v[16:17], v[54:55]
	v_bfe_u32 v1, v54, 23, 1
; %bb.4732:                             ;   in Loop: Header=BB6_4515 Depth=2
	s_or_b32 exec_lo, exec_lo, s10
	s_delay_alu instid0(VALU_DEP_2) | instskip(NEXT) | instid1(VALU_DEP_2)
	v_lshrrev_b64 v[6:7], 20, v[16:17]
	v_cmp_gt_i32_e32 vcc_lo, 16, v1
	v_cmp_ne_u32_e64 s10, 0, v1
                                        ; implicit-def: $vgpr103
	s_delay_alu instid0(VALU_DEP_3) | instskip(NEXT) | instid1(VALU_DEP_1)
	v_dual_cndmask_b32 v17, 0, v7 :: v_dual_cndmask_b32 v16, 7, v6
	v_cmp_ne_u64_e32 vcc_lo, 0, v[16:17]
	s_or_b32 s10, s10, vcc_lo
	s_delay_alu instid0(SALU_CYCLE_1) | instskip(NEXT) | instid1(SALU_CYCLE_1)
	s_and_saveexec_b32 s42, s10
	s_xor_b32 s10, exec_lo, s42
; %bb.4733:                             ;   in Loop: Header=BB6_4515 Depth=2
	v_min_i32_e32 v1, 15, v1
	s_delay_alu instid0(VALU_DEP_1) | instskip(NEXT) | instid1(VALU_DEP_1)
	v_lshl_or_b32 v0, v1, 3, v0
	v_and_or_b32 v103, v16, 7, v0
                                        ; implicit-def: $vgpr0
; %bb.4734:                             ;   in Loop: Header=BB6_4515 Depth=2
	s_and_not1_saveexec_b32 s10, s10
; %bb.4735:                             ;   in Loop: Header=BB6_4515 Depth=2
	v_mov_b32_e32 v103, v0
; %bb.4736:                             ;   in Loop: Header=BB6_4515 Depth=2
	s_or_b32 exec_lo, exec_lo, s10
.LBB6_4737:                             ;   in Loop: Header=BB6_4515 Depth=2
	s_delay_alu instid0(SALU_CYCLE_1)
	s_or_b32 exec_lo, exec_lo, s41
                                        ; implicit-def: $vgpr0
.LBB6_4738:                             ;   in Loop: Header=BB6_4515 Depth=2
	s_and_not1_saveexec_b32 s10, s40
; %bb.4739:                             ;   in Loop: Header=BB6_4515 Depth=2
	v_or_b32_e32 v103, 0x7e, v0
; %bb.4740:                             ;   in Loop: Header=BB6_4515 Depth=2
	s_or_b32 exec_lo, exec_lo, s10
                                        ; implicit-def: $vgpr0
.LBB6_4741:                             ;   in Loop: Header=BB6_4515 Depth=2
	s_and_not1_saveexec_b32 s10, s11
; %bb.4742:                             ;   in Loop: Header=BB6_4515 Depth=2
	v_or_b32_e32 v103, 0x7f, v0
; %bb.4743:                             ;   in Loop: Header=BB6_4515 Depth=2
	s_or_b32 exec_lo, exec_lo, s10
	flat_load_u8 v0, v[10:11] offset:256 th:TH_LOAD_NT
	v_mov_b32_e32 v1, 0
	s_mov_b32 s10, exec_lo
	s_wait_loadcnt_dscnt 0x0
	s_wait_xcnt 0x0
	v_cmpx_ne_u16_e32 0, v0
	s_cbranch_execz .LBB6_4751
; %bb.4744:                             ;   in Loop: Header=BB6_4515 Depth=2
	v_bfrev_b32_e32 v1, 1
	s_mov_b32 s11, exec_lo
	v_cmpx_ne_u16_e32 0x80, v0
	s_cbranch_execz .LBB6_4750
; %bb.4745:                             ;   in Loop: Header=BB6_4515 Depth=2
	v_and_b32_e32 v6, 0xffff, v0
	v_mov_b32_e32 v1, 0x7f800001
	s_mov_b32 s40, exec_lo
	s_delay_alu instid0(VALU_DEP_2) | instskip(NEXT) | instid1(VALU_DEP_1)
	v_and_b32_e32 v4, 0x7f, v6
	v_cmpx_ne_u32_e32 0x7f, v4
	s_cbranch_execz .LBB6_4749
; %bb.4746:                             ;   in Loop: Header=BB6_4515 Depth=2
	v_dual_lshrrev_b32 v1, 3, v4 :: v_dual_bitop2_b32 v54, 7, v6 bitop3:0x40
	s_mov_b32 s41, exec_lo
	s_delay_alu instid0(VALU_DEP_1)
	v_mov_b64_e32 v[16:17], v[54:55]
	v_cmpx_gt_u32_e32 8, v4
; %bb.4747:                             ;   in Loop: Header=BB6_4515 Depth=2
	v_clz_i32_u32_e32 v1, v54
	s_delay_alu instid0(VALU_DEP_1) | instskip(NEXT) | instid1(VALU_DEP_1)
	v_min_u32_e32 v1, 32, v1
	v_subrev_nc_u32_e32 v4, 28, v1
	s_delay_alu instid0(VALU_DEP_1) | instskip(NEXT) | instid1(VALU_DEP_1)
	v_lshlrev_b64_e32 v[6:7], v4, v[54:55]
	v_dual_sub_nc_u32 v1, 29, v1 :: v_dual_bitop2_b32 v16, 7, v6 bitop3:0x40
; %bb.4748:                             ;   in Loop: Header=BB6_4515 Depth=2
	s_or_b32 exec_lo, exec_lo, s41
	v_lshlrev_b32_e32 v0, 24, v0
	s_delay_alu instid0(VALU_DEP_2) | instskip(NEXT) | instid1(VALU_DEP_3)
	v_lshlrev_b32_e32 v4, 20, v16
	v_lshl_add_u32 v1, v1, 23, 0x3c000000
	s_delay_alu instid0(VALU_DEP_3) | instskip(NEXT) | instid1(VALU_DEP_1)
	v_and_b32_e32 v0, 0x80000000, v0
	v_or3_b32 v1, v4, v0, v1
.LBB6_4749:                             ;   in Loop: Header=BB6_4515 Depth=2
	s_or_b32 exec_lo, exec_lo, s40
.LBB6_4750:                             ;   in Loop: Header=BB6_4515 Depth=2
	s_delay_alu instid0(SALU_CYCLE_1)
	s_or_b32 exec_lo, exec_lo, s11
.LBB6_4751:                             ;   in Loop: Header=BB6_4515 Depth=2
	s_delay_alu instid0(SALU_CYCLE_1) | instskip(NEXT) | instid1(VALU_DEP_1)
	s_or_b32 exec_lo, exec_lo, s10
	v_mul_f32_e32 v1, s29, v1
                                        ; implicit-def: $vgpr102
	s_mov_b32 s10, exec_lo
	s_delay_alu instid0(VALU_DEP_1) | instskip(SKIP_1) | instid1(VALU_DEP_2)
	v_and_b32_e32 v54, 0x7f800000, v1
	v_lshrrev_b32_e32 v0, 24, v1
	v_cmpx_ne_u64_e32 0x7f800000, v[54:55]
	s_xor_b32 s11, exec_lo, s10
	s_cbranch_execz .LBB6_4769
; %bb.4752:                             ;   in Loop: Header=BB6_4515 Depth=2
	v_and_b32_e32 v54, 0x7fffffff, v1
	v_and_b32_e32 v0, 0x80, v0
                                        ; implicit-def: $vgpr102
	s_mov_b32 s10, exec_lo
	s_delay_alu instid0(VALU_DEP_2)
	v_cmpx_gt_u64_e32 0x43e00001, v[54:55]
	s_xor_b32 s40, exec_lo, s10
	s_cbranch_execz .LBB6_4766
; %bb.4753:                             ;   in Loop: Header=BB6_4515 Depth=2
	v_mov_b32_e32 v102, 0
	s_mov_b32 s41, exec_lo
	v_cmpx_ne_u32_e32 0, v1
	s_cbranch_execz .LBB6_4765
; %bb.4754:                             ;   in Loop: Header=BB6_4515 Depth=2
	v_bfe_u32 v4, v1, 23, 8
	v_and_b32_e32 v1, 0x7fffff, v1
	s_delay_alu instid0(VALU_DEP_2) | instskip(SKIP_1) | instid1(VALU_DEP_3)
	v_sub_nc_u32_e32 v6, 0x79, v4
	v_cmp_gt_u32_e32 vcc_lo, 0x7a, v4
	v_or_b32_e32 v16, 0x800000, v1
	s_delay_alu instid0(VALU_DEP_3) | instskip(SKIP_1) | instid1(VALU_DEP_3)
	v_cndmask_b32_e32 v6, 0, v6, vcc_lo
	v_cmp_eq_u32_e32 vcc_lo, 0, v4
	v_cndmask_b32_e32 v54, v16, v1, vcc_lo
	s_delay_alu instid0(VALU_DEP_3) | instskip(NEXT) | instid1(VALU_DEP_1)
	v_cndmask_b32_e64 v6, v6, 0x78, vcc_lo
	v_add_nc_u32_e32 v7, 20, v6
	s_delay_alu instid0(VALU_DEP_3) | instskip(NEXT) | instid1(VALU_DEP_2)
	v_lshrrev_b64 v[16:17], v6, v[54:55]
	v_lshlrev_b64_e64 v[8:9], v7, -1
	v_add_nc_u32_e32 v7, 19, v6
	s_delay_alu instid0(VALU_DEP_1) | instskip(NEXT) | instid1(VALU_DEP_3)
	v_lshlrev_b64_e64 v[18:19], v7, 1
	v_bfi_b32 v9, v9, 0, 0
	s_delay_alu instid0(VALU_DEP_4) | instskip(NEXT) | instid1(VALU_DEP_1)
	v_bfi_b32 v8, v8, 0, v54
	v_cmp_eq_u64_e64 s10, v[8:9], v[18:19]
	v_mov_b64_e32 v[18:19], v[16:17]
	s_and_saveexec_b32 s42, s10
; %bb.4755:                             ;   in Loop: Header=BB6_4515 Depth=2
	v_bfe_u32 v54, v16, 20, 1
	s_delay_alu instid0(VALU_DEP_1) | instskip(NEXT) | instid1(VALU_DEP_1)
	v_add_nc_u64_e32 v[8:9], v[16:17], v[54:55]
	v_add_nc_u64_e32 v[18:19], -1, v[8:9]
; %bb.4756:                             ;   in Loop: Header=BB6_4515 Depth=2
	s_or_b32 exec_lo, exec_lo, s42
	v_add_nc_u32_e32 v1, 0xffffff81, v4
	v_lshrrev_b32_e32 v4, 23, v16
	s_mov_b32 s10, exec_lo
	s_delay_alu instid0(VALU_DEP_2) | instskip(NEXT) | instid1(VALU_DEP_1)
	v_cndmask_b32_e64 v1, v1, 0xffffff82, vcc_lo
	v_add3_u32 v4, v6, v1, v4
	v_and_b32_e32 v1, 0xfffff, v18
	s_delay_alu instid0(VALU_DEP_2) | instskip(NEXT) | instid1(VALU_DEP_2)
	v_add_nc_u32_e32 v6, 6, v4
	v_add_nc_u32_e32 v54, v1, v16
                                        ; implicit-def: $vgpr16_vgpr17
                                        ; implicit-def: $vgpr1
	s_delay_alu instid0(VALU_DEP_2)
	v_cmpx_ne_u32_e32 0, v6
	s_xor_b32 s10, exec_lo, s10
; %bb.4757:                             ;   in Loop: Header=BB6_4515 Depth=2
	s_delay_alu instid0(VALU_DEP_2) | instskip(SKIP_2) | instid1(VALU_DEP_2)
	v_cmp_lt_u64_e32 vcc_lo, 0xffffff, v[54:55]
	v_add_nc_u32_e32 v1, 7, v4
	v_cndmask_b32_e64 v4, 0, 1, vcc_lo
	v_cndmask_b32_e32 v1, v6, v1, vcc_lo
	s_delay_alu instid0(VALU_DEP_2)
	v_lshrrev_b64 v[16:17], v4, v[54:55]
; %bb.4758:                             ;   in Loop: Header=BB6_4515 Depth=2
	s_and_not1_saveexec_b32 s10, s10
; %bb.4759:                             ;   in Loop: Header=BB6_4515 Depth=2
	v_mov_b64_e32 v[16:17], v[54:55]
	v_bfe_u32 v1, v54, 23, 1
; %bb.4760:                             ;   in Loop: Header=BB6_4515 Depth=2
	s_or_b32 exec_lo, exec_lo, s10
	s_delay_alu instid0(VALU_DEP_2) | instskip(NEXT) | instid1(VALU_DEP_2)
	v_lshrrev_b64 v[6:7], 20, v[16:17]
	v_cmp_gt_i32_e32 vcc_lo, 16, v1
	v_cmp_ne_u32_e64 s10, 0, v1
                                        ; implicit-def: $vgpr102
	s_delay_alu instid0(VALU_DEP_3) | instskip(NEXT) | instid1(VALU_DEP_1)
	v_dual_cndmask_b32 v17, 0, v7 :: v_dual_cndmask_b32 v16, 7, v6
	v_cmp_ne_u64_e32 vcc_lo, 0, v[16:17]
	s_or_b32 s10, s10, vcc_lo
	s_delay_alu instid0(SALU_CYCLE_1) | instskip(NEXT) | instid1(SALU_CYCLE_1)
	s_and_saveexec_b32 s42, s10
	s_xor_b32 s10, exec_lo, s42
; %bb.4761:                             ;   in Loop: Header=BB6_4515 Depth=2
	v_min_i32_e32 v1, 15, v1
	s_delay_alu instid0(VALU_DEP_1) | instskip(NEXT) | instid1(VALU_DEP_1)
	v_lshl_or_b32 v0, v1, 3, v0
	v_and_or_b32 v102, v16, 7, v0
                                        ; implicit-def: $vgpr0
; %bb.4762:                             ;   in Loop: Header=BB6_4515 Depth=2
	s_and_not1_saveexec_b32 s10, s10
; %bb.4763:                             ;   in Loop: Header=BB6_4515 Depth=2
	v_mov_b32_e32 v102, v0
; %bb.4764:                             ;   in Loop: Header=BB6_4515 Depth=2
	s_or_b32 exec_lo, exec_lo, s10
.LBB6_4765:                             ;   in Loop: Header=BB6_4515 Depth=2
	s_delay_alu instid0(SALU_CYCLE_1)
	s_or_b32 exec_lo, exec_lo, s41
                                        ; implicit-def: $vgpr0
.LBB6_4766:                             ;   in Loop: Header=BB6_4515 Depth=2
	s_and_not1_saveexec_b32 s10, s40
; %bb.4767:                             ;   in Loop: Header=BB6_4515 Depth=2
	v_or_b32_e32 v102, 0x7e, v0
; %bb.4768:                             ;   in Loop: Header=BB6_4515 Depth=2
	s_or_b32 exec_lo, exec_lo, s10
                                        ; implicit-def: $vgpr0
.LBB6_4769:                             ;   in Loop: Header=BB6_4515 Depth=2
	s_and_not1_saveexec_b32 s10, s11
; %bb.4770:                             ;   in Loop: Header=BB6_4515 Depth=2
	v_or_b32_e32 v102, 0x7f, v0
; %bb.4771:                             ;   in Loop: Header=BB6_4515 Depth=2
	s_or_b32 exec_lo, exec_lo, s10
	flat_load_u8 v0, v[10:11] offset:288 th:TH_LOAD_NT
	v_mov_b32_e32 v1, 0
	s_mov_b32 s10, exec_lo
	s_wait_loadcnt_dscnt 0x0
	s_wait_xcnt 0x0
	v_cmpx_ne_u16_e32 0, v0
	s_cbranch_execz .LBB6_4779
; %bb.4772:                             ;   in Loop: Header=BB6_4515 Depth=2
	v_bfrev_b32_e32 v1, 1
	s_mov_b32 s11, exec_lo
	v_cmpx_ne_u16_e32 0x80, v0
	s_cbranch_execz .LBB6_4778
; %bb.4773:                             ;   in Loop: Header=BB6_4515 Depth=2
	v_and_b32_e32 v6, 0xffff, v0
	v_mov_b32_e32 v1, 0x7f800001
	s_mov_b32 s40, exec_lo
	s_delay_alu instid0(VALU_DEP_2) | instskip(NEXT) | instid1(VALU_DEP_1)
	v_and_b32_e32 v4, 0x7f, v6
	v_cmpx_ne_u32_e32 0x7f, v4
	s_cbranch_execz .LBB6_4777
; %bb.4774:                             ;   in Loop: Header=BB6_4515 Depth=2
	v_dual_lshrrev_b32 v1, 3, v4 :: v_dual_bitop2_b32 v54, 7, v6 bitop3:0x40
	s_mov_b32 s41, exec_lo
	s_delay_alu instid0(VALU_DEP_1)
	v_mov_b64_e32 v[16:17], v[54:55]
	v_cmpx_gt_u32_e32 8, v4
; %bb.4775:                             ;   in Loop: Header=BB6_4515 Depth=2
	v_clz_i32_u32_e32 v1, v54
	s_delay_alu instid0(VALU_DEP_1) | instskip(NEXT) | instid1(VALU_DEP_1)
	v_min_u32_e32 v1, 32, v1
	v_subrev_nc_u32_e32 v4, 28, v1
	s_delay_alu instid0(VALU_DEP_1) | instskip(NEXT) | instid1(VALU_DEP_1)
	v_lshlrev_b64_e32 v[6:7], v4, v[54:55]
	v_dual_sub_nc_u32 v1, 29, v1 :: v_dual_bitop2_b32 v16, 7, v6 bitop3:0x40
; %bb.4776:                             ;   in Loop: Header=BB6_4515 Depth=2
	s_or_b32 exec_lo, exec_lo, s41
	v_lshlrev_b32_e32 v0, 24, v0
	s_delay_alu instid0(VALU_DEP_2) | instskip(NEXT) | instid1(VALU_DEP_3)
	v_lshlrev_b32_e32 v4, 20, v16
	v_lshl_add_u32 v1, v1, 23, 0x3c000000
	s_delay_alu instid0(VALU_DEP_3) | instskip(NEXT) | instid1(VALU_DEP_1)
	v_and_b32_e32 v0, 0x80000000, v0
	v_or3_b32 v1, v4, v0, v1
.LBB6_4777:                             ;   in Loop: Header=BB6_4515 Depth=2
	s_or_b32 exec_lo, exec_lo, s40
.LBB6_4778:                             ;   in Loop: Header=BB6_4515 Depth=2
	s_delay_alu instid0(SALU_CYCLE_1)
	s_or_b32 exec_lo, exec_lo, s11
.LBB6_4779:                             ;   in Loop: Header=BB6_4515 Depth=2
	s_delay_alu instid0(SALU_CYCLE_1) | instskip(NEXT) | instid1(VALU_DEP_1)
	s_or_b32 exec_lo, exec_lo, s10
	v_mul_f32_e32 v1, s29, v1
                                        ; implicit-def: $vgpr99
	s_mov_b32 s10, exec_lo
	s_delay_alu instid0(VALU_DEP_1) | instskip(SKIP_1) | instid1(VALU_DEP_2)
	v_and_b32_e32 v54, 0x7f800000, v1
	v_lshrrev_b32_e32 v0, 24, v1
	v_cmpx_ne_u64_e32 0x7f800000, v[54:55]
	s_xor_b32 s11, exec_lo, s10
	s_cbranch_execz .LBB6_4797
; %bb.4780:                             ;   in Loop: Header=BB6_4515 Depth=2
	v_and_b32_e32 v54, 0x7fffffff, v1
	v_and_b32_e32 v0, 0x80, v0
                                        ; implicit-def: $vgpr99
	s_mov_b32 s10, exec_lo
	s_delay_alu instid0(VALU_DEP_2)
	v_cmpx_gt_u64_e32 0x43e00001, v[54:55]
	s_xor_b32 s40, exec_lo, s10
	s_cbranch_execz .LBB6_4794
; %bb.4781:                             ;   in Loop: Header=BB6_4515 Depth=2
	v_mov_b32_e32 v99, 0
	s_mov_b32 s41, exec_lo
	v_cmpx_ne_u32_e32 0, v1
	s_cbranch_execz .LBB6_4793
; %bb.4782:                             ;   in Loop: Header=BB6_4515 Depth=2
	v_bfe_u32 v4, v1, 23, 8
	v_and_b32_e32 v1, 0x7fffff, v1
	s_delay_alu instid0(VALU_DEP_2) | instskip(SKIP_1) | instid1(VALU_DEP_3)
	v_sub_nc_u32_e32 v6, 0x79, v4
	v_cmp_gt_u32_e32 vcc_lo, 0x7a, v4
	v_or_b32_e32 v16, 0x800000, v1
	s_delay_alu instid0(VALU_DEP_3) | instskip(SKIP_1) | instid1(VALU_DEP_3)
	v_cndmask_b32_e32 v6, 0, v6, vcc_lo
	v_cmp_eq_u32_e32 vcc_lo, 0, v4
	v_cndmask_b32_e32 v54, v16, v1, vcc_lo
	s_delay_alu instid0(VALU_DEP_3) | instskip(NEXT) | instid1(VALU_DEP_1)
	v_cndmask_b32_e64 v6, v6, 0x78, vcc_lo
	v_add_nc_u32_e32 v7, 20, v6
	s_delay_alu instid0(VALU_DEP_3) | instskip(NEXT) | instid1(VALU_DEP_2)
	v_lshrrev_b64 v[16:17], v6, v[54:55]
	v_lshlrev_b64_e64 v[8:9], v7, -1
	v_add_nc_u32_e32 v7, 19, v6
	s_delay_alu instid0(VALU_DEP_1) | instskip(NEXT) | instid1(VALU_DEP_3)
	v_lshlrev_b64_e64 v[18:19], v7, 1
	v_bfi_b32 v9, v9, 0, 0
	s_delay_alu instid0(VALU_DEP_4) | instskip(NEXT) | instid1(VALU_DEP_1)
	v_bfi_b32 v8, v8, 0, v54
	v_cmp_eq_u64_e64 s10, v[8:9], v[18:19]
	v_mov_b64_e32 v[18:19], v[16:17]
	s_and_saveexec_b32 s42, s10
; %bb.4783:                             ;   in Loop: Header=BB6_4515 Depth=2
	v_bfe_u32 v54, v16, 20, 1
	s_delay_alu instid0(VALU_DEP_1) | instskip(NEXT) | instid1(VALU_DEP_1)
	v_add_nc_u64_e32 v[8:9], v[16:17], v[54:55]
	v_add_nc_u64_e32 v[18:19], -1, v[8:9]
; %bb.4784:                             ;   in Loop: Header=BB6_4515 Depth=2
	s_or_b32 exec_lo, exec_lo, s42
	v_add_nc_u32_e32 v1, 0xffffff81, v4
	v_lshrrev_b32_e32 v4, 23, v16
	s_mov_b32 s10, exec_lo
	s_delay_alu instid0(VALU_DEP_2) | instskip(NEXT) | instid1(VALU_DEP_1)
	v_cndmask_b32_e64 v1, v1, 0xffffff82, vcc_lo
	v_add3_u32 v4, v6, v1, v4
	v_and_b32_e32 v1, 0xfffff, v18
	s_delay_alu instid0(VALU_DEP_2) | instskip(NEXT) | instid1(VALU_DEP_2)
	v_add_nc_u32_e32 v6, 6, v4
	v_add_nc_u32_e32 v54, v1, v16
                                        ; implicit-def: $vgpr16_vgpr17
                                        ; implicit-def: $vgpr1
	s_delay_alu instid0(VALU_DEP_2)
	v_cmpx_ne_u32_e32 0, v6
	s_xor_b32 s10, exec_lo, s10
; %bb.4785:                             ;   in Loop: Header=BB6_4515 Depth=2
	s_delay_alu instid0(VALU_DEP_2) | instskip(SKIP_2) | instid1(VALU_DEP_2)
	v_cmp_lt_u64_e32 vcc_lo, 0xffffff, v[54:55]
	v_add_nc_u32_e32 v1, 7, v4
	v_cndmask_b32_e64 v4, 0, 1, vcc_lo
	v_cndmask_b32_e32 v1, v6, v1, vcc_lo
	s_delay_alu instid0(VALU_DEP_2)
	v_lshrrev_b64 v[16:17], v4, v[54:55]
; %bb.4786:                             ;   in Loop: Header=BB6_4515 Depth=2
	s_and_not1_saveexec_b32 s10, s10
; %bb.4787:                             ;   in Loop: Header=BB6_4515 Depth=2
	v_mov_b64_e32 v[16:17], v[54:55]
	v_bfe_u32 v1, v54, 23, 1
; %bb.4788:                             ;   in Loop: Header=BB6_4515 Depth=2
	s_or_b32 exec_lo, exec_lo, s10
	s_delay_alu instid0(VALU_DEP_2) | instskip(NEXT) | instid1(VALU_DEP_2)
	v_lshrrev_b64 v[6:7], 20, v[16:17]
	v_cmp_gt_i32_e32 vcc_lo, 16, v1
	v_cmp_ne_u32_e64 s10, 0, v1
                                        ; implicit-def: $vgpr99
	s_delay_alu instid0(VALU_DEP_3) | instskip(NEXT) | instid1(VALU_DEP_1)
	v_dual_cndmask_b32 v17, 0, v7 :: v_dual_cndmask_b32 v16, 7, v6
	v_cmp_ne_u64_e32 vcc_lo, 0, v[16:17]
	s_or_b32 s10, s10, vcc_lo
	s_delay_alu instid0(SALU_CYCLE_1) | instskip(NEXT) | instid1(SALU_CYCLE_1)
	s_and_saveexec_b32 s42, s10
	s_xor_b32 s10, exec_lo, s42
; %bb.4789:                             ;   in Loop: Header=BB6_4515 Depth=2
	v_min_i32_e32 v1, 15, v1
	s_delay_alu instid0(VALU_DEP_1) | instskip(NEXT) | instid1(VALU_DEP_1)
	v_lshl_or_b32 v0, v1, 3, v0
	v_and_or_b32 v99, v16, 7, v0
                                        ; implicit-def: $vgpr0
; %bb.4790:                             ;   in Loop: Header=BB6_4515 Depth=2
	s_and_not1_saveexec_b32 s10, s10
; %bb.4791:                             ;   in Loop: Header=BB6_4515 Depth=2
	v_mov_b32_e32 v99, v0
; %bb.4792:                             ;   in Loop: Header=BB6_4515 Depth=2
	s_or_b32 exec_lo, exec_lo, s10
.LBB6_4793:                             ;   in Loop: Header=BB6_4515 Depth=2
	s_delay_alu instid0(SALU_CYCLE_1)
	s_or_b32 exec_lo, exec_lo, s41
                                        ; implicit-def: $vgpr0
.LBB6_4794:                             ;   in Loop: Header=BB6_4515 Depth=2
	s_and_not1_saveexec_b32 s10, s40
; %bb.4795:                             ;   in Loop: Header=BB6_4515 Depth=2
	v_or_b32_e32 v99, 0x7e, v0
; %bb.4796:                             ;   in Loop: Header=BB6_4515 Depth=2
	s_or_b32 exec_lo, exec_lo, s10
                                        ; implicit-def: $vgpr0
.LBB6_4797:                             ;   in Loop: Header=BB6_4515 Depth=2
	s_and_not1_saveexec_b32 s10, s11
; %bb.4798:                             ;   in Loop: Header=BB6_4515 Depth=2
	v_or_b32_e32 v99, 0x7f, v0
; %bb.4799:                             ;   in Loop: Header=BB6_4515 Depth=2
	s_or_b32 exec_lo, exec_lo, s10
	flat_load_u8 v0, v[10:11] offset:320 th:TH_LOAD_NT
	v_mov_b32_e32 v1, 0
	s_mov_b32 s10, exec_lo
	s_wait_loadcnt_dscnt 0x0
	s_wait_xcnt 0x0
	v_cmpx_ne_u16_e32 0, v0
	s_cbranch_execz .LBB6_4807
; %bb.4800:                             ;   in Loop: Header=BB6_4515 Depth=2
	v_bfrev_b32_e32 v1, 1
	s_mov_b32 s11, exec_lo
	v_cmpx_ne_u16_e32 0x80, v0
	s_cbranch_execz .LBB6_4806
; %bb.4801:                             ;   in Loop: Header=BB6_4515 Depth=2
	v_and_b32_e32 v6, 0xffff, v0
	v_mov_b32_e32 v1, 0x7f800001
	s_mov_b32 s40, exec_lo
	s_delay_alu instid0(VALU_DEP_2) | instskip(NEXT) | instid1(VALU_DEP_1)
	v_and_b32_e32 v4, 0x7f, v6
	v_cmpx_ne_u32_e32 0x7f, v4
	s_cbranch_execz .LBB6_4805
; %bb.4802:                             ;   in Loop: Header=BB6_4515 Depth=2
	v_dual_lshrrev_b32 v1, 3, v4 :: v_dual_bitop2_b32 v54, 7, v6 bitop3:0x40
	s_mov_b32 s41, exec_lo
	s_delay_alu instid0(VALU_DEP_1)
	v_mov_b64_e32 v[16:17], v[54:55]
	v_cmpx_gt_u32_e32 8, v4
; %bb.4803:                             ;   in Loop: Header=BB6_4515 Depth=2
	v_clz_i32_u32_e32 v1, v54
	s_delay_alu instid0(VALU_DEP_1) | instskip(NEXT) | instid1(VALU_DEP_1)
	v_min_u32_e32 v1, 32, v1
	v_subrev_nc_u32_e32 v4, 28, v1
	s_delay_alu instid0(VALU_DEP_1) | instskip(NEXT) | instid1(VALU_DEP_1)
	v_lshlrev_b64_e32 v[6:7], v4, v[54:55]
	v_dual_sub_nc_u32 v1, 29, v1 :: v_dual_bitop2_b32 v16, 7, v6 bitop3:0x40
; %bb.4804:                             ;   in Loop: Header=BB6_4515 Depth=2
	s_or_b32 exec_lo, exec_lo, s41
	v_lshlrev_b32_e32 v0, 24, v0
	s_delay_alu instid0(VALU_DEP_2) | instskip(NEXT) | instid1(VALU_DEP_3)
	v_lshlrev_b32_e32 v4, 20, v16
	v_lshl_add_u32 v1, v1, 23, 0x3c000000
	s_delay_alu instid0(VALU_DEP_3) | instskip(NEXT) | instid1(VALU_DEP_1)
	v_and_b32_e32 v0, 0x80000000, v0
	v_or3_b32 v1, v4, v0, v1
.LBB6_4805:                             ;   in Loop: Header=BB6_4515 Depth=2
	s_or_b32 exec_lo, exec_lo, s40
.LBB6_4806:                             ;   in Loop: Header=BB6_4515 Depth=2
	s_delay_alu instid0(SALU_CYCLE_1)
	s_or_b32 exec_lo, exec_lo, s11
.LBB6_4807:                             ;   in Loop: Header=BB6_4515 Depth=2
	s_delay_alu instid0(SALU_CYCLE_1) | instskip(NEXT) | instid1(VALU_DEP_1)
	s_or_b32 exec_lo, exec_lo, s10
	v_mul_f32_e32 v1, s29, v1
                                        ; implicit-def: $vgpr98
	s_mov_b32 s10, exec_lo
	s_delay_alu instid0(VALU_DEP_1) | instskip(SKIP_1) | instid1(VALU_DEP_2)
	v_and_b32_e32 v54, 0x7f800000, v1
	v_lshrrev_b32_e32 v0, 24, v1
	v_cmpx_ne_u64_e32 0x7f800000, v[54:55]
	s_xor_b32 s11, exec_lo, s10
	s_cbranch_execz .LBB6_4825
; %bb.4808:                             ;   in Loop: Header=BB6_4515 Depth=2
	v_and_b32_e32 v54, 0x7fffffff, v1
	v_and_b32_e32 v0, 0x80, v0
                                        ; implicit-def: $vgpr98
	s_mov_b32 s10, exec_lo
	s_delay_alu instid0(VALU_DEP_2)
	v_cmpx_gt_u64_e32 0x43e00001, v[54:55]
	s_xor_b32 s40, exec_lo, s10
	s_cbranch_execz .LBB6_4822
; %bb.4809:                             ;   in Loop: Header=BB6_4515 Depth=2
	v_mov_b32_e32 v98, 0
	s_mov_b32 s41, exec_lo
	v_cmpx_ne_u32_e32 0, v1
	s_cbranch_execz .LBB6_4821
; %bb.4810:                             ;   in Loop: Header=BB6_4515 Depth=2
	v_bfe_u32 v4, v1, 23, 8
	v_and_b32_e32 v1, 0x7fffff, v1
	s_delay_alu instid0(VALU_DEP_2) | instskip(SKIP_1) | instid1(VALU_DEP_3)
	v_sub_nc_u32_e32 v6, 0x79, v4
	v_cmp_gt_u32_e32 vcc_lo, 0x7a, v4
	v_or_b32_e32 v16, 0x800000, v1
	s_delay_alu instid0(VALU_DEP_3) | instskip(SKIP_1) | instid1(VALU_DEP_3)
	v_cndmask_b32_e32 v6, 0, v6, vcc_lo
	v_cmp_eq_u32_e32 vcc_lo, 0, v4
	v_cndmask_b32_e32 v54, v16, v1, vcc_lo
	s_delay_alu instid0(VALU_DEP_3) | instskip(NEXT) | instid1(VALU_DEP_1)
	v_cndmask_b32_e64 v6, v6, 0x78, vcc_lo
	v_add_nc_u32_e32 v7, 20, v6
	s_delay_alu instid0(VALU_DEP_3) | instskip(NEXT) | instid1(VALU_DEP_2)
	v_lshrrev_b64 v[16:17], v6, v[54:55]
	v_lshlrev_b64_e64 v[8:9], v7, -1
	v_add_nc_u32_e32 v7, 19, v6
	s_delay_alu instid0(VALU_DEP_1) | instskip(NEXT) | instid1(VALU_DEP_3)
	v_lshlrev_b64_e64 v[18:19], v7, 1
	v_bfi_b32 v9, v9, 0, 0
	s_delay_alu instid0(VALU_DEP_4) | instskip(NEXT) | instid1(VALU_DEP_1)
	v_bfi_b32 v8, v8, 0, v54
	v_cmp_eq_u64_e64 s10, v[8:9], v[18:19]
	v_mov_b64_e32 v[18:19], v[16:17]
	s_and_saveexec_b32 s42, s10
; %bb.4811:                             ;   in Loop: Header=BB6_4515 Depth=2
	v_bfe_u32 v54, v16, 20, 1
	s_delay_alu instid0(VALU_DEP_1) | instskip(NEXT) | instid1(VALU_DEP_1)
	v_add_nc_u64_e32 v[8:9], v[16:17], v[54:55]
	v_add_nc_u64_e32 v[18:19], -1, v[8:9]
; %bb.4812:                             ;   in Loop: Header=BB6_4515 Depth=2
	s_or_b32 exec_lo, exec_lo, s42
	v_add_nc_u32_e32 v1, 0xffffff81, v4
	v_lshrrev_b32_e32 v4, 23, v16
	s_mov_b32 s10, exec_lo
	s_delay_alu instid0(VALU_DEP_2) | instskip(NEXT) | instid1(VALU_DEP_1)
	v_cndmask_b32_e64 v1, v1, 0xffffff82, vcc_lo
	v_add3_u32 v4, v6, v1, v4
	v_and_b32_e32 v1, 0xfffff, v18
	s_delay_alu instid0(VALU_DEP_2) | instskip(NEXT) | instid1(VALU_DEP_2)
	v_add_nc_u32_e32 v6, 6, v4
	v_add_nc_u32_e32 v54, v1, v16
                                        ; implicit-def: $vgpr16_vgpr17
                                        ; implicit-def: $vgpr1
	s_delay_alu instid0(VALU_DEP_2)
	v_cmpx_ne_u32_e32 0, v6
	s_xor_b32 s10, exec_lo, s10
; %bb.4813:                             ;   in Loop: Header=BB6_4515 Depth=2
	s_delay_alu instid0(VALU_DEP_2) | instskip(SKIP_2) | instid1(VALU_DEP_2)
	v_cmp_lt_u64_e32 vcc_lo, 0xffffff, v[54:55]
	v_add_nc_u32_e32 v1, 7, v4
	v_cndmask_b32_e64 v4, 0, 1, vcc_lo
	v_cndmask_b32_e32 v1, v6, v1, vcc_lo
	s_delay_alu instid0(VALU_DEP_2)
	v_lshrrev_b64 v[16:17], v4, v[54:55]
; %bb.4814:                             ;   in Loop: Header=BB6_4515 Depth=2
	s_and_not1_saveexec_b32 s10, s10
; %bb.4815:                             ;   in Loop: Header=BB6_4515 Depth=2
	v_mov_b64_e32 v[16:17], v[54:55]
	v_bfe_u32 v1, v54, 23, 1
; %bb.4816:                             ;   in Loop: Header=BB6_4515 Depth=2
	s_or_b32 exec_lo, exec_lo, s10
	s_delay_alu instid0(VALU_DEP_2) | instskip(NEXT) | instid1(VALU_DEP_2)
	v_lshrrev_b64 v[6:7], 20, v[16:17]
	v_cmp_gt_i32_e32 vcc_lo, 16, v1
	v_cmp_ne_u32_e64 s10, 0, v1
                                        ; implicit-def: $vgpr98
	s_delay_alu instid0(VALU_DEP_3) | instskip(NEXT) | instid1(VALU_DEP_1)
	v_dual_cndmask_b32 v17, 0, v7 :: v_dual_cndmask_b32 v16, 7, v6
	v_cmp_ne_u64_e32 vcc_lo, 0, v[16:17]
	s_or_b32 s10, s10, vcc_lo
	s_delay_alu instid0(SALU_CYCLE_1) | instskip(NEXT) | instid1(SALU_CYCLE_1)
	s_and_saveexec_b32 s42, s10
	s_xor_b32 s10, exec_lo, s42
; %bb.4817:                             ;   in Loop: Header=BB6_4515 Depth=2
	v_min_i32_e32 v1, 15, v1
	s_delay_alu instid0(VALU_DEP_1) | instskip(NEXT) | instid1(VALU_DEP_1)
	v_lshl_or_b32 v0, v1, 3, v0
	v_and_or_b32 v98, v16, 7, v0
                                        ; implicit-def: $vgpr0
; %bb.4818:                             ;   in Loop: Header=BB6_4515 Depth=2
	s_and_not1_saveexec_b32 s10, s10
; %bb.4819:                             ;   in Loop: Header=BB6_4515 Depth=2
	v_mov_b32_e32 v98, v0
; %bb.4820:                             ;   in Loop: Header=BB6_4515 Depth=2
	s_or_b32 exec_lo, exec_lo, s10
.LBB6_4821:                             ;   in Loop: Header=BB6_4515 Depth=2
	s_delay_alu instid0(SALU_CYCLE_1)
	s_or_b32 exec_lo, exec_lo, s41
                                        ; implicit-def: $vgpr0
.LBB6_4822:                             ;   in Loop: Header=BB6_4515 Depth=2
	s_and_not1_saveexec_b32 s10, s40
; %bb.4823:                             ;   in Loop: Header=BB6_4515 Depth=2
	v_or_b32_e32 v98, 0x7e, v0
; %bb.4824:                             ;   in Loop: Header=BB6_4515 Depth=2
	s_or_b32 exec_lo, exec_lo, s10
                                        ; implicit-def: $vgpr0
.LBB6_4825:                             ;   in Loop: Header=BB6_4515 Depth=2
	s_and_not1_saveexec_b32 s10, s11
; %bb.4826:                             ;   in Loop: Header=BB6_4515 Depth=2
	v_or_b32_e32 v98, 0x7f, v0
; %bb.4827:                             ;   in Loop: Header=BB6_4515 Depth=2
	s_or_b32 exec_lo, exec_lo, s10
	flat_load_u8 v0, v[10:11] offset:352 th:TH_LOAD_NT
	v_mov_b32_e32 v1, 0
	s_mov_b32 s10, exec_lo
	s_wait_loadcnt_dscnt 0x0
	s_wait_xcnt 0x0
	v_cmpx_ne_u16_e32 0, v0
	s_cbranch_execz .LBB6_4835
; %bb.4828:                             ;   in Loop: Header=BB6_4515 Depth=2
	v_bfrev_b32_e32 v1, 1
	s_mov_b32 s11, exec_lo
	v_cmpx_ne_u16_e32 0x80, v0
	s_cbranch_execz .LBB6_4834
; %bb.4829:                             ;   in Loop: Header=BB6_4515 Depth=2
	v_and_b32_e32 v6, 0xffff, v0
	v_mov_b32_e32 v1, 0x7f800001
	s_mov_b32 s40, exec_lo
	s_delay_alu instid0(VALU_DEP_2) | instskip(NEXT) | instid1(VALU_DEP_1)
	v_and_b32_e32 v4, 0x7f, v6
	v_cmpx_ne_u32_e32 0x7f, v4
	s_cbranch_execz .LBB6_4833
; %bb.4830:                             ;   in Loop: Header=BB6_4515 Depth=2
	v_dual_lshrrev_b32 v1, 3, v4 :: v_dual_bitop2_b32 v54, 7, v6 bitop3:0x40
	s_mov_b32 s41, exec_lo
	s_delay_alu instid0(VALU_DEP_1)
	v_mov_b64_e32 v[16:17], v[54:55]
	v_cmpx_gt_u32_e32 8, v4
; %bb.4831:                             ;   in Loop: Header=BB6_4515 Depth=2
	v_clz_i32_u32_e32 v1, v54
	s_delay_alu instid0(VALU_DEP_1) | instskip(NEXT) | instid1(VALU_DEP_1)
	v_min_u32_e32 v1, 32, v1
	v_subrev_nc_u32_e32 v4, 28, v1
	s_delay_alu instid0(VALU_DEP_1) | instskip(NEXT) | instid1(VALU_DEP_1)
	v_lshlrev_b64_e32 v[6:7], v4, v[54:55]
	v_dual_sub_nc_u32 v1, 29, v1 :: v_dual_bitop2_b32 v16, 7, v6 bitop3:0x40
; %bb.4832:                             ;   in Loop: Header=BB6_4515 Depth=2
	s_or_b32 exec_lo, exec_lo, s41
	v_lshlrev_b32_e32 v0, 24, v0
	s_delay_alu instid0(VALU_DEP_2) | instskip(NEXT) | instid1(VALU_DEP_3)
	v_lshlrev_b32_e32 v4, 20, v16
	v_lshl_add_u32 v1, v1, 23, 0x3c000000
	s_delay_alu instid0(VALU_DEP_3) | instskip(NEXT) | instid1(VALU_DEP_1)
	v_and_b32_e32 v0, 0x80000000, v0
	v_or3_b32 v1, v4, v0, v1
.LBB6_4833:                             ;   in Loop: Header=BB6_4515 Depth=2
	s_or_b32 exec_lo, exec_lo, s40
.LBB6_4834:                             ;   in Loop: Header=BB6_4515 Depth=2
	s_delay_alu instid0(SALU_CYCLE_1)
	s_or_b32 exec_lo, exec_lo, s11
.LBB6_4835:                             ;   in Loop: Header=BB6_4515 Depth=2
	s_delay_alu instid0(SALU_CYCLE_1) | instskip(NEXT) | instid1(VALU_DEP_1)
	s_or_b32 exec_lo, exec_lo, s10
	v_mul_f32_e32 v1, s29, v1
                                        ; implicit-def: $vgpr97
	s_mov_b32 s10, exec_lo
	s_delay_alu instid0(VALU_DEP_1) | instskip(SKIP_1) | instid1(VALU_DEP_2)
	v_and_b32_e32 v54, 0x7f800000, v1
	v_lshrrev_b32_e32 v0, 24, v1
	v_cmpx_ne_u64_e32 0x7f800000, v[54:55]
	s_xor_b32 s11, exec_lo, s10
	s_cbranch_execz .LBB6_4853
; %bb.4836:                             ;   in Loop: Header=BB6_4515 Depth=2
	v_and_b32_e32 v54, 0x7fffffff, v1
	v_and_b32_e32 v0, 0x80, v0
                                        ; implicit-def: $vgpr97
	s_mov_b32 s10, exec_lo
	s_delay_alu instid0(VALU_DEP_2)
	v_cmpx_gt_u64_e32 0x43e00001, v[54:55]
	s_xor_b32 s40, exec_lo, s10
	s_cbranch_execz .LBB6_4850
; %bb.4837:                             ;   in Loop: Header=BB6_4515 Depth=2
	v_mov_b32_e32 v97, 0
	s_mov_b32 s41, exec_lo
	v_cmpx_ne_u32_e32 0, v1
	s_cbranch_execz .LBB6_4849
; %bb.4838:                             ;   in Loop: Header=BB6_4515 Depth=2
	v_bfe_u32 v4, v1, 23, 8
	v_and_b32_e32 v1, 0x7fffff, v1
	s_delay_alu instid0(VALU_DEP_2) | instskip(SKIP_1) | instid1(VALU_DEP_3)
	v_sub_nc_u32_e32 v6, 0x79, v4
	v_cmp_gt_u32_e32 vcc_lo, 0x7a, v4
	v_or_b32_e32 v16, 0x800000, v1
	s_delay_alu instid0(VALU_DEP_3) | instskip(SKIP_1) | instid1(VALU_DEP_3)
	v_cndmask_b32_e32 v6, 0, v6, vcc_lo
	v_cmp_eq_u32_e32 vcc_lo, 0, v4
	v_cndmask_b32_e32 v54, v16, v1, vcc_lo
	s_delay_alu instid0(VALU_DEP_3) | instskip(NEXT) | instid1(VALU_DEP_1)
	v_cndmask_b32_e64 v6, v6, 0x78, vcc_lo
	v_add_nc_u32_e32 v7, 20, v6
	s_delay_alu instid0(VALU_DEP_3) | instskip(NEXT) | instid1(VALU_DEP_2)
	v_lshrrev_b64 v[16:17], v6, v[54:55]
	v_lshlrev_b64_e64 v[8:9], v7, -1
	v_add_nc_u32_e32 v7, 19, v6
	s_delay_alu instid0(VALU_DEP_1) | instskip(NEXT) | instid1(VALU_DEP_3)
	v_lshlrev_b64_e64 v[18:19], v7, 1
	v_bfi_b32 v9, v9, 0, 0
	s_delay_alu instid0(VALU_DEP_4) | instskip(NEXT) | instid1(VALU_DEP_1)
	v_bfi_b32 v8, v8, 0, v54
	v_cmp_eq_u64_e64 s10, v[8:9], v[18:19]
	v_mov_b64_e32 v[18:19], v[16:17]
	s_and_saveexec_b32 s42, s10
; %bb.4839:                             ;   in Loop: Header=BB6_4515 Depth=2
	v_bfe_u32 v54, v16, 20, 1
	s_delay_alu instid0(VALU_DEP_1) | instskip(NEXT) | instid1(VALU_DEP_1)
	v_add_nc_u64_e32 v[8:9], v[16:17], v[54:55]
	v_add_nc_u64_e32 v[18:19], -1, v[8:9]
; %bb.4840:                             ;   in Loop: Header=BB6_4515 Depth=2
	s_or_b32 exec_lo, exec_lo, s42
	v_add_nc_u32_e32 v1, 0xffffff81, v4
	v_lshrrev_b32_e32 v4, 23, v16
	s_mov_b32 s10, exec_lo
	s_delay_alu instid0(VALU_DEP_2) | instskip(NEXT) | instid1(VALU_DEP_1)
	v_cndmask_b32_e64 v1, v1, 0xffffff82, vcc_lo
	v_add3_u32 v4, v6, v1, v4
	v_and_b32_e32 v1, 0xfffff, v18
	s_delay_alu instid0(VALU_DEP_2) | instskip(NEXT) | instid1(VALU_DEP_2)
	v_add_nc_u32_e32 v6, 6, v4
	v_add_nc_u32_e32 v54, v1, v16
                                        ; implicit-def: $vgpr16_vgpr17
                                        ; implicit-def: $vgpr1
	s_delay_alu instid0(VALU_DEP_2)
	v_cmpx_ne_u32_e32 0, v6
	s_xor_b32 s10, exec_lo, s10
; %bb.4841:                             ;   in Loop: Header=BB6_4515 Depth=2
	s_delay_alu instid0(VALU_DEP_2) | instskip(SKIP_2) | instid1(VALU_DEP_2)
	v_cmp_lt_u64_e32 vcc_lo, 0xffffff, v[54:55]
	v_add_nc_u32_e32 v1, 7, v4
	v_cndmask_b32_e64 v4, 0, 1, vcc_lo
	v_cndmask_b32_e32 v1, v6, v1, vcc_lo
	s_delay_alu instid0(VALU_DEP_2)
	v_lshrrev_b64 v[16:17], v4, v[54:55]
; %bb.4842:                             ;   in Loop: Header=BB6_4515 Depth=2
	s_and_not1_saveexec_b32 s10, s10
; %bb.4843:                             ;   in Loop: Header=BB6_4515 Depth=2
	v_mov_b64_e32 v[16:17], v[54:55]
	v_bfe_u32 v1, v54, 23, 1
; %bb.4844:                             ;   in Loop: Header=BB6_4515 Depth=2
	s_or_b32 exec_lo, exec_lo, s10
	s_delay_alu instid0(VALU_DEP_2) | instskip(NEXT) | instid1(VALU_DEP_2)
	v_lshrrev_b64 v[6:7], 20, v[16:17]
	v_cmp_gt_i32_e32 vcc_lo, 16, v1
	v_cmp_ne_u32_e64 s10, 0, v1
                                        ; implicit-def: $vgpr97
	s_delay_alu instid0(VALU_DEP_3) | instskip(NEXT) | instid1(VALU_DEP_1)
	v_dual_cndmask_b32 v17, 0, v7 :: v_dual_cndmask_b32 v16, 7, v6
	v_cmp_ne_u64_e32 vcc_lo, 0, v[16:17]
	s_or_b32 s10, s10, vcc_lo
	s_delay_alu instid0(SALU_CYCLE_1) | instskip(NEXT) | instid1(SALU_CYCLE_1)
	s_and_saveexec_b32 s42, s10
	s_xor_b32 s10, exec_lo, s42
; %bb.4845:                             ;   in Loop: Header=BB6_4515 Depth=2
	v_min_i32_e32 v1, 15, v1
	s_delay_alu instid0(VALU_DEP_1) | instskip(NEXT) | instid1(VALU_DEP_1)
	v_lshl_or_b32 v0, v1, 3, v0
	v_and_or_b32 v97, v16, 7, v0
                                        ; implicit-def: $vgpr0
; %bb.4846:                             ;   in Loop: Header=BB6_4515 Depth=2
	s_and_not1_saveexec_b32 s10, s10
; %bb.4847:                             ;   in Loop: Header=BB6_4515 Depth=2
	v_mov_b32_e32 v97, v0
; %bb.4848:                             ;   in Loop: Header=BB6_4515 Depth=2
	s_or_b32 exec_lo, exec_lo, s10
.LBB6_4849:                             ;   in Loop: Header=BB6_4515 Depth=2
	s_delay_alu instid0(SALU_CYCLE_1)
	s_or_b32 exec_lo, exec_lo, s41
                                        ; implicit-def: $vgpr0
.LBB6_4850:                             ;   in Loop: Header=BB6_4515 Depth=2
	s_and_not1_saveexec_b32 s10, s40
; %bb.4851:                             ;   in Loop: Header=BB6_4515 Depth=2
	v_or_b32_e32 v97, 0x7e, v0
; %bb.4852:                             ;   in Loop: Header=BB6_4515 Depth=2
	s_or_b32 exec_lo, exec_lo, s10
                                        ; implicit-def: $vgpr0
.LBB6_4853:                             ;   in Loop: Header=BB6_4515 Depth=2
	s_and_not1_saveexec_b32 s10, s11
; %bb.4854:                             ;   in Loop: Header=BB6_4515 Depth=2
	v_or_b32_e32 v97, 0x7f, v0
; %bb.4855:                             ;   in Loop: Header=BB6_4515 Depth=2
	s_or_b32 exec_lo, exec_lo, s10
	flat_load_u8 v0, v[10:11] offset:384 th:TH_LOAD_NT
	v_mov_b32_e32 v1, 0
	s_mov_b32 s10, exec_lo
	s_wait_loadcnt_dscnt 0x0
	s_wait_xcnt 0x0
	v_cmpx_ne_u16_e32 0, v0
	s_cbranch_execz .LBB6_4863
; %bb.4856:                             ;   in Loop: Header=BB6_4515 Depth=2
	v_bfrev_b32_e32 v1, 1
	s_mov_b32 s11, exec_lo
	v_cmpx_ne_u16_e32 0x80, v0
	s_cbranch_execz .LBB6_4862
; %bb.4857:                             ;   in Loop: Header=BB6_4515 Depth=2
	v_and_b32_e32 v6, 0xffff, v0
	v_mov_b32_e32 v1, 0x7f800001
	s_mov_b32 s40, exec_lo
	s_delay_alu instid0(VALU_DEP_2) | instskip(NEXT) | instid1(VALU_DEP_1)
	v_and_b32_e32 v4, 0x7f, v6
	v_cmpx_ne_u32_e32 0x7f, v4
	s_cbranch_execz .LBB6_4861
; %bb.4858:                             ;   in Loop: Header=BB6_4515 Depth=2
	v_dual_lshrrev_b32 v1, 3, v4 :: v_dual_bitop2_b32 v54, 7, v6 bitop3:0x40
	s_mov_b32 s41, exec_lo
	s_delay_alu instid0(VALU_DEP_1)
	v_mov_b64_e32 v[16:17], v[54:55]
	v_cmpx_gt_u32_e32 8, v4
; %bb.4859:                             ;   in Loop: Header=BB6_4515 Depth=2
	v_clz_i32_u32_e32 v1, v54
	s_delay_alu instid0(VALU_DEP_1) | instskip(NEXT) | instid1(VALU_DEP_1)
	v_min_u32_e32 v1, 32, v1
	v_subrev_nc_u32_e32 v4, 28, v1
	s_delay_alu instid0(VALU_DEP_1) | instskip(NEXT) | instid1(VALU_DEP_1)
	v_lshlrev_b64_e32 v[6:7], v4, v[54:55]
	v_dual_sub_nc_u32 v1, 29, v1 :: v_dual_bitop2_b32 v16, 7, v6 bitop3:0x40
; %bb.4860:                             ;   in Loop: Header=BB6_4515 Depth=2
	s_or_b32 exec_lo, exec_lo, s41
	v_lshlrev_b32_e32 v0, 24, v0
	s_delay_alu instid0(VALU_DEP_2) | instskip(NEXT) | instid1(VALU_DEP_3)
	v_lshlrev_b32_e32 v4, 20, v16
	v_lshl_add_u32 v1, v1, 23, 0x3c000000
	s_delay_alu instid0(VALU_DEP_3) | instskip(NEXT) | instid1(VALU_DEP_1)
	v_and_b32_e32 v0, 0x80000000, v0
	v_or3_b32 v1, v4, v0, v1
.LBB6_4861:                             ;   in Loop: Header=BB6_4515 Depth=2
	s_or_b32 exec_lo, exec_lo, s40
.LBB6_4862:                             ;   in Loop: Header=BB6_4515 Depth=2
	s_delay_alu instid0(SALU_CYCLE_1)
	s_or_b32 exec_lo, exec_lo, s11
.LBB6_4863:                             ;   in Loop: Header=BB6_4515 Depth=2
	s_delay_alu instid0(SALU_CYCLE_1) | instskip(NEXT) | instid1(VALU_DEP_1)
	s_or_b32 exec_lo, exec_lo, s10
	v_mul_f32_e32 v1, s29, v1
                                        ; implicit-def: $vgpr66
	s_mov_b32 s10, exec_lo
	s_delay_alu instid0(VALU_DEP_1) | instskip(SKIP_1) | instid1(VALU_DEP_2)
	v_and_b32_e32 v54, 0x7f800000, v1
	v_lshrrev_b32_e32 v0, 24, v1
	v_cmpx_ne_u64_e32 0x7f800000, v[54:55]
	s_xor_b32 s11, exec_lo, s10
	s_cbranch_execz .LBB6_4881
; %bb.4864:                             ;   in Loop: Header=BB6_4515 Depth=2
	v_and_b32_e32 v54, 0x7fffffff, v1
	v_and_b32_e32 v0, 0x80, v0
                                        ; implicit-def: $vgpr66
	s_mov_b32 s10, exec_lo
	s_delay_alu instid0(VALU_DEP_2)
	v_cmpx_gt_u64_e32 0x43e00001, v[54:55]
	s_xor_b32 s40, exec_lo, s10
	s_cbranch_execz .LBB6_4878
; %bb.4865:                             ;   in Loop: Header=BB6_4515 Depth=2
	v_mov_b32_e32 v66, 0
	s_mov_b32 s41, exec_lo
	v_cmpx_ne_u32_e32 0, v1
	s_cbranch_execz .LBB6_4877
; %bb.4866:                             ;   in Loop: Header=BB6_4515 Depth=2
	v_bfe_u32 v4, v1, 23, 8
	v_and_b32_e32 v1, 0x7fffff, v1
	s_delay_alu instid0(VALU_DEP_2) | instskip(SKIP_1) | instid1(VALU_DEP_3)
	v_sub_nc_u32_e32 v6, 0x79, v4
	v_cmp_gt_u32_e32 vcc_lo, 0x7a, v4
	v_or_b32_e32 v16, 0x800000, v1
	s_delay_alu instid0(VALU_DEP_3) | instskip(SKIP_1) | instid1(VALU_DEP_3)
	v_cndmask_b32_e32 v6, 0, v6, vcc_lo
	v_cmp_eq_u32_e32 vcc_lo, 0, v4
	v_cndmask_b32_e32 v54, v16, v1, vcc_lo
	s_delay_alu instid0(VALU_DEP_3) | instskip(NEXT) | instid1(VALU_DEP_1)
	v_cndmask_b32_e64 v6, v6, 0x78, vcc_lo
	v_add_nc_u32_e32 v7, 20, v6
	s_delay_alu instid0(VALU_DEP_3) | instskip(NEXT) | instid1(VALU_DEP_2)
	v_lshrrev_b64 v[16:17], v6, v[54:55]
	v_lshlrev_b64_e64 v[8:9], v7, -1
	v_add_nc_u32_e32 v7, 19, v6
	s_delay_alu instid0(VALU_DEP_1) | instskip(NEXT) | instid1(VALU_DEP_3)
	v_lshlrev_b64_e64 v[18:19], v7, 1
	v_bfi_b32 v9, v9, 0, 0
	s_delay_alu instid0(VALU_DEP_4) | instskip(NEXT) | instid1(VALU_DEP_1)
	v_bfi_b32 v8, v8, 0, v54
	v_cmp_eq_u64_e64 s10, v[8:9], v[18:19]
	v_mov_b64_e32 v[18:19], v[16:17]
	s_and_saveexec_b32 s42, s10
; %bb.4867:                             ;   in Loop: Header=BB6_4515 Depth=2
	v_bfe_u32 v54, v16, 20, 1
	s_delay_alu instid0(VALU_DEP_1) | instskip(NEXT) | instid1(VALU_DEP_1)
	v_add_nc_u64_e32 v[8:9], v[16:17], v[54:55]
	v_add_nc_u64_e32 v[18:19], -1, v[8:9]
; %bb.4868:                             ;   in Loop: Header=BB6_4515 Depth=2
	s_or_b32 exec_lo, exec_lo, s42
	v_add_nc_u32_e32 v1, 0xffffff81, v4
	v_lshrrev_b32_e32 v4, 23, v16
	s_mov_b32 s10, exec_lo
	s_delay_alu instid0(VALU_DEP_2) | instskip(NEXT) | instid1(VALU_DEP_1)
	v_cndmask_b32_e64 v1, v1, 0xffffff82, vcc_lo
	v_add3_u32 v4, v6, v1, v4
	v_and_b32_e32 v1, 0xfffff, v18
	s_delay_alu instid0(VALU_DEP_2) | instskip(NEXT) | instid1(VALU_DEP_2)
	v_add_nc_u32_e32 v6, 6, v4
	v_add_nc_u32_e32 v54, v1, v16
                                        ; implicit-def: $vgpr16_vgpr17
                                        ; implicit-def: $vgpr1
	s_delay_alu instid0(VALU_DEP_2)
	v_cmpx_ne_u32_e32 0, v6
	s_xor_b32 s10, exec_lo, s10
; %bb.4869:                             ;   in Loop: Header=BB6_4515 Depth=2
	s_delay_alu instid0(VALU_DEP_2) | instskip(SKIP_2) | instid1(VALU_DEP_2)
	v_cmp_lt_u64_e32 vcc_lo, 0xffffff, v[54:55]
	v_add_nc_u32_e32 v1, 7, v4
	v_cndmask_b32_e64 v4, 0, 1, vcc_lo
	v_cndmask_b32_e32 v1, v6, v1, vcc_lo
	s_delay_alu instid0(VALU_DEP_2)
	v_lshrrev_b64 v[16:17], v4, v[54:55]
; %bb.4870:                             ;   in Loop: Header=BB6_4515 Depth=2
	s_and_not1_saveexec_b32 s10, s10
; %bb.4871:                             ;   in Loop: Header=BB6_4515 Depth=2
	v_mov_b64_e32 v[16:17], v[54:55]
	v_bfe_u32 v1, v54, 23, 1
; %bb.4872:                             ;   in Loop: Header=BB6_4515 Depth=2
	s_or_b32 exec_lo, exec_lo, s10
	s_delay_alu instid0(VALU_DEP_2) | instskip(NEXT) | instid1(VALU_DEP_2)
	v_lshrrev_b64 v[6:7], 20, v[16:17]
	v_cmp_gt_i32_e32 vcc_lo, 16, v1
	v_cmp_ne_u32_e64 s10, 0, v1
                                        ; implicit-def: $vgpr66
	s_delay_alu instid0(VALU_DEP_3) | instskip(NEXT) | instid1(VALU_DEP_1)
	v_dual_cndmask_b32 v17, 0, v7 :: v_dual_cndmask_b32 v16, 7, v6
	v_cmp_ne_u64_e32 vcc_lo, 0, v[16:17]
	s_or_b32 s10, s10, vcc_lo
	s_delay_alu instid0(SALU_CYCLE_1) | instskip(NEXT) | instid1(SALU_CYCLE_1)
	s_and_saveexec_b32 s42, s10
	s_xor_b32 s10, exec_lo, s42
; %bb.4873:                             ;   in Loop: Header=BB6_4515 Depth=2
	v_min_i32_e32 v1, 15, v1
	s_delay_alu instid0(VALU_DEP_1) | instskip(NEXT) | instid1(VALU_DEP_1)
	v_lshl_or_b32 v0, v1, 3, v0
	v_and_or_b32 v66, v16, 7, v0
                                        ; implicit-def: $vgpr0
; %bb.4874:                             ;   in Loop: Header=BB6_4515 Depth=2
	s_and_not1_saveexec_b32 s10, s10
; %bb.4875:                             ;   in Loop: Header=BB6_4515 Depth=2
	v_mov_b32_e32 v66, v0
; %bb.4876:                             ;   in Loop: Header=BB6_4515 Depth=2
	s_or_b32 exec_lo, exec_lo, s10
.LBB6_4877:                             ;   in Loop: Header=BB6_4515 Depth=2
	s_delay_alu instid0(SALU_CYCLE_1)
	s_or_b32 exec_lo, exec_lo, s41
                                        ; implicit-def: $vgpr0
.LBB6_4878:                             ;   in Loop: Header=BB6_4515 Depth=2
	s_and_not1_saveexec_b32 s10, s40
; %bb.4879:                             ;   in Loop: Header=BB6_4515 Depth=2
	v_or_b32_e32 v66, 0x7e, v0
; %bb.4880:                             ;   in Loop: Header=BB6_4515 Depth=2
	s_or_b32 exec_lo, exec_lo, s10
                                        ; implicit-def: $vgpr0
.LBB6_4881:                             ;   in Loop: Header=BB6_4515 Depth=2
	s_and_not1_saveexec_b32 s10, s11
; %bb.4882:                             ;   in Loop: Header=BB6_4515 Depth=2
	v_or_b32_e32 v66, 0x7f, v0
; %bb.4883:                             ;   in Loop: Header=BB6_4515 Depth=2
	s_or_b32 exec_lo, exec_lo, s10
	flat_load_u8 v0, v[10:11] offset:416 th:TH_LOAD_NT
	v_mov_b32_e32 v1, 0
	s_mov_b32 s10, exec_lo
	s_wait_loadcnt_dscnt 0x0
	s_wait_xcnt 0x0
	v_cmpx_ne_u16_e32 0, v0
	s_cbranch_execz .LBB6_4891
; %bb.4884:                             ;   in Loop: Header=BB6_4515 Depth=2
	v_bfrev_b32_e32 v1, 1
	s_mov_b32 s11, exec_lo
	v_cmpx_ne_u16_e32 0x80, v0
	s_cbranch_execz .LBB6_4890
; %bb.4885:                             ;   in Loop: Header=BB6_4515 Depth=2
	v_and_b32_e32 v6, 0xffff, v0
	v_mov_b32_e32 v1, 0x7f800001
	s_mov_b32 s40, exec_lo
	s_delay_alu instid0(VALU_DEP_2) | instskip(NEXT) | instid1(VALU_DEP_1)
	v_and_b32_e32 v4, 0x7f, v6
	v_cmpx_ne_u32_e32 0x7f, v4
	s_cbranch_execz .LBB6_4889
; %bb.4886:                             ;   in Loop: Header=BB6_4515 Depth=2
	v_dual_lshrrev_b32 v1, 3, v4 :: v_dual_bitop2_b32 v54, 7, v6 bitop3:0x40
	s_mov_b32 s41, exec_lo
	s_delay_alu instid0(VALU_DEP_1)
	v_mov_b64_e32 v[16:17], v[54:55]
	v_cmpx_gt_u32_e32 8, v4
; %bb.4887:                             ;   in Loop: Header=BB6_4515 Depth=2
	v_clz_i32_u32_e32 v1, v54
	s_delay_alu instid0(VALU_DEP_1) | instskip(NEXT) | instid1(VALU_DEP_1)
	v_min_u32_e32 v1, 32, v1
	v_subrev_nc_u32_e32 v4, 28, v1
	s_delay_alu instid0(VALU_DEP_1) | instskip(NEXT) | instid1(VALU_DEP_1)
	v_lshlrev_b64_e32 v[6:7], v4, v[54:55]
	v_dual_sub_nc_u32 v1, 29, v1 :: v_dual_bitop2_b32 v16, 7, v6 bitop3:0x40
; %bb.4888:                             ;   in Loop: Header=BB6_4515 Depth=2
	s_or_b32 exec_lo, exec_lo, s41
	v_lshlrev_b32_e32 v0, 24, v0
	s_delay_alu instid0(VALU_DEP_2) | instskip(NEXT) | instid1(VALU_DEP_3)
	v_lshlrev_b32_e32 v4, 20, v16
	v_lshl_add_u32 v1, v1, 23, 0x3c000000
	s_delay_alu instid0(VALU_DEP_3) | instskip(NEXT) | instid1(VALU_DEP_1)
	v_and_b32_e32 v0, 0x80000000, v0
	v_or3_b32 v1, v4, v0, v1
.LBB6_4889:                             ;   in Loop: Header=BB6_4515 Depth=2
	s_or_b32 exec_lo, exec_lo, s40
.LBB6_4890:                             ;   in Loop: Header=BB6_4515 Depth=2
	s_delay_alu instid0(SALU_CYCLE_1)
	s_or_b32 exec_lo, exec_lo, s11
.LBB6_4891:                             ;   in Loop: Header=BB6_4515 Depth=2
	s_delay_alu instid0(SALU_CYCLE_1) | instskip(NEXT) | instid1(VALU_DEP_1)
	s_or_b32 exec_lo, exec_lo, s10
	v_mul_f32_e32 v1, s29, v1
                                        ; implicit-def: $vgpr52
	s_mov_b32 s10, exec_lo
	s_delay_alu instid0(VALU_DEP_1) | instskip(SKIP_1) | instid1(VALU_DEP_2)
	v_and_b32_e32 v54, 0x7f800000, v1
	v_lshrrev_b32_e32 v0, 24, v1
	v_cmpx_ne_u64_e32 0x7f800000, v[54:55]
	s_xor_b32 s11, exec_lo, s10
	s_cbranch_execz .LBB6_4909
; %bb.4892:                             ;   in Loop: Header=BB6_4515 Depth=2
	v_and_b32_e32 v54, 0x7fffffff, v1
	v_and_b32_e32 v0, 0x80, v0
                                        ; implicit-def: $vgpr52
	s_mov_b32 s10, exec_lo
	s_delay_alu instid0(VALU_DEP_2)
	v_cmpx_gt_u64_e32 0x43e00001, v[54:55]
	s_xor_b32 s40, exec_lo, s10
	s_cbranch_execz .LBB6_4906
; %bb.4893:                             ;   in Loop: Header=BB6_4515 Depth=2
	v_mov_b32_e32 v52, 0
	s_mov_b32 s41, exec_lo
	v_cmpx_ne_u32_e32 0, v1
	s_cbranch_execz .LBB6_4905
; %bb.4894:                             ;   in Loop: Header=BB6_4515 Depth=2
	v_bfe_u32 v4, v1, 23, 8
	v_and_b32_e32 v1, 0x7fffff, v1
	s_delay_alu instid0(VALU_DEP_2) | instskip(SKIP_1) | instid1(VALU_DEP_3)
	v_sub_nc_u32_e32 v6, 0x79, v4
	v_cmp_gt_u32_e32 vcc_lo, 0x7a, v4
	v_or_b32_e32 v16, 0x800000, v1
	s_delay_alu instid0(VALU_DEP_3) | instskip(SKIP_1) | instid1(VALU_DEP_3)
	v_cndmask_b32_e32 v6, 0, v6, vcc_lo
	v_cmp_eq_u32_e32 vcc_lo, 0, v4
	v_cndmask_b32_e32 v54, v16, v1, vcc_lo
	s_delay_alu instid0(VALU_DEP_3) | instskip(NEXT) | instid1(VALU_DEP_1)
	v_cndmask_b32_e64 v6, v6, 0x78, vcc_lo
	v_add_nc_u32_e32 v7, 20, v6
	s_delay_alu instid0(VALU_DEP_3) | instskip(NEXT) | instid1(VALU_DEP_2)
	v_lshrrev_b64 v[16:17], v6, v[54:55]
	v_lshlrev_b64_e64 v[8:9], v7, -1
	v_add_nc_u32_e32 v7, 19, v6
	s_delay_alu instid0(VALU_DEP_1) | instskip(NEXT) | instid1(VALU_DEP_3)
	v_lshlrev_b64_e64 v[18:19], v7, 1
	v_bfi_b32 v9, v9, 0, 0
	s_delay_alu instid0(VALU_DEP_4) | instskip(NEXT) | instid1(VALU_DEP_1)
	v_bfi_b32 v8, v8, 0, v54
	v_cmp_eq_u64_e64 s10, v[8:9], v[18:19]
	v_mov_b64_e32 v[18:19], v[16:17]
	s_and_saveexec_b32 s42, s10
; %bb.4895:                             ;   in Loop: Header=BB6_4515 Depth=2
	v_bfe_u32 v54, v16, 20, 1
	s_delay_alu instid0(VALU_DEP_1) | instskip(NEXT) | instid1(VALU_DEP_1)
	v_add_nc_u64_e32 v[8:9], v[16:17], v[54:55]
	v_add_nc_u64_e32 v[18:19], -1, v[8:9]
; %bb.4896:                             ;   in Loop: Header=BB6_4515 Depth=2
	s_or_b32 exec_lo, exec_lo, s42
	v_add_nc_u32_e32 v1, 0xffffff81, v4
	v_lshrrev_b32_e32 v4, 23, v16
	s_mov_b32 s10, exec_lo
	s_delay_alu instid0(VALU_DEP_2) | instskip(NEXT) | instid1(VALU_DEP_1)
	v_cndmask_b32_e64 v1, v1, 0xffffff82, vcc_lo
	v_add3_u32 v4, v6, v1, v4
	v_and_b32_e32 v1, 0xfffff, v18
	s_delay_alu instid0(VALU_DEP_2) | instskip(NEXT) | instid1(VALU_DEP_2)
	v_add_nc_u32_e32 v6, 6, v4
	v_add_nc_u32_e32 v54, v1, v16
                                        ; implicit-def: $vgpr16_vgpr17
                                        ; implicit-def: $vgpr1
	s_delay_alu instid0(VALU_DEP_2)
	v_cmpx_ne_u32_e32 0, v6
	s_xor_b32 s10, exec_lo, s10
; %bb.4897:                             ;   in Loop: Header=BB6_4515 Depth=2
	s_delay_alu instid0(VALU_DEP_2) | instskip(SKIP_2) | instid1(VALU_DEP_2)
	v_cmp_lt_u64_e32 vcc_lo, 0xffffff, v[54:55]
	v_add_nc_u32_e32 v1, 7, v4
	v_cndmask_b32_e64 v4, 0, 1, vcc_lo
	v_cndmask_b32_e32 v1, v6, v1, vcc_lo
	s_delay_alu instid0(VALU_DEP_2)
	v_lshrrev_b64 v[16:17], v4, v[54:55]
; %bb.4898:                             ;   in Loop: Header=BB6_4515 Depth=2
	s_and_not1_saveexec_b32 s10, s10
; %bb.4899:                             ;   in Loop: Header=BB6_4515 Depth=2
	v_mov_b64_e32 v[16:17], v[54:55]
	v_bfe_u32 v1, v54, 23, 1
; %bb.4900:                             ;   in Loop: Header=BB6_4515 Depth=2
	s_or_b32 exec_lo, exec_lo, s10
	s_delay_alu instid0(VALU_DEP_2) | instskip(NEXT) | instid1(VALU_DEP_2)
	v_lshrrev_b64 v[6:7], 20, v[16:17]
	v_cmp_gt_i32_e32 vcc_lo, 16, v1
	v_cmp_ne_u32_e64 s10, 0, v1
                                        ; implicit-def: $vgpr52
	s_delay_alu instid0(VALU_DEP_3) | instskip(NEXT) | instid1(VALU_DEP_1)
	v_dual_cndmask_b32 v17, 0, v7 :: v_dual_cndmask_b32 v16, 7, v6
	v_cmp_ne_u64_e32 vcc_lo, 0, v[16:17]
	s_or_b32 s10, s10, vcc_lo
	s_delay_alu instid0(SALU_CYCLE_1) | instskip(NEXT) | instid1(SALU_CYCLE_1)
	s_and_saveexec_b32 s42, s10
	s_xor_b32 s10, exec_lo, s42
; %bb.4901:                             ;   in Loop: Header=BB6_4515 Depth=2
	v_min_i32_e32 v1, 15, v1
	s_delay_alu instid0(VALU_DEP_1) | instskip(NEXT) | instid1(VALU_DEP_1)
	v_lshl_or_b32 v0, v1, 3, v0
	v_and_or_b32 v52, v16, 7, v0
                                        ; implicit-def: $vgpr0
; %bb.4902:                             ;   in Loop: Header=BB6_4515 Depth=2
	s_and_not1_saveexec_b32 s10, s10
; %bb.4903:                             ;   in Loop: Header=BB6_4515 Depth=2
	v_mov_b32_e32 v52, v0
; %bb.4904:                             ;   in Loop: Header=BB6_4515 Depth=2
	s_or_b32 exec_lo, exec_lo, s10
.LBB6_4905:                             ;   in Loop: Header=BB6_4515 Depth=2
	s_delay_alu instid0(SALU_CYCLE_1)
	s_or_b32 exec_lo, exec_lo, s41
                                        ; implicit-def: $vgpr0
.LBB6_4906:                             ;   in Loop: Header=BB6_4515 Depth=2
	s_and_not1_saveexec_b32 s10, s40
; %bb.4907:                             ;   in Loop: Header=BB6_4515 Depth=2
	v_or_b32_e32 v52, 0x7e, v0
; %bb.4908:                             ;   in Loop: Header=BB6_4515 Depth=2
	s_or_b32 exec_lo, exec_lo, s10
                                        ; implicit-def: $vgpr0
.LBB6_4909:                             ;   in Loop: Header=BB6_4515 Depth=2
	s_and_not1_saveexec_b32 s10, s11
; %bb.4910:                             ;   in Loop: Header=BB6_4515 Depth=2
	v_or_b32_e32 v52, 0x7f, v0
; %bb.4911:                             ;   in Loop: Header=BB6_4515 Depth=2
	s_or_b32 exec_lo, exec_lo, s10
	flat_load_u8 v0, v[10:11] offset:448 th:TH_LOAD_NT
	v_mov_b32_e32 v1, 0
	s_mov_b32 s10, exec_lo
	s_wait_loadcnt_dscnt 0x0
	s_wait_xcnt 0x0
	v_cmpx_ne_u16_e32 0, v0
	s_cbranch_execz .LBB6_4919
; %bb.4912:                             ;   in Loop: Header=BB6_4515 Depth=2
	v_bfrev_b32_e32 v1, 1
	s_mov_b32 s11, exec_lo
	v_cmpx_ne_u16_e32 0x80, v0
	s_cbranch_execz .LBB6_4918
; %bb.4913:                             ;   in Loop: Header=BB6_4515 Depth=2
	v_and_b32_e32 v6, 0xffff, v0
	v_mov_b32_e32 v1, 0x7f800001
	s_mov_b32 s40, exec_lo
	s_delay_alu instid0(VALU_DEP_2) | instskip(NEXT) | instid1(VALU_DEP_1)
	v_and_b32_e32 v4, 0x7f, v6
	v_cmpx_ne_u32_e32 0x7f, v4
	s_cbranch_execz .LBB6_4917
; %bb.4914:                             ;   in Loop: Header=BB6_4515 Depth=2
	v_dual_lshrrev_b32 v1, 3, v4 :: v_dual_bitop2_b32 v54, 7, v6 bitop3:0x40
	s_mov_b32 s41, exec_lo
	s_delay_alu instid0(VALU_DEP_1)
	v_mov_b64_e32 v[16:17], v[54:55]
	v_cmpx_gt_u32_e32 8, v4
; %bb.4915:                             ;   in Loop: Header=BB6_4515 Depth=2
	v_clz_i32_u32_e32 v1, v54
	s_delay_alu instid0(VALU_DEP_1) | instskip(NEXT) | instid1(VALU_DEP_1)
	v_min_u32_e32 v1, 32, v1
	v_subrev_nc_u32_e32 v4, 28, v1
	s_delay_alu instid0(VALU_DEP_1) | instskip(NEXT) | instid1(VALU_DEP_1)
	v_lshlrev_b64_e32 v[6:7], v4, v[54:55]
	v_dual_sub_nc_u32 v1, 29, v1 :: v_dual_bitop2_b32 v16, 7, v6 bitop3:0x40
; %bb.4916:                             ;   in Loop: Header=BB6_4515 Depth=2
	s_or_b32 exec_lo, exec_lo, s41
	v_lshlrev_b32_e32 v0, 24, v0
	s_delay_alu instid0(VALU_DEP_2) | instskip(NEXT) | instid1(VALU_DEP_3)
	v_lshlrev_b32_e32 v4, 20, v16
	v_lshl_add_u32 v1, v1, 23, 0x3c000000
	s_delay_alu instid0(VALU_DEP_3) | instskip(NEXT) | instid1(VALU_DEP_1)
	v_and_b32_e32 v0, 0x80000000, v0
	v_or3_b32 v1, v4, v0, v1
.LBB6_4917:                             ;   in Loop: Header=BB6_4515 Depth=2
	s_or_b32 exec_lo, exec_lo, s40
.LBB6_4918:                             ;   in Loop: Header=BB6_4515 Depth=2
	s_delay_alu instid0(SALU_CYCLE_1)
	s_or_b32 exec_lo, exec_lo, s11
.LBB6_4919:                             ;   in Loop: Header=BB6_4515 Depth=2
	s_delay_alu instid0(SALU_CYCLE_1) | instskip(NEXT) | instid1(VALU_DEP_1)
	s_or_b32 exec_lo, exec_lo, s10
	v_mul_f32_e32 v1, s29, v1
                                        ; implicit-def: $vgpr51
	s_mov_b32 s10, exec_lo
	s_delay_alu instid0(VALU_DEP_1) | instskip(SKIP_1) | instid1(VALU_DEP_2)
	v_and_b32_e32 v54, 0x7f800000, v1
	v_lshrrev_b32_e32 v0, 24, v1
	v_cmpx_ne_u64_e32 0x7f800000, v[54:55]
	s_xor_b32 s11, exec_lo, s10
	s_cbranch_execz .LBB6_4937
; %bb.4920:                             ;   in Loop: Header=BB6_4515 Depth=2
	v_and_b32_e32 v54, 0x7fffffff, v1
	v_and_b32_e32 v0, 0x80, v0
                                        ; implicit-def: $vgpr51
	s_mov_b32 s10, exec_lo
	s_delay_alu instid0(VALU_DEP_2)
	v_cmpx_gt_u64_e32 0x43e00001, v[54:55]
	s_xor_b32 s40, exec_lo, s10
	s_cbranch_execz .LBB6_4934
; %bb.4921:                             ;   in Loop: Header=BB6_4515 Depth=2
	v_mov_b32_e32 v51, 0
	s_mov_b32 s41, exec_lo
	v_cmpx_ne_u32_e32 0, v1
	s_cbranch_execz .LBB6_4933
; %bb.4922:                             ;   in Loop: Header=BB6_4515 Depth=2
	v_bfe_u32 v4, v1, 23, 8
	v_and_b32_e32 v1, 0x7fffff, v1
	s_delay_alu instid0(VALU_DEP_2) | instskip(SKIP_1) | instid1(VALU_DEP_3)
	v_sub_nc_u32_e32 v6, 0x79, v4
	v_cmp_gt_u32_e32 vcc_lo, 0x7a, v4
	v_or_b32_e32 v16, 0x800000, v1
	s_delay_alu instid0(VALU_DEP_3) | instskip(SKIP_1) | instid1(VALU_DEP_3)
	v_cndmask_b32_e32 v6, 0, v6, vcc_lo
	v_cmp_eq_u32_e32 vcc_lo, 0, v4
	v_cndmask_b32_e32 v54, v16, v1, vcc_lo
	s_delay_alu instid0(VALU_DEP_3) | instskip(NEXT) | instid1(VALU_DEP_1)
	v_cndmask_b32_e64 v6, v6, 0x78, vcc_lo
	v_add_nc_u32_e32 v7, 20, v6
	s_delay_alu instid0(VALU_DEP_3) | instskip(NEXT) | instid1(VALU_DEP_2)
	v_lshrrev_b64 v[16:17], v6, v[54:55]
	v_lshlrev_b64_e64 v[8:9], v7, -1
	v_add_nc_u32_e32 v7, 19, v6
	s_delay_alu instid0(VALU_DEP_1) | instskip(NEXT) | instid1(VALU_DEP_3)
	v_lshlrev_b64_e64 v[18:19], v7, 1
	v_bfi_b32 v9, v9, 0, 0
	s_delay_alu instid0(VALU_DEP_4) | instskip(NEXT) | instid1(VALU_DEP_1)
	v_bfi_b32 v8, v8, 0, v54
	v_cmp_eq_u64_e64 s10, v[8:9], v[18:19]
	v_mov_b64_e32 v[18:19], v[16:17]
	s_and_saveexec_b32 s42, s10
; %bb.4923:                             ;   in Loop: Header=BB6_4515 Depth=2
	v_bfe_u32 v54, v16, 20, 1
	s_delay_alu instid0(VALU_DEP_1) | instskip(NEXT) | instid1(VALU_DEP_1)
	v_add_nc_u64_e32 v[8:9], v[16:17], v[54:55]
	v_add_nc_u64_e32 v[18:19], -1, v[8:9]
; %bb.4924:                             ;   in Loop: Header=BB6_4515 Depth=2
	s_or_b32 exec_lo, exec_lo, s42
	v_add_nc_u32_e32 v1, 0xffffff81, v4
	v_lshrrev_b32_e32 v4, 23, v16
	s_mov_b32 s10, exec_lo
	s_delay_alu instid0(VALU_DEP_2) | instskip(NEXT) | instid1(VALU_DEP_1)
	v_cndmask_b32_e64 v1, v1, 0xffffff82, vcc_lo
	v_add3_u32 v4, v6, v1, v4
	v_and_b32_e32 v1, 0xfffff, v18
	s_delay_alu instid0(VALU_DEP_2) | instskip(NEXT) | instid1(VALU_DEP_2)
	v_add_nc_u32_e32 v6, 6, v4
	v_add_nc_u32_e32 v54, v1, v16
                                        ; implicit-def: $vgpr16_vgpr17
                                        ; implicit-def: $vgpr1
	s_delay_alu instid0(VALU_DEP_2)
	v_cmpx_ne_u32_e32 0, v6
	s_xor_b32 s10, exec_lo, s10
; %bb.4925:                             ;   in Loop: Header=BB6_4515 Depth=2
	s_delay_alu instid0(VALU_DEP_2) | instskip(SKIP_2) | instid1(VALU_DEP_2)
	v_cmp_lt_u64_e32 vcc_lo, 0xffffff, v[54:55]
	v_add_nc_u32_e32 v1, 7, v4
	v_cndmask_b32_e64 v4, 0, 1, vcc_lo
	v_cndmask_b32_e32 v1, v6, v1, vcc_lo
	s_delay_alu instid0(VALU_DEP_2)
	v_lshrrev_b64 v[16:17], v4, v[54:55]
; %bb.4926:                             ;   in Loop: Header=BB6_4515 Depth=2
	s_and_not1_saveexec_b32 s10, s10
; %bb.4927:                             ;   in Loop: Header=BB6_4515 Depth=2
	v_mov_b64_e32 v[16:17], v[54:55]
	v_bfe_u32 v1, v54, 23, 1
; %bb.4928:                             ;   in Loop: Header=BB6_4515 Depth=2
	s_or_b32 exec_lo, exec_lo, s10
	s_delay_alu instid0(VALU_DEP_2) | instskip(NEXT) | instid1(VALU_DEP_2)
	v_lshrrev_b64 v[6:7], 20, v[16:17]
	v_cmp_gt_i32_e32 vcc_lo, 16, v1
	v_cmp_ne_u32_e64 s10, 0, v1
                                        ; implicit-def: $vgpr51
	s_delay_alu instid0(VALU_DEP_3) | instskip(NEXT) | instid1(VALU_DEP_1)
	v_dual_cndmask_b32 v17, 0, v7 :: v_dual_cndmask_b32 v16, 7, v6
	v_cmp_ne_u64_e32 vcc_lo, 0, v[16:17]
	s_or_b32 s10, s10, vcc_lo
	s_delay_alu instid0(SALU_CYCLE_1) | instskip(NEXT) | instid1(SALU_CYCLE_1)
	s_and_saveexec_b32 s42, s10
	s_xor_b32 s10, exec_lo, s42
; %bb.4929:                             ;   in Loop: Header=BB6_4515 Depth=2
	v_min_i32_e32 v1, 15, v1
	s_delay_alu instid0(VALU_DEP_1) | instskip(NEXT) | instid1(VALU_DEP_1)
	v_lshl_or_b32 v0, v1, 3, v0
	v_and_or_b32 v51, v16, 7, v0
                                        ; implicit-def: $vgpr0
; %bb.4930:                             ;   in Loop: Header=BB6_4515 Depth=2
	s_and_not1_saveexec_b32 s10, s10
; %bb.4931:                             ;   in Loop: Header=BB6_4515 Depth=2
	v_mov_b32_e32 v51, v0
; %bb.4932:                             ;   in Loop: Header=BB6_4515 Depth=2
	s_or_b32 exec_lo, exec_lo, s10
.LBB6_4933:                             ;   in Loop: Header=BB6_4515 Depth=2
	s_delay_alu instid0(SALU_CYCLE_1)
	s_or_b32 exec_lo, exec_lo, s41
                                        ; implicit-def: $vgpr0
.LBB6_4934:                             ;   in Loop: Header=BB6_4515 Depth=2
	s_and_not1_saveexec_b32 s10, s40
; %bb.4935:                             ;   in Loop: Header=BB6_4515 Depth=2
	v_or_b32_e32 v51, 0x7e, v0
; %bb.4936:                             ;   in Loop: Header=BB6_4515 Depth=2
	s_or_b32 exec_lo, exec_lo, s10
                                        ; implicit-def: $vgpr0
.LBB6_4937:                             ;   in Loop: Header=BB6_4515 Depth=2
	s_and_not1_saveexec_b32 s10, s11
; %bb.4938:                             ;   in Loop: Header=BB6_4515 Depth=2
	v_or_b32_e32 v51, 0x7f, v0
; %bb.4939:                             ;   in Loop: Header=BB6_4515 Depth=2
	s_or_b32 exec_lo, exec_lo, s10
	flat_load_u8 v0, v[10:11] offset:480 th:TH_LOAD_NT
	v_mov_b32_e32 v1, 0
	s_mov_b32 s10, exec_lo
	s_wait_loadcnt_dscnt 0x0
	s_wait_xcnt 0x0
	v_cmpx_ne_u16_e32 0, v0
	s_cbranch_execz .LBB6_4947
; %bb.4940:                             ;   in Loop: Header=BB6_4515 Depth=2
	v_bfrev_b32_e32 v1, 1
	s_mov_b32 s11, exec_lo
	v_cmpx_ne_u16_e32 0x80, v0
	s_cbranch_execz .LBB6_4946
; %bb.4941:                             ;   in Loop: Header=BB6_4515 Depth=2
	v_and_b32_e32 v6, 0xffff, v0
	v_mov_b32_e32 v1, 0x7f800001
	s_mov_b32 s40, exec_lo
	s_delay_alu instid0(VALU_DEP_2) | instskip(NEXT) | instid1(VALU_DEP_1)
	v_and_b32_e32 v4, 0x7f, v6
	v_cmpx_ne_u32_e32 0x7f, v4
	s_cbranch_execz .LBB6_4945
; %bb.4942:                             ;   in Loop: Header=BB6_4515 Depth=2
	v_dual_lshrrev_b32 v1, 3, v4 :: v_dual_bitop2_b32 v54, 7, v6 bitop3:0x40
	s_mov_b32 s41, exec_lo
	s_delay_alu instid0(VALU_DEP_1)
	v_mov_b64_e32 v[16:17], v[54:55]
	v_cmpx_gt_u32_e32 8, v4
; %bb.4943:                             ;   in Loop: Header=BB6_4515 Depth=2
	v_clz_i32_u32_e32 v1, v54
	s_delay_alu instid0(VALU_DEP_1) | instskip(NEXT) | instid1(VALU_DEP_1)
	v_min_u32_e32 v1, 32, v1
	v_subrev_nc_u32_e32 v4, 28, v1
	s_delay_alu instid0(VALU_DEP_1) | instskip(NEXT) | instid1(VALU_DEP_1)
	v_lshlrev_b64_e32 v[6:7], v4, v[54:55]
	v_dual_sub_nc_u32 v1, 29, v1 :: v_dual_bitop2_b32 v16, 7, v6 bitop3:0x40
; %bb.4944:                             ;   in Loop: Header=BB6_4515 Depth=2
	s_or_b32 exec_lo, exec_lo, s41
	v_lshlrev_b32_e32 v0, 24, v0
	s_delay_alu instid0(VALU_DEP_2) | instskip(NEXT) | instid1(VALU_DEP_3)
	v_lshlrev_b32_e32 v4, 20, v16
	v_lshl_add_u32 v1, v1, 23, 0x3c000000
	s_delay_alu instid0(VALU_DEP_3) | instskip(NEXT) | instid1(VALU_DEP_1)
	v_and_b32_e32 v0, 0x80000000, v0
	v_or3_b32 v1, v4, v0, v1
.LBB6_4945:                             ;   in Loop: Header=BB6_4515 Depth=2
	s_or_b32 exec_lo, exec_lo, s40
.LBB6_4946:                             ;   in Loop: Header=BB6_4515 Depth=2
	s_delay_alu instid0(SALU_CYCLE_1)
	s_or_b32 exec_lo, exec_lo, s11
.LBB6_4947:                             ;   in Loop: Header=BB6_4515 Depth=2
	s_delay_alu instid0(SALU_CYCLE_1) | instskip(NEXT) | instid1(VALU_DEP_1)
	s_or_b32 exec_lo, exec_lo, s10
	v_mul_f32_e32 v1, s29, v1
                                        ; implicit-def: $vgpr50
	s_mov_b32 s10, exec_lo
	s_delay_alu instid0(VALU_DEP_1) | instskip(SKIP_1) | instid1(VALU_DEP_2)
	v_and_b32_e32 v54, 0x7f800000, v1
	v_lshrrev_b32_e32 v0, 24, v1
	v_cmpx_ne_u64_e32 0x7f800000, v[54:55]
	s_xor_b32 s11, exec_lo, s10
	s_cbranch_execz .LBB6_4965
; %bb.4948:                             ;   in Loop: Header=BB6_4515 Depth=2
	v_and_b32_e32 v54, 0x7fffffff, v1
	v_and_b32_e32 v0, 0x80, v0
                                        ; implicit-def: $vgpr50
	s_mov_b32 s10, exec_lo
	s_delay_alu instid0(VALU_DEP_2)
	v_cmpx_gt_u64_e32 0x43e00001, v[54:55]
	s_xor_b32 s40, exec_lo, s10
	s_cbranch_execz .LBB6_4962
; %bb.4949:                             ;   in Loop: Header=BB6_4515 Depth=2
	v_mov_b32_e32 v50, 0
	s_mov_b32 s41, exec_lo
	v_cmpx_ne_u32_e32 0, v1
	s_cbranch_execz .LBB6_4961
; %bb.4950:                             ;   in Loop: Header=BB6_4515 Depth=2
	v_bfe_u32 v4, v1, 23, 8
	v_and_b32_e32 v1, 0x7fffff, v1
	s_delay_alu instid0(VALU_DEP_2) | instskip(SKIP_1) | instid1(VALU_DEP_3)
	v_sub_nc_u32_e32 v6, 0x79, v4
	v_cmp_gt_u32_e32 vcc_lo, 0x7a, v4
	v_or_b32_e32 v16, 0x800000, v1
	s_delay_alu instid0(VALU_DEP_3) | instskip(SKIP_1) | instid1(VALU_DEP_3)
	v_cndmask_b32_e32 v6, 0, v6, vcc_lo
	v_cmp_eq_u32_e32 vcc_lo, 0, v4
	v_cndmask_b32_e32 v54, v16, v1, vcc_lo
	s_delay_alu instid0(VALU_DEP_3) | instskip(NEXT) | instid1(VALU_DEP_1)
	v_cndmask_b32_e64 v6, v6, 0x78, vcc_lo
	v_add_nc_u32_e32 v7, 20, v6
	s_delay_alu instid0(VALU_DEP_3) | instskip(NEXT) | instid1(VALU_DEP_2)
	v_lshrrev_b64 v[16:17], v6, v[54:55]
	v_lshlrev_b64_e64 v[8:9], v7, -1
	v_add_nc_u32_e32 v7, 19, v6
	s_delay_alu instid0(VALU_DEP_1) | instskip(NEXT) | instid1(VALU_DEP_3)
	v_lshlrev_b64_e64 v[18:19], v7, 1
	v_bfi_b32 v9, v9, 0, 0
	s_delay_alu instid0(VALU_DEP_4) | instskip(NEXT) | instid1(VALU_DEP_1)
	v_bfi_b32 v8, v8, 0, v54
	v_cmp_eq_u64_e64 s10, v[8:9], v[18:19]
	v_mov_b64_e32 v[18:19], v[16:17]
	s_and_saveexec_b32 s42, s10
; %bb.4951:                             ;   in Loop: Header=BB6_4515 Depth=2
	v_bfe_u32 v54, v16, 20, 1
	s_delay_alu instid0(VALU_DEP_1) | instskip(NEXT) | instid1(VALU_DEP_1)
	v_add_nc_u64_e32 v[8:9], v[16:17], v[54:55]
	v_add_nc_u64_e32 v[18:19], -1, v[8:9]
; %bb.4952:                             ;   in Loop: Header=BB6_4515 Depth=2
	s_or_b32 exec_lo, exec_lo, s42
	v_add_nc_u32_e32 v1, 0xffffff81, v4
	v_lshrrev_b32_e32 v4, 23, v16
	s_mov_b32 s10, exec_lo
	s_delay_alu instid0(VALU_DEP_2) | instskip(NEXT) | instid1(VALU_DEP_1)
	v_cndmask_b32_e64 v1, v1, 0xffffff82, vcc_lo
	v_add3_u32 v4, v6, v1, v4
	v_and_b32_e32 v1, 0xfffff, v18
	s_delay_alu instid0(VALU_DEP_2) | instskip(NEXT) | instid1(VALU_DEP_2)
	v_add_nc_u32_e32 v6, 6, v4
	v_add_nc_u32_e32 v54, v1, v16
                                        ; implicit-def: $vgpr16_vgpr17
                                        ; implicit-def: $vgpr1
	s_delay_alu instid0(VALU_DEP_2)
	v_cmpx_ne_u32_e32 0, v6
	s_xor_b32 s10, exec_lo, s10
; %bb.4953:                             ;   in Loop: Header=BB6_4515 Depth=2
	s_delay_alu instid0(VALU_DEP_2) | instskip(SKIP_2) | instid1(VALU_DEP_2)
	v_cmp_lt_u64_e32 vcc_lo, 0xffffff, v[54:55]
	v_add_nc_u32_e32 v1, 7, v4
	v_cndmask_b32_e64 v4, 0, 1, vcc_lo
	v_cndmask_b32_e32 v1, v6, v1, vcc_lo
	s_delay_alu instid0(VALU_DEP_2)
	v_lshrrev_b64 v[16:17], v4, v[54:55]
; %bb.4954:                             ;   in Loop: Header=BB6_4515 Depth=2
	s_and_not1_saveexec_b32 s10, s10
; %bb.4955:                             ;   in Loop: Header=BB6_4515 Depth=2
	v_mov_b64_e32 v[16:17], v[54:55]
	v_bfe_u32 v1, v54, 23, 1
; %bb.4956:                             ;   in Loop: Header=BB6_4515 Depth=2
	s_or_b32 exec_lo, exec_lo, s10
	s_delay_alu instid0(VALU_DEP_2) | instskip(NEXT) | instid1(VALU_DEP_2)
	v_lshrrev_b64 v[6:7], 20, v[16:17]
	v_cmp_gt_i32_e32 vcc_lo, 16, v1
	v_cmp_ne_u32_e64 s10, 0, v1
                                        ; implicit-def: $vgpr50
	s_delay_alu instid0(VALU_DEP_3) | instskip(NEXT) | instid1(VALU_DEP_1)
	v_dual_cndmask_b32 v17, 0, v7 :: v_dual_cndmask_b32 v16, 7, v6
	v_cmp_ne_u64_e32 vcc_lo, 0, v[16:17]
	s_or_b32 s10, s10, vcc_lo
	s_delay_alu instid0(SALU_CYCLE_1) | instskip(NEXT) | instid1(SALU_CYCLE_1)
	s_and_saveexec_b32 s42, s10
	s_xor_b32 s10, exec_lo, s42
; %bb.4957:                             ;   in Loop: Header=BB6_4515 Depth=2
	v_min_i32_e32 v1, 15, v1
	s_delay_alu instid0(VALU_DEP_1) | instskip(NEXT) | instid1(VALU_DEP_1)
	v_lshl_or_b32 v0, v1, 3, v0
	v_and_or_b32 v50, v16, 7, v0
                                        ; implicit-def: $vgpr0
; %bb.4958:                             ;   in Loop: Header=BB6_4515 Depth=2
	s_and_not1_saveexec_b32 s10, s10
; %bb.4959:                             ;   in Loop: Header=BB6_4515 Depth=2
	v_mov_b32_e32 v50, v0
; %bb.4960:                             ;   in Loop: Header=BB6_4515 Depth=2
	s_or_b32 exec_lo, exec_lo, s10
.LBB6_4961:                             ;   in Loop: Header=BB6_4515 Depth=2
	s_delay_alu instid0(SALU_CYCLE_1)
	s_or_b32 exec_lo, exec_lo, s41
                                        ; implicit-def: $vgpr0
.LBB6_4962:                             ;   in Loop: Header=BB6_4515 Depth=2
	s_and_not1_saveexec_b32 s10, s40
; %bb.4963:                             ;   in Loop: Header=BB6_4515 Depth=2
	v_or_b32_e32 v50, 0x7e, v0
; %bb.4964:                             ;   in Loop: Header=BB6_4515 Depth=2
	s_or_b32 exec_lo, exec_lo, s10
                                        ; implicit-def: $vgpr0
.LBB6_4965:                             ;   in Loop: Header=BB6_4515 Depth=2
	s_and_not1_saveexec_b32 s10, s11
; %bb.4966:                             ;   in Loop: Header=BB6_4515 Depth=2
	v_or_b32_e32 v50, 0x7f, v0
; %bb.4967:                             ;   in Loop: Header=BB6_4515 Depth=2
	s_or_b32 exec_lo, exec_lo, s10
	flat_load_u8 v0, v[10:11] offset:512 th:TH_LOAD_NT
	v_mov_b32_e32 v1, 0
	s_mov_b32 s10, exec_lo
	s_wait_loadcnt_dscnt 0x0
	s_wait_xcnt 0x0
	v_cmpx_ne_u16_e32 0, v0
	s_cbranch_execz .LBB6_4975
; %bb.4968:                             ;   in Loop: Header=BB6_4515 Depth=2
	v_bfrev_b32_e32 v1, 1
	s_mov_b32 s11, exec_lo
	v_cmpx_ne_u16_e32 0x80, v0
	s_cbranch_execz .LBB6_4974
; %bb.4969:                             ;   in Loop: Header=BB6_4515 Depth=2
	v_and_b32_e32 v6, 0xffff, v0
	v_mov_b32_e32 v1, 0x7f800001
	s_mov_b32 s40, exec_lo
	s_delay_alu instid0(VALU_DEP_2) | instskip(NEXT) | instid1(VALU_DEP_1)
	v_and_b32_e32 v4, 0x7f, v6
	v_cmpx_ne_u32_e32 0x7f, v4
	s_cbranch_execz .LBB6_4973
; %bb.4970:                             ;   in Loop: Header=BB6_4515 Depth=2
	v_dual_lshrrev_b32 v1, 3, v4 :: v_dual_bitop2_b32 v54, 7, v6 bitop3:0x40
	s_mov_b32 s41, exec_lo
	s_delay_alu instid0(VALU_DEP_1)
	v_mov_b64_e32 v[16:17], v[54:55]
	v_cmpx_gt_u32_e32 8, v4
; %bb.4971:                             ;   in Loop: Header=BB6_4515 Depth=2
	v_clz_i32_u32_e32 v1, v54
	s_delay_alu instid0(VALU_DEP_1) | instskip(NEXT) | instid1(VALU_DEP_1)
	v_min_u32_e32 v1, 32, v1
	v_subrev_nc_u32_e32 v4, 28, v1
	s_delay_alu instid0(VALU_DEP_1) | instskip(NEXT) | instid1(VALU_DEP_1)
	v_lshlrev_b64_e32 v[6:7], v4, v[54:55]
	v_dual_sub_nc_u32 v1, 29, v1 :: v_dual_bitop2_b32 v16, 7, v6 bitop3:0x40
; %bb.4972:                             ;   in Loop: Header=BB6_4515 Depth=2
	s_or_b32 exec_lo, exec_lo, s41
	v_lshlrev_b32_e32 v0, 24, v0
	s_delay_alu instid0(VALU_DEP_2) | instskip(NEXT) | instid1(VALU_DEP_3)
	v_lshlrev_b32_e32 v4, 20, v16
	v_lshl_add_u32 v1, v1, 23, 0x3c000000
	s_delay_alu instid0(VALU_DEP_3) | instskip(NEXT) | instid1(VALU_DEP_1)
	v_and_b32_e32 v0, 0x80000000, v0
	v_or3_b32 v1, v4, v0, v1
.LBB6_4973:                             ;   in Loop: Header=BB6_4515 Depth=2
	s_or_b32 exec_lo, exec_lo, s40
.LBB6_4974:                             ;   in Loop: Header=BB6_4515 Depth=2
	s_delay_alu instid0(SALU_CYCLE_1)
	s_or_b32 exec_lo, exec_lo, s11
.LBB6_4975:                             ;   in Loop: Header=BB6_4515 Depth=2
	s_delay_alu instid0(SALU_CYCLE_1) | instskip(NEXT) | instid1(VALU_DEP_1)
	s_or_b32 exec_lo, exec_lo, s10
	v_mul_f32_e32 v1, s29, v1
                                        ; implicit-def: $vgpr38
	s_mov_b32 s10, exec_lo
	s_delay_alu instid0(VALU_DEP_1) | instskip(SKIP_1) | instid1(VALU_DEP_2)
	v_and_b32_e32 v54, 0x7f800000, v1
	v_lshrrev_b32_e32 v0, 24, v1
	v_cmpx_ne_u64_e32 0x7f800000, v[54:55]
	s_xor_b32 s11, exec_lo, s10
	s_cbranch_execz .LBB6_4993
; %bb.4976:                             ;   in Loop: Header=BB6_4515 Depth=2
	v_and_b32_e32 v54, 0x7fffffff, v1
	v_and_b32_e32 v0, 0x80, v0
                                        ; implicit-def: $vgpr38
	s_mov_b32 s10, exec_lo
	s_delay_alu instid0(VALU_DEP_2)
	v_cmpx_gt_u64_e32 0x43e00001, v[54:55]
	s_xor_b32 s40, exec_lo, s10
	s_cbranch_execz .LBB6_4990
; %bb.4977:                             ;   in Loop: Header=BB6_4515 Depth=2
	v_mov_b32_e32 v38, 0
	s_mov_b32 s41, exec_lo
	v_cmpx_ne_u32_e32 0, v1
	s_cbranch_execz .LBB6_4989
; %bb.4978:                             ;   in Loop: Header=BB6_4515 Depth=2
	v_bfe_u32 v4, v1, 23, 8
	v_and_b32_e32 v1, 0x7fffff, v1
	s_delay_alu instid0(VALU_DEP_2) | instskip(SKIP_1) | instid1(VALU_DEP_3)
	v_sub_nc_u32_e32 v6, 0x79, v4
	v_cmp_gt_u32_e32 vcc_lo, 0x7a, v4
	v_or_b32_e32 v16, 0x800000, v1
	s_delay_alu instid0(VALU_DEP_3) | instskip(SKIP_1) | instid1(VALU_DEP_3)
	v_cndmask_b32_e32 v6, 0, v6, vcc_lo
	v_cmp_eq_u32_e32 vcc_lo, 0, v4
	v_cndmask_b32_e32 v54, v16, v1, vcc_lo
	s_delay_alu instid0(VALU_DEP_3) | instskip(NEXT) | instid1(VALU_DEP_1)
	v_cndmask_b32_e64 v6, v6, 0x78, vcc_lo
	v_add_nc_u32_e32 v7, 20, v6
	s_delay_alu instid0(VALU_DEP_3) | instskip(NEXT) | instid1(VALU_DEP_2)
	v_lshrrev_b64 v[16:17], v6, v[54:55]
	v_lshlrev_b64_e64 v[8:9], v7, -1
	v_add_nc_u32_e32 v7, 19, v6
	s_delay_alu instid0(VALU_DEP_1) | instskip(NEXT) | instid1(VALU_DEP_3)
	v_lshlrev_b64_e64 v[18:19], v7, 1
	v_bfi_b32 v9, v9, 0, 0
	s_delay_alu instid0(VALU_DEP_4) | instskip(NEXT) | instid1(VALU_DEP_1)
	v_bfi_b32 v8, v8, 0, v54
	v_cmp_eq_u64_e64 s10, v[8:9], v[18:19]
	v_mov_b64_e32 v[18:19], v[16:17]
	s_and_saveexec_b32 s42, s10
; %bb.4979:                             ;   in Loop: Header=BB6_4515 Depth=2
	v_bfe_u32 v54, v16, 20, 1
	s_delay_alu instid0(VALU_DEP_1) | instskip(NEXT) | instid1(VALU_DEP_1)
	v_add_nc_u64_e32 v[8:9], v[16:17], v[54:55]
	v_add_nc_u64_e32 v[18:19], -1, v[8:9]
; %bb.4980:                             ;   in Loop: Header=BB6_4515 Depth=2
	s_or_b32 exec_lo, exec_lo, s42
	v_add_nc_u32_e32 v1, 0xffffff81, v4
	v_lshrrev_b32_e32 v4, 23, v16
	s_mov_b32 s10, exec_lo
	s_delay_alu instid0(VALU_DEP_2) | instskip(NEXT) | instid1(VALU_DEP_1)
	v_cndmask_b32_e64 v1, v1, 0xffffff82, vcc_lo
	v_add3_u32 v4, v6, v1, v4
	v_and_b32_e32 v1, 0xfffff, v18
	s_delay_alu instid0(VALU_DEP_2) | instskip(NEXT) | instid1(VALU_DEP_2)
	v_add_nc_u32_e32 v6, 6, v4
	v_add_nc_u32_e32 v54, v1, v16
                                        ; implicit-def: $vgpr16_vgpr17
                                        ; implicit-def: $vgpr1
	s_delay_alu instid0(VALU_DEP_2)
	v_cmpx_ne_u32_e32 0, v6
	s_xor_b32 s10, exec_lo, s10
; %bb.4981:                             ;   in Loop: Header=BB6_4515 Depth=2
	s_delay_alu instid0(VALU_DEP_2) | instskip(SKIP_2) | instid1(VALU_DEP_2)
	v_cmp_lt_u64_e32 vcc_lo, 0xffffff, v[54:55]
	v_add_nc_u32_e32 v1, 7, v4
	v_cndmask_b32_e64 v4, 0, 1, vcc_lo
	v_cndmask_b32_e32 v1, v6, v1, vcc_lo
	s_delay_alu instid0(VALU_DEP_2)
	v_lshrrev_b64 v[16:17], v4, v[54:55]
; %bb.4982:                             ;   in Loop: Header=BB6_4515 Depth=2
	s_and_not1_saveexec_b32 s10, s10
; %bb.4983:                             ;   in Loop: Header=BB6_4515 Depth=2
	v_mov_b64_e32 v[16:17], v[54:55]
	v_bfe_u32 v1, v54, 23, 1
; %bb.4984:                             ;   in Loop: Header=BB6_4515 Depth=2
	s_or_b32 exec_lo, exec_lo, s10
	s_delay_alu instid0(VALU_DEP_2) | instskip(NEXT) | instid1(VALU_DEP_2)
	v_lshrrev_b64 v[6:7], 20, v[16:17]
	v_cmp_gt_i32_e32 vcc_lo, 16, v1
	v_cmp_ne_u32_e64 s10, 0, v1
                                        ; implicit-def: $vgpr38
	s_delay_alu instid0(VALU_DEP_3) | instskip(NEXT) | instid1(VALU_DEP_1)
	v_dual_cndmask_b32 v17, 0, v7 :: v_dual_cndmask_b32 v16, 7, v6
	v_cmp_ne_u64_e32 vcc_lo, 0, v[16:17]
	s_or_b32 s10, s10, vcc_lo
	s_delay_alu instid0(SALU_CYCLE_1) | instskip(NEXT) | instid1(SALU_CYCLE_1)
	s_and_saveexec_b32 s42, s10
	s_xor_b32 s10, exec_lo, s42
; %bb.4985:                             ;   in Loop: Header=BB6_4515 Depth=2
	v_min_i32_e32 v1, 15, v1
	s_delay_alu instid0(VALU_DEP_1) | instskip(NEXT) | instid1(VALU_DEP_1)
	v_lshl_or_b32 v0, v1, 3, v0
	v_and_or_b32 v38, v16, 7, v0
                                        ; implicit-def: $vgpr0
; %bb.4986:                             ;   in Loop: Header=BB6_4515 Depth=2
	s_and_not1_saveexec_b32 s10, s10
; %bb.4987:                             ;   in Loop: Header=BB6_4515 Depth=2
	v_mov_b32_e32 v38, v0
; %bb.4988:                             ;   in Loop: Header=BB6_4515 Depth=2
	s_or_b32 exec_lo, exec_lo, s10
.LBB6_4989:                             ;   in Loop: Header=BB6_4515 Depth=2
	s_delay_alu instid0(SALU_CYCLE_1)
	s_or_b32 exec_lo, exec_lo, s41
                                        ; implicit-def: $vgpr0
.LBB6_4990:                             ;   in Loop: Header=BB6_4515 Depth=2
	s_and_not1_saveexec_b32 s10, s40
; %bb.4991:                             ;   in Loop: Header=BB6_4515 Depth=2
	v_or_b32_e32 v38, 0x7e, v0
; %bb.4992:                             ;   in Loop: Header=BB6_4515 Depth=2
	s_or_b32 exec_lo, exec_lo, s10
                                        ; implicit-def: $vgpr0
.LBB6_4993:                             ;   in Loop: Header=BB6_4515 Depth=2
	s_and_not1_saveexec_b32 s10, s11
; %bb.4994:                             ;   in Loop: Header=BB6_4515 Depth=2
	v_or_b32_e32 v38, 0x7f, v0
; %bb.4995:                             ;   in Loop: Header=BB6_4515 Depth=2
	s_or_b32 exec_lo, exec_lo, s10
	flat_load_u8 v0, v[10:11] offset:544 th:TH_LOAD_NT
	v_mov_b32_e32 v1, 0
	s_mov_b32 s10, exec_lo
	s_wait_loadcnt_dscnt 0x0
	s_wait_xcnt 0x0
	v_cmpx_ne_u16_e32 0, v0
	s_cbranch_execz .LBB6_5003
; %bb.4996:                             ;   in Loop: Header=BB6_4515 Depth=2
	v_bfrev_b32_e32 v1, 1
	s_mov_b32 s11, exec_lo
	v_cmpx_ne_u16_e32 0x80, v0
	s_cbranch_execz .LBB6_5002
; %bb.4997:                             ;   in Loop: Header=BB6_4515 Depth=2
	v_and_b32_e32 v6, 0xffff, v0
	v_mov_b32_e32 v1, 0x7f800001
	s_mov_b32 s40, exec_lo
	s_delay_alu instid0(VALU_DEP_2) | instskip(NEXT) | instid1(VALU_DEP_1)
	v_and_b32_e32 v4, 0x7f, v6
	v_cmpx_ne_u32_e32 0x7f, v4
	s_cbranch_execz .LBB6_5001
; %bb.4998:                             ;   in Loop: Header=BB6_4515 Depth=2
	v_dual_lshrrev_b32 v1, 3, v4 :: v_dual_bitop2_b32 v54, 7, v6 bitop3:0x40
	s_mov_b32 s41, exec_lo
	s_delay_alu instid0(VALU_DEP_1)
	v_mov_b64_e32 v[16:17], v[54:55]
	v_cmpx_gt_u32_e32 8, v4
; %bb.4999:                             ;   in Loop: Header=BB6_4515 Depth=2
	v_clz_i32_u32_e32 v1, v54
	s_delay_alu instid0(VALU_DEP_1) | instskip(NEXT) | instid1(VALU_DEP_1)
	v_min_u32_e32 v1, 32, v1
	v_subrev_nc_u32_e32 v4, 28, v1
	s_delay_alu instid0(VALU_DEP_1) | instskip(NEXT) | instid1(VALU_DEP_1)
	v_lshlrev_b64_e32 v[6:7], v4, v[54:55]
	v_dual_sub_nc_u32 v1, 29, v1 :: v_dual_bitop2_b32 v16, 7, v6 bitop3:0x40
; %bb.5000:                             ;   in Loop: Header=BB6_4515 Depth=2
	s_or_b32 exec_lo, exec_lo, s41
	v_lshlrev_b32_e32 v0, 24, v0
	s_delay_alu instid0(VALU_DEP_2) | instskip(NEXT) | instid1(VALU_DEP_3)
	v_lshlrev_b32_e32 v4, 20, v16
	v_lshl_add_u32 v1, v1, 23, 0x3c000000
	s_delay_alu instid0(VALU_DEP_3) | instskip(NEXT) | instid1(VALU_DEP_1)
	v_and_b32_e32 v0, 0x80000000, v0
	v_or3_b32 v1, v4, v0, v1
.LBB6_5001:                             ;   in Loop: Header=BB6_4515 Depth=2
	s_or_b32 exec_lo, exec_lo, s40
.LBB6_5002:                             ;   in Loop: Header=BB6_4515 Depth=2
	s_delay_alu instid0(SALU_CYCLE_1)
	s_or_b32 exec_lo, exec_lo, s11
.LBB6_5003:                             ;   in Loop: Header=BB6_4515 Depth=2
	s_delay_alu instid0(SALU_CYCLE_1) | instskip(NEXT) | instid1(VALU_DEP_1)
	s_or_b32 exec_lo, exec_lo, s10
	v_mul_f32_e32 v1, s29, v1
                                        ; implicit-def: $vgpr37
	s_mov_b32 s10, exec_lo
	s_delay_alu instid0(VALU_DEP_1) | instskip(SKIP_1) | instid1(VALU_DEP_2)
	v_and_b32_e32 v54, 0x7f800000, v1
	v_lshrrev_b32_e32 v0, 24, v1
	v_cmpx_ne_u64_e32 0x7f800000, v[54:55]
	s_xor_b32 s11, exec_lo, s10
	s_cbranch_execz .LBB6_5021
; %bb.5004:                             ;   in Loop: Header=BB6_4515 Depth=2
	v_and_b32_e32 v54, 0x7fffffff, v1
	v_and_b32_e32 v0, 0x80, v0
                                        ; implicit-def: $vgpr37
	s_mov_b32 s10, exec_lo
	s_delay_alu instid0(VALU_DEP_2)
	v_cmpx_gt_u64_e32 0x43e00001, v[54:55]
	s_xor_b32 s40, exec_lo, s10
	s_cbranch_execz .LBB6_5018
; %bb.5005:                             ;   in Loop: Header=BB6_4515 Depth=2
	v_mov_b32_e32 v37, 0
	s_mov_b32 s41, exec_lo
	v_cmpx_ne_u32_e32 0, v1
	s_cbranch_execz .LBB6_5017
; %bb.5006:                             ;   in Loop: Header=BB6_4515 Depth=2
	v_bfe_u32 v4, v1, 23, 8
	v_and_b32_e32 v1, 0x7fffff, v1
	s_delay_alu instid0(VALU_DEP_2) | instskip(SKIP_1) | instid1(VALU_DEP_3)
	v_sub_nc_u32_e32 v6, 0x79, v4
	v_cmp_gt_u32_e32 vcc_lo, 0x7a, v4
	v_or_b32_e32 v16, 0x800000, v1
	s_delay_alu instid0(VALU_DEP_3) | instskip(SKIP_1) | instid1(VALU_DEP_3)
	v_cndmask_b32_e32 v6, 0, v6, vcc_lo
	v_cmp_eq_u32_e32 vcc_lo, 0, v4
	v_cndmask_b32_e32 v54, v16, v1, vcc_lo
	s_delay_alu instid0(VALU_DEP_3) | instskip(NEXT) | instid1(VALU_DEP_1)
	v_cndmask_b32_e64 v6, v6, 0x78, vcc_lo
	v_add_nc_u32_e32 v7, 20, v6
	s_delay_alu instid0(VALU_DEP_3) | instskip(NEXT) | instid1(VALU_DEP_2)
	v_lshrrev_b64 v[16:17], v6, v[54:55]
	v_lshlrev_b64_e64 v[8:9], v7, -1
	v_add_nc_u32_e32 v7, 19, v6
	s_delay_alu instid0(VALU_DEP_1) | instskip(NEXT) | instid1(VALU_DEP_3)
	v_lshlrev_b64_e64 v[18:19], v7, 1
	v_bfi_b32 v9, v9, 0, 0
	s_delay_alu instid0(VALU_DEP_4) | instskip(NEXT) | instid1(VALU_DEP_1)
	v_bfi_b32 v8, v8, 0, v54
	v_cmp_eq_u64_e64 s10, v[8:9], v[18:19]
	v_mov_b64_e32 v[18:19], v[16:17]
	s_and_saveexec_b32 s42, s10
; %bb.5007:                             ;   in Loop: Header=BB6_4515 Depth=2
	v_bfe_u32 v54, v16, 20, 1
	s_delay_alu instid0(VALU_DEP_1) | instskip(NEXT) | instid1(VALU_DEP_1)
	v_add_nc_u64_e32 v[8:9], v[16:17], v[54:55]
	v_add_nc_u64_e32 v[18:19], -1, v[8:9]
; %bb.5008:                             ;   in Loop: Header=BB6_4515 Depth=2
	s_or_b32 exec_lo, exec_lo, s42
	v_add_nc_u32_e32 v1, 0xffffff81, v4
	v_lshrrev_b32_e32 v4, 23, v16
	s_mov_b32 s10, exec_lo
	s_delay_alu instid0(VALU_DEP_2) | instskip(NEXT) | instid1(VALU_DEP_1)
	v_cndmask_b32_e64 v1, v1, 0xffffff82, vcc_lo
	v_add3_u32 v4, v6, v1, v4
	v_and_b32_e32 v1, 0xfffff, v18
	s_delay_alu instid0(VALU_DEP_2) | instskip(NEXT) | instid1(VALU_DEP_2)
	v_add_nc_u32_e32 v6, 6, v4
	v_add_nc_u32_e32 v54, v1, v16
                                        ; implicit-def: $vgpr16_vgpr17
                                        ; implicit-def: $vgpr1
	s_delay_alu instid0(VALU_DEP_2)
	v_cmpx_ne_u32_e32 0, v6
	s_xor_b32 s10, exec_lo, s10
; %bb.5009:                             ;   in Loop: Header=BB6_4515 Depth=2
	s_delay_alu instid0(VALU_DEP_2) | instskip(SKIP_2) | instid1(VALU_DEP_2)
	v_cmp_lt_u64_e32 vcc_lo, 0xffffff, v[54:55]
	v_add_nc_u32_e32 v1, 7, v4
	v_cndmask_b32_e64 v4, 0, 1, vcc_lo
	v_cndmask_b32_e32 v1, v6, v1, vcc_lo
	s_delay_alu instid0(VALU_DEP_2)
	v_lshrrev_b64 v[16:17], v4, v[54:55]
; %bb.5010:                             ;   in Loop: Header=BB6_4515 Depth=2
	s_and_not1_saveexec_b32 s10, s10
; %bb.5011:                             ;   in Loop: Header=BB6_4515 Depth=2
	v_mov_b64_e32 v[16:17], v[54:55]
	v_bfe_u32 v1, v54, 23, 1
; %bb.5012:                             ;   in Loop: Header=BB6_4515 Depth=2
	s_or_b32 exec_lo, exec_lo, s10
	s_delay_alu instid0(VALU_DEP_2) | instskip(NEXT) | instid1(VALU_DEP_2)
	v_lshrrev_b64 v[6:7], 20, v[16:17]
	v_cmp_gt_i32_e32 vcc_lo, 16, v1
	v_cmp_ne_u32_e64 s10, 0, v1
                                        ; implicit-def: $vgpr37
	s_delay_alu instid0(VALU_DEP_3) | instskip(NEXT) | instid1(VALU_DEP_1)
	v_dual_cndmask_b32 v17, 0, v7 :: v_dual_cndmask_b32 v16, 7, v6
	v_cmp_ne_u64_e32 vcc_lo, 0, v[16:17]
	s_or_b32 s10, s10, vcc_lo
	s_delay_alu instid0(SALU_CYCLE_1) | instskip(NEXT) | instid1(SALU_CYCLE_1)
	s_and_saveexec_b32 s42, s10
	s_xor_b32 s10, exec_lo, s42
; %bb.5013:                             ;   in Loop: Header=BB6_4515 Depth=2
	v_min_i32_e32 v1, 15, v1
	s_delay_alu instid0(VALU_DEP_1) | instskip(NEXT) | instid1(VALU_DEP_1)
	v_lshl_or_b32 v0, v1, 3, v0
	v_and_or_b32 v37, v16, 7, v0
                                        ; implicit-def: $vgpr0
; %bb.5014:                             ;   in Loop: Header=BB6_4515 Depth=2
	s_and_not1_saveexec_b32 s10, s10
; %bb.5015:                             ;   in Loop: Header=BB6_4515 Depth=2
	v_mov_b32_e32 v37, v0
; %bb.5016:                             ;   in Loop: Header=BB6_4515 Depth=2
	s_or_b32 exec_lo, exec_lo, s10
.LBB6_5017:                             ;   in Loop: Header=BB6_4515 Depth=2
	s_delay_alu instid0(SALU_CYCLE_1)
	s_or_b32 exec_lo, exec_lo, s41
                                        ; implicit-def: $vgpr0
.LBB6_5018:                             ;   in Loop: Header=BB6_4515 Depth=2
	s_and_not1_saveexec_b32 s10, s40
; %bb.5019:                             ;   in Loop: Header=BB6_4515 Depth=2
	v_or_b32_e32 v37, 0x7e, v0
; %bb.5020:                             ;   in Loop: Header=BB6_4515 Depth=2
	s_or_b32 exec_lo, exec_lo, s10
                                        ; implicit-def: $vgpr0
.LBB6_5021:                             ;   in Loop: Header=BB6_4515 Depth=2
	s_and_not1_saveexec_b32 s10, s11
; %bb.5022:                             ;   in Loop: Header=BB6_4515 Depth=2
	v_or_b32_e32 v37, 0x7f, v0
; %bb.5023:                             ;   in Loop: Header=BB6_4515 Depth=2
	s_or_b32 exec_lo, exec_lo, s10
	flat_load_u8 v0, v[10:11] offset:576 th:TH_LOAD_NT
	v_mov_b32_e32 v1, 0
	s_mov_b32 s10, exec_lo
	s_wait_loadcnt_dscnt 0x0
	s_wait_xcnt 0x0
	v_cmpx_ne_u16_e32 0, v0
	s_cbranch_execz .LBB6_5031
; %bb.5024:                             ;   in Loop: Header=BB6_4515 Depth=2
	v_bfrev_b32_e32 v1, 1
	s_mov_b32 s11, exec_lo
	v_cmpx_ne_u16_e32 0x80, v0
	s_cbranch_execz .LBB6_5030
; %bb.5025:                             ;   in Loop: Header=BB6_4515 Depth=2
	v_and_b32_e32 v6, 0xffff, v0
	v_mov_b32_e32 v1, 0x7f800001
	s_mov_b32 s40, exec_lo
	s_delay_alu instid0(VALU_DEP_2) | instskip(NEXT) | instid1(VALU_DEP_1)
	v_and_b32_e32 v4, 0x7f, v6
	v_cmpx_ne_u32_e32 0x7f, v4
	s_cbranch_execz .LBB6_5029
; %bb.5026:                             ;   in Loop: Header=BB6_4515 Depth=2
	v_dual_lshrrev_b32 v1, 3, v4 :: v_dual_bitop2_b32 v54, 7, v6 bitop3:0x40
	s_mov_b32 s41, exec_lo
	s_delay_alu instid0(VALU_DEP_1)
	v_mov_b64_e32 v[16:17], v[54:55]
	v_cmpx_gt_u32_e32 8, v4
; %bb.5027:                             ;   in Loop: Header=BB6_4515 Depth=2
	v_clz_i32_u32_e32 v1, v54
	s_delay_alu instid0(VALU_DEP_1) | instskip(NEXT) | instid1(VALU_DEP_1)
	v_min_u32_e32 v1, 32, v1
	v_subrev_nc_u32_e32 v4, 28, v1
	s_delay_alu instid0(VALU_DEP_1) | instskip(NEXT) | instid1(VALU_DEP_1)
	v_lshlrev_b64_e32 v[6:7], v4, v[54:55]
	v_dual_sub_nc_u32 v1, 29, v1 :: v_dual_bitop2_b32 v16, 7, v6 bitop3:0x40
; %bb.5028:                             ;   in Loop: Header=BB6_4515 Depth=2
	s_or_b32 exec_lo, exec_lo, s41
	v_lshlrev_b32_e32 v0, 24, v0
	s_delay_alu instid0(VALU_DEP_2) | instskip(NEXT) | instid1(VALU_DEP_3)
	v_lshlrev_b32_e32 v4, 20, v16
	v_lshl_add_u32 v1, v1, 23, 0x3c000000
	s_delay_alu instid0(VALU_DEP_3) | instskip(NEXT) | instid1(VALU_DEP_1)
	v_and_b32_e32 v0, 0x80000000, v0
	v_or3_b32 v1, v4, v0, v1
.LBB6_5029:                             ;   in Loop: Header=BB6_4515 Depth=2
	s_or_b32 exec_lo, exec_lo, s40
.LBB6_5030:                             ;   in Loop: Header=BB6_4515 Depth=2
	s_delay_alu instid0(SALU_CYCLE_1)
	s_or_b32 exec_lo, exec_lo, s11
.LBB6_5031:                             ;   in Loop: Header=BB6_4515 Depth=2
	s_delay_alu instid0(SALU_CYCLE_1) | instskip(NEXT) | instid1(VALU_DEP_1)
	s_or_b32 exec_lo, exec_lo, s10
	v_mul_f32_e32 v1, s29, v1
                                        ; implicit-def: $vgpr35
	s_mov_b32 s10, exec_lo
	s_delay_alu instid0(VALU_DEP_1) | instskip(SKIP_1) | instid1(VALU_DEP_2)
	v_and_b32_e32 v54, 0x7f800000, v1
	v_lshrrev_b32_e32 v0, 24, v1
	v_cmpx_ne_u64_e32 0x7f800000, v[54:55]
	s_xor_b32 s11, exec_lo, s10
	s_cbranch_execz .LBB6_5049
; %bb.5032:                             ;   in Loop: Header=BB6_4515 Depth=2
	v_and_b32_e32 v54, 0x7fffffff, v1
	v_and_b32_e32 v0, 0x80, v0
                                        ; implicit-def: $vgpr35
	s_mov_b32 s10, exec_lo
	s_delay_alu instid0(VALU_DEP_2)
	v_cmpx_gt_u64_e32 0x43e00001, v[54:55]
	s_xor_b32 s40, exec_lo, s10
	s_cbranch_execz .LBB6_5046
; %bb.5033:                             ;   in Loop: Header=BB6_4515 Depth=2
	v_mov_b32_e32 v35, 0
	s_mov_b32 s41, exec_lo
	v_cmpx_ne_u32_e32 0, v1
	s_cbranch_execz .LBB6_5045
; %bb.5034:                             ;   in Loop: Header=BB6_4515 Depth=2
	v_bfe_u32 v4, v1, 23, 8
	v_and_b32_e32 v1, 0x7fffff, v1
	s_delay_alu instid0(VALU_DEP_2) | instskip(SKIP_1) | instid1(VALU_DEP_3)
	v_sub_nc_u32_e32 v6, 0x79, v4
	v_cmp_gt_u32_e32 vcc_lo, 0x7a, v4
	v_or_b32_e32 v16, 0x800000, v1
	s_delay_alu instid0(VALU_DEP_3) | instskip(SKIP_1) | instid1(VALU_DEP_3)
	v_cndmask_b32_e32 v6, 0, v6, vcc_lo
	v_cmp_eq_u32_e32 vcc_lo, 0, v4
	v_cndmask_b32_e32 v54, v16, v1, vcc_lo
	s_delay_alu instid0(VALU_DEP_3) | instskip(NEXT) | instid1(VALU_DEP_1)
	v_cndmask_b32_e64 v6, v6, 0x78, vcc_lo
	v_add_nc_u32_e32 v7, 20, v6
	s_delay_alu instid0(VALU_DEP_3) | instskip(NEXT) | instid1(VALU_DEP_2)
	v_lshrrev_b64 v[16:17], v6, v[54:55]
	v_lshlrev_b64_e64 v[8:9], v7, -1
	v_add_nc_u32_e32 v7, 19, v6
	s_delay_alu instid0(VALU_DEP_1) | instskip(NEXT) | instid1(VALU_DEP_3)
	v_lshlrev_b64_e64 v[18:19], v7, 1
	v_bfi_b32 v9, v9, 0, 0
	s_delay_alu instid0(VALU_DEP_4) | instskip(NEXT) | instid1(VALU_DEP_1)
	v_bfi_b32 v8, v8, 0, v54
	v_cmp_eq_u64_e64 s10, v[8:9], v[18:19]
	v_mov_b64_e32 v[18:19], v[16:17]
	s_and_saveexec_b32 s42, s10
; %bb.5035:                             ;   in Loop: Header=BB6_4515 Depth=2
	v_bfe_u32 v54, v16, 20, 1
	s_delay_alu instid0(VALU_DEP_1) | instskip(NEXT) | instid1(VALU_DEP_1)
	v_add_nc_u64_e32 v[8:9], v[16:17], v[54:55]
	v_add_nc_u64_e32 v[18:19], -1, v[8:9]
; %bb.5036:                             ;   in Loop: Header=BB6_4515 Depth=2
	s_or_b32 exec_lo, exec_lo, s42
	v_add_nc_u32_e32 v1, 0xffffff81, v4
	v_lshrrev_b32_e32 v4, 23, v16
	s_mov_b32 s10, exec_lo
	s_delay_alu instid0(VALU_DEP_2) | instskip(NEXT) | instid1(VALU_DEP_1)
	v_cndmask_b32_e64 v1, v1, 0xffffff82, vcc_lo
	v_add3_u32 v4, v6, v1, v4
	v_and_b32_e32 v1, 0xfffff, v18
	s_delay_alu instid0(VALU_DEP_2) | instskip(NEXT) | instid1(VALU_DEP_2)
	v_add_nc_u32_e32 v6, 6, v4
	v_add_nc_u32_e32 v54, v1, v16
                                        ; implicit-def: $vgpr16_vgpr17
                                        ; implicit-def: $vgpr1
	s_delay_alu instid0(VALU_DEP_2)
	v_cmpx_ne_u32_e32 0, v6
	s_xor_b32 s10, exec_lo, s10
; %bb.5037:                             ;   in Loop: Header=BB6_4515 Depth=2
	s_delay_alu instid0(VALU_DEP_2) | instskip(SKIP_2) | instid1(VALU_DEP_2)
	v_cmp_lt_u64_e32 vcc_lo, 0xffffff, v[54:55]
	v_add_nc_u32_e32 v1, 7, v4
	v_cndmask_b32_e64 v4, 0, 1, vcc_lo
	v_cndmask_b32_e32 v1, v6, v1, vcc_lo
	s_delay_alu instid0(VALU_DEP_2)
	v_lshrrev_b64 v[16:17], v4, v[54:55]
; %bb.5038:                             ;   in Loop: Header=BB6_4515 Depth=2
	s_and_not1_saveexec_b32 s10, s10
; %bb.5039:                             ;   in Loop: Header=BB6_4515 Depth=2
	v_mov_b64_e32 v[16:17], v[54:55]
	v_bfe_u32 v1, v54, 23, 1
; %bb.5040:                             ;   in Loop: Header=BB6_4515 Depth=2
	s_or_b32 exec_lo, exec_lo, s10
	s_delay_alu instid0(VALU_DEP_2) | instskip(NEXT) | instid1(VALU_DEP_2)
	v_lshrrev_b64 v[6:7], 20, v[16:17]
	v_cmp_gt_i32_e32 vcc_lo, 16, v1
	v_cmp_ne_u32_e64 s10, 0, v1
                                        ; implicit-def: $vgpr35
	s_delay_alu instid0(VALU_DEP_3) | instskip(NEXT) | instid1(VALU_DEP_1)
	v_dual_cndmask_b32 v17, 0, v7 :: v_dual_cndmask_b32 v16, 7, v6
	v_cmp_ne_u64_e32 vcc_lo, 0, v[16:17]
	s_or_b32 s10, s10, vcc_lo
	s_delay_alu instid0(SALU_CYCLE_1) | instskip(NEXT) | instid1(SALU_CYCLE_1)
	s_and_saveexec_b32 s42, s10
	s_xor_b32 s10, exec_lo, s42
; %bb.5041:                             ;   in Loop: Header=BB6_4515 Depth=2
	v_min_i32_e32 v1, 15, v1
	s_delay_alu instid0(VALU_DEP_1) | instskip(NEXT) | instid1(VALU_DEP_1)
	v_lshl_or_b32 v0, v1, 3, v0
	v_and_or_b32 v35, v16, 7, v0
                                        ; implicit-def: $vgpr0
; %bb.5042:                             ;   in Loop: Header=BB6_4515 Depth=2
	s_and_not1_saveexec_b32 s10, s10
; %bb.5043:                             ;   in Loop: Header=BB6_4515 Depth=2
	v_mov_b32_e32 v35, v0
; %bb.5044:                             ;   in Loop: Header=BB6_4515 Depth=2
	s_or_b32 exec_lo, exec_lo, s10
.LBB6_5045:                             ;   in Loop: Header=BB6_4515 Depth=2
	s_delay_alu instid0(SALU_CYCLE_1)
	s_or_b32 exec_lo, exec_lo, s41
                                        ; implicit-def: $vgpr0
.LBB6_5046:                             ;   in Loop: Header=BB6_4515 Depth=2
	s_and_not1_saveexec_b32 s10, s40
; %bb.5047:                             ;   in Loop: Header=BB6_4515 Depth=2
	v_or_b32_e32 v35, 0x7e, v0
; %bb.5048:                             ;   in Loop: Header=BB6_4515 Depth=2
	s_or_b32 exec_lo, exec_lo, s10
                                        ; implicit-def: $vgpr0
.LBB6_5049:                             ;   in Loop: Header=BB6_4515 Depth=2
	s_and_not1_saveexec_b32 s10, s11
; %bb.5050:                             ;   in Loop: Header=BB6_4515 Depth=2
	v_or_b32_e32 v35, 0x7f, v0
; %bb.5051:                             ;   in Loop: Header=BB6_4515 Depth=2
	s_or_b32 exec_lo, exec_lo, s10
	flat_load_u8 v0, v[10:11] offset:608 th:TH_LOAD_NT
	v_mov_b32_e32 v1, 0
	s_mov_b32 s10, exec_lo
	s_wait_loadcnt_dscnt 0x0
	s_wait_xcnt 0x0
	v_cmpx_ne_u16_e32 0, v0
	s_cbranch_execz .LBB6_5059
; %bb.5052:                             ;   in Loop: Header=BB6_4515 Depth=2
	v_bfrev_b32_e32 v1, 1
	s_mov_b32 s11, exec_lo
	v_cmpx_ne_u16_e32 0x80, v0
	s_cbranch_execz .LBB6_5058
; %bb.5053:                             ;   in Loop: Header=BB6_4515 Depth=2
	v_and_b32_e32 v6, 0xffff, v0
	v_mov_b32_e32 v1, 0x7f800001
	s_mov_b32 s40, exec_lo
	s_delay_alu instid0(VALU_DEP_2) | instskip(NEXT) | instid1(VALU_DEP_1)
	v_and_b32_e32 v4, 0x7f, v6
	v_cmpx_ne_u32_e32 0x7f, v4
	s_cbranch_execz .LBB6_5057
; %bb.5054:                             ;   in Loop: Header=BB6_4515 Depth=2
	v_dual_lshrrev_b32 v1, 3, v4 :: v_dual_bitop2_b32 v54, 7, v6 bitop3:0x40
	s_mov_b32 s41, exec_lo
	s_delay_alu instid0(VALU_DEP_1)
	v_mov_b64_e32 v[16:17], v[54:55]
	v_cmpx_gt_u32_e32 8, v4
; %bb.5055:                             ;   in Loop: Header=BB6_4515 Depth=2
	v_clz_i32_u32_e32 v1, v54
	s_delay_alu instid0(VALU_DEP_1) | instskip(NEXT) | instid1(VALU_DEP_1)
	v_min_u32_e32 v1, 32, v1
	v_subrev_nc_u32_e32 v4, 28, v1
	s_delay_alu instid0(VALU_DEP_1) | instskip(NEXT) | instid1(VALU_DEP_1)
	v_lshlrev_b64_e32 v[6:7], v4, v[54:55]
	v_dual_sub_nc_u32 v1, 29, v1 :: v_dual_bitop2_b32 v16, 7, v6 bitop3:0x40
; %bb.5056:                             ;   in Loop: Header=BB6_4515 Depth=2
	s_or_b32 exec_lo, exec_lo, s41
	v_lshlrev_b32_e32 v0, 24, v0
	s_delay_alu instid0(VALU_DEP_2) | instskip(NEXT) | instid1(VALU_DEP_3)
	v_lshlrev_b32_e32 v4, 20, v16
	v_lshl_add_u32 v1, v1, 23, 0x3c000000
	s_delay_alu instid0(VALU_DEP_3) | instskip(NEXT) | instid1(VALU_DEP_1)
	v_and_b32_e32 v0, 0x80000000, v0
	v_or3_b32 v1, v4, v0, v1
.LBB6_5057:                             ;   in Loop: Header=BB6_4515 Depth=2
	s_or_b32 exec_lo, exec_lo, s40
.LBB6_5058:                             ;   in Loop: Header=BB6_4515 Depth=2
	s_delay_alu instid0(SALU_CYCLE_1)
	s_or_b32 exec_lo, exec_lo, s11
.LBB6_5059:                             ;   in Loop: Header=BB6_4515 Depth=2
	s_delay_alu instid0(SALU_CYCLE_1) | instskip(NEXT) | instid1(VALU_DEP_1)
	s_or_b32 exec_lo, exec_lo, s10
	v_mul_f32_e32 v1, s29, v1
                                        ; implicit-def: $vgpr34
	s_mov_b32 s10, exec_lo
	s_delay_alu instid0(VALU_DEP_1) | instskip(SKIP_1) | instid1(VALU_DEP_2)
	v_and_b32_e32 v54, 0x7f800000, v1
	v_lshrrev_b32_e32 v0, 24, v1
	v_cmpx_ne_u64_e32 0x7f800000, v[54:55]
	s_xor_b32 s11, exec_lo, s10
	s_cbranch_execz .LBB6_5077
; %bb.5060:                             ;   in Loop: Header=BB6_4515 Depth=2
	v_and_b32_e32 v54, 0x7fffffff, v1
	v_and_b32_e32 v0, 0x80, v0
                                        ; implicit-def: $vgpr34
	s_mov_b32 s10, exec_lo
	s_delay_alu instid0(VALU_DEP_2)
	v_cmpx_gt_u64_e32 0x43e00001, v[54:55]
	s_xor_b32 s40, exec_lo, s10
	s_cbranch_execz .LBB6_5074
; %bb.5061:                             ;   in Loop: Header=BB6_4515 Depth=2
	v_mov_b32_e32 v34, 0
	s_mov_b32 s41, exec_lo
	v_cmpx_ne_u32_e32 0, v1
	s_cbranch_execz .LBB6_5073
; %bb.5062:                             ;   in Loop: Header=BB6_4515 Depth=2
	v_bfe_u32 v4, v1, 23, 8
	v_and_b32_e32 v1, 0x7fffff, v1
	s_delay_alu instid0(VALU_DEP_2) | instskip(SKIP_1) | instid1(VALU_DEP_3)
	v_sub_nc_u32_e32 v6, 0x79, v4
	v_cmp_gt_u32_e32 vcc_lo, 0x7a, v4
	v_or_b32_e32 v16, 0x800000, v1
	s_delay_alu instid0(VALU_DEP_3) | instskip(SKIP_1) | instid1(VALU_DEP_3)
	v_cndmask_b32_e32 v6, 0, v6, vcc_lo
	v_cmp_eq_u32_e32 vcc_lo, 0, v4
	v_cndmask_b32_e32 v54, v16, v1, vcc_lo
	s_delay_alu instid0(VALU_DEP_3) | instskip(NEXT) | instid1(VALU_DEP_1)
	v_cndmask_b32_e64 v6, v6, 0x78, vcc_lo
	v_add_nc_u32_e32 v7, 20, v6
	s_delay_alu instid0(VALU_DEP_3) | instskip(NEXT) | instid1(VALU_DEP_2)
	v_lshrrev_b64 v[16:17], v6, v[54:55]
	v_lshlrev_b64_e64 v[8:9], v7, -1
	v_add_nc_u32_e32 v7, 19, v6
	s_delay_alu instid0(VALU_DEP_1) | instskip(NEXT) | instid1(VALU_DEP_3)
	v_lshlrev_b64_e64 v[18:19], v7, 1
	v_bfi_b32 v9, v9, 0, 0
	s_delay_alu instid0(VALU_DEP_4) | instskip(NEXT) | instid1(VALU_DEP_1)
	v_bfi_b32 v8, v8, 0, v54
	v_cmp_eq_u64_e64 s10, v[8:9], v[18:19]
	v_mov_b64_e32 v[18:19], v[16:17]
	s_and_saveexec_b32 s42, s10
; %bb.5063:                             ;   in Loop: Header=BB6_4515 Depth=2
	v_bfe_u32 v54, v16, 20, 1
	s_delay_alu instid0(VALU_DEP_1) | instskip(NEXT) | instid1(VALU_DEP_1)
	v_add_nc_u64_e32 v[8:9], v[16:17], v[54:55]
	v_add_nc_u64_e32 v[18:19], -1, v[8:9]
; %bb.5064:                             ;   in Loop: Header=BB6_4515 Depth=2
	s_or_b32 exec_lo, exec_lo, s42
	v_add_nc_u32_e32 v1, 0xffffff81, v4
	v_lshrrev_b32_e32 v4, 23, v16
	s_mov_b32 s10, exec_lo
	s_delay_alu instid0(VALU_DEP_2) | instskip(NEXT) | instid1(VALU_DEP_1)
	v_cndmask_b32_e64 v1, v1, 0xffffff82, vcc_lo
	v_add3_u32 v4, v6, v1, v4
	v_and_b32_e32 v1, 0xfffff, v18
	s_delay_alu instid0(VALU_DEP_2) | instskip(NEXT) | instid1(VALU_DEP_2)
	v_add_nc_u32_e32 v6, 6, v4
	v_add_nc_u32_e32 v54, v1, v16
                                        ; implicit-def: $vgpr16_vgpr17
                                        ; implicit-def: $vgpr1
	s_delay_alu instid0(VALU_DEP_2)
	v_cmpx_ne_u32_e32 0, v6
	s_xor_b32 s10, exec_lo, s10
; %bb.5065:                             ;   in Loop: Header=BB6_4515 Depth=2
	s_delay_alu instid0(VALU_DEP_2) | instskip(SKIP_2) | instid1(VALU_DEP_2)
	v_cmp_lt_u64_e32 vcc_lo, 0xffffff, v[54:55]
	v_add_nc_u32_e32 v1, 7, v4
	v_cndmask_b32_e64 v4, 0, 1, vcc_lo
	v_cndmask_b32_e32 v1, v6, v1, vcc_lo
	s_delay_alu instid0(VALU_DEP_2)
	v_lshrrev_b64 v[16:17], v4, v[54:55]
; %bb.5066:                             ;   in Loop: Header=BB6_4515 Depth=2
	s_and_not1_saveexec_b32 s10, s10
; %bb.5067:                             ;   in Loop: Header=BB6_4515 Depth=2
	v_mov_b64_e32 v[16:17], v[54:55]
	v_bfe_u32 v1, v54, 23, 1
; %bb.5068:                             ;   in Loop: Header=BB6_4515 Depth=2
	s_or_b32 exec_lo, exec_lo, s10
	s_delay_alu instid0(VALU_DEP_2) | instskip(NEXT) | instid1(VALU_DEP_2)
	v_lshrrev_b64 v[6:7], 20, v[16:17]
	v_cmp_gt_i32_e32 vcc_lo, 16, v1
	v_cmp_ne_u32_e64 s10, 0, v1
                                        ; implicit-def: $vgpr34
	s_delay_alu instid0(VALU_DEP_3) | instskip(NEXT) | instid1(VALU_DEP_1)
	v_dual_cndmask_b32 v17, 0, v7 :: v_dual_cndmask_b32 v16, 7, v6
	v_cmp_ne_u64_e32 vcc_lo, 0, v[16:17]
	s_or_b32 s10, s10, vcc_lo
	s_delay_alu instid0(SALU_CYCLE_1) | instskip(NEXT) | instid1(SALU_CYCLE_1)
	s_and_saveexec_b32 s42, s10
	s_xor_b32 s10, exec_lo, s42
; %bb.5069:                             ;   in Loop: Header=BB6_4515 Depth=2
	v_min_i32_e32 v1, 15, v1
	s_delay_alu instid0(VALU_DEP_1) | instskip(NEXT) | instid1(VALU_DEP_1)
	v_lshl_or_b32 v0, v1, 3, v0
	v_and_or_b32 v34, v16, 7, v0
                                        ; implicit-def: $vgpr0
; %bb.5070:                             ;   in Loop: Header=BB6_4515 Depth=2
	s_and_not1_saveexec_b32 s10, s10
; %bb.5071:                             ;   in Loop: Header=BB6_4515 Depth=2
	v_mov_b32_e32 v34, v0
; %bb.5072:                             ;   in Loop: Header=BB6_4515 Depth=2
	s_or_b32 exec_lo, exec_lo, s10
.LBB6_5073:                             ;   in Loop: Header=BB6_4515 Depth=2
	s_delay_alu instid0(SALU_CYCLE_1)
	s_or_b32 exec_lo, exec_lo, s41
                                        ; implicit-def: $vgpr0
.LBB6_5074:                             ;   in Loop: Header=BB6_4515 Depth=2
	s_and_not1_saveexec_b32 s10, s40
; %bb.5075:                             ;   in Loop: Header=BB6_4515 Depth=2
	v_or_b32_e32 v34, 0x7e, v0
; %bb.5076:                             ;   in Loop: Header=BB6_4515 Depth=2
	s_or_b32 exec_lo, exec_lo, s10
                                        ; implicit-def: $vgpr0
.LBB6_5077:                             ;   in Loop: Header=BB6_4515 Depth=2
	s_and_not1_saveexec_b32 s10, s11
; %bb.5078:                             ;   in Loop: Header=BB6_4515 Depth=2
	v_or_b32_e32 v34, 0x7f, v0
; %bb.5079:                             ;   in Loop: Header=BB6_4515 Depth=2
	s_or_b32 exec_lo, exec_lo, s10
	flat_load_u8 v0, v[10:11] offset:640 th:TH_LOAD_NT
	v_mov_b32_e32 v1, 0
	s_mov_b32 s10, exec_lo
	s_wait_loadcnt_dscnt 0x0
	s_wait_xcnt 0x0
	v_cmpx_ne_u16_e32 0, v0
	s_cbranch_execz .LBB6_5087
; %bb.5080:                             ;   in Loop: Header=BB6_4515 Depth=2
	v_bfrev_b32_e32 v1, 1
	s_mov_b32 s11, exec_lo
	v_cmpx_ne_u16_e32 0x80, v0
	s_cbranch_execz .LBB6_5086
; %bb.5081:                             ;   in Loop: Header=BB6_4515 Depth=2
	v_and_b32_e32 v6, 0xffff, v0
	v_mov_b32_e32 v1, 0x7f800001
	s_mov_b32 s40, exec_lo
	s_delay_alu instid0(VALU_DEP_2) | instskip(NEXT) | instid1(VALU_DEP_1)
	v_and_b32_e32 v4, 0x7f, v6
	v_cmpx_ne_u32_e32 0x7f, v4
	s_cbranch_execz .LBB6_5085
; %bb.5082:                             ;   in Loop: Header=BB6_4515 Depth=2
	v_dual_lshrrev_b32 v1, 3, v4 :: v_dual_bitop2_b32 v54, 7, v6 bitop3:0x40
	s_mov_b32 s41, exec_lo
	s_delay_alu instid0(VALU_DEP_1)
	v_mov_b64_e32 v[16:17], v[54:55]
	v_cmpx_gt_u32_e32 8, v4
; %bb.5083:                             ;   in Loop: Header=BB6_4515 Depth=2
	v_clz_i32_u32_e32 v1, v54
	s_delay_alu instid0(VALU_DEP_1) | instskip(NEXT) | instid1(VALU_DEP_1)
	v_min_u32_e32 v1, 32, v1
	v_subrev_nc_u32_e32 v4, 28, v1
	s_delay_alu instid0(VALU_DEP_1) | instskip(NEXT) | instid1(VALU_DEP_1)
	v_lshlrev_b64_e32 v[6:7], v4, v[54:55]
	v_dual_sub_nc_u32 v1, 29, v1 :: v_dual_bitop2_b32 v16, 7, v6 bitop3:0x40
; %bb.5084:                             ;   in Loop: Header=BB6_4515 Depth=2
	s_or_b32 exec_lo, exec_lo, s41
	v_lshlrev_b32_e32 v0, 24, v0
	s_delay_alu instid0(VALU_DEP_2) | instskip(NEXT) | instid1(VALU_DEP_3)
	v_lshlrev_b32_e32 v4, 20, v16
	v_lshl_add_u32 v1, v1, 23, 0x3c000000
	s_delay_alu instid0(VALU_DEP_3) | instskip(NEXT) | instid1(VALU_DEP_1)
	v_and_b32_e32 v0, 0x80000000, v0
	v_or3_b32 v1, v4, v0, v1
.LBB6_5085:                             ;   in Loop: Header=BB6_4515 Depth=2
	s_or_b32 exec_lo, exec_lo, s40
.LBB6_5086:                             ;   in Loop: Header=BB6_4515 Depth=2
	s_delay_alu instid0(SALU_CYCLE_1)
	s_or_b32 exec_lo, exec_lo, s11
.LBB6_5087:                             ;   in Loop: Header=BB6_4515 Depth=2
	s_delay_alu instid0(SALU_CYCLE_1) | instskip(NEXT) | instid1(VALU_DEP_1)
	s_or_b32 exec_lo, exec_lo, s10
	v_mul_f32_e32 v1, s29, v1
                                        ; implicit-def: $vgpr31
	s_mov_b32 s10, exec_lo
	s_delay_alu instid0(VALU_DEP_1) | instskip(SKIP_1) | instid1(VALU_DEP_2)
	v_and_b32_e32 v54, 0x7f800000, v1
	v_lshrrev_b32_e32 v0, 24, v1
	v_cmpx_ne_u64_e32 0x7f800000, v[54:55]
	s_xor_b32 s11, exec_lo, s10
	s_cbranch_execz .LBB6_5105
; %bb.5088:                             ;   in Loop: Header=BB6_4515 Depth=2
	v_and_b32_e32 v54, 0x7fffffff, v1
	v_and_b32_e32 v0, 0x80, v0
                                        ; implicit-def: $vgpr31
	s_mov_b32 s10, exec_lo
	s_delay_alu instid0(VALU_DEP_2)
	v_cmpx_gt_u64_e32 0x43e00001, v[54:55]
	s_xor_b32 s40, exec_lo, s10
	s_cbranch_execz .LBB6_5102
; %bb.5089:                             ;   in Loop: Header=BB6_4515 Depth=2
	v_mov_b32_e32 v31, 0
	s_mov_b32 s41, exec_lo
	v_cmpx_ne_u32_e32 0, v1
	s_cbranch_execz .LBB6_5101
; %bb.5090:                             ;   in Loop: Header=BB6_4515 Depth=2
	v_bfe_u32 v4, v1, 23, 8
	v_and_b32_e32 v1, 0x7fffff, v1
	s_delay_alu instid0(VALU_DEP_2) | instskip(SKIP_1) | instid1(VALU_DEP_3)
	v_sub_nc_u32_e32 v6, 0x79, v4
	v_cmp_gt_u32_e32 vcc_lo, 0x7a, v4
	v_or_b32_e32 v16, 0x800000, v1
	s_delay_alu instid0(VALU_DEP_3) | instskip(SKIP_1) | instid1(VALU_DEP_3)
	v_cndmask_b32_e32 v6, 0, v6, vcc_lo
	v_cmp_eq_u32_e32 vcc_lo, 0, v4
	v_cndmask_b32_e32 v54, v16, v1, vcc_lo
	s_delay_alu instid0(VALU_DEP_3) | instskip(NEXT) | instid1(VALU_DEP_1)
	v_cndmask_b32_e64 v6, v6, 0x78, vcc_lo
	v_add_nc_u32_e32 v7, 20, v6
	s_delay_alu instid0(VALU_DEP_3) | instskip(NEXT) | instid1(VALU_DEP_2)
	v_lshrrev_b64 v[16:17], v6, v[54:55]
	v_lshlrev_b64_e64 v[8:9], v7, -1
	v_add_nc_u32_e32 v7, 19, v6
	s_delay_alu instid0(VALU_DEP_1) | instskip(NEXT) | instid1(VALU_DEP_3)
	v_lshlrev_b64_e64 v[18:19], v7, 1
	v_bfi_b32 v9, v9, 0, 0
	s_delay_alu instid0(VALU_DEP_4) | instskip(NEXT) | instid1(VALU_DEP_1)
	v_bfi_b32 v8, v8, 0, v54
	v_cmp_eq_u64_e64 s10, v[8:9], v[18:19]
	v_mov_b64_e32 v[18:19], v[16:17]
	s_and_saveexec_b32 s42, s10
; %bb.5091:                             ;   in Loop: Header=BB6_4515 Depth=2
	v_bfe_u32 v54, v16, 20, 1
	s_delay_alu instid0(VALU_DEP_1) | instskip(NEXT) | instid1(VALU_DEP_1)
	v_add_nc_u64_e32 v[8:9], v[16:17], v[54:55]
	v_add_nc_u64_e32 v[18:19], -1, v[8:9]
; %bb.5092:                             ;   in Loop: Header=BB6_4515 Depth=2
	s_or_b32 exec_lo, exec_lo, s42
	v_add_nc_u32_e32 v1, 0xffffff81, v4
	v_lshrrev_b32_e32 v4, 23, v16
	s_mov_b32 s10, exec_lo
	s_delay_alu instid0(VALU_DEP_2) | instskip(NEXT) | instid1(VALU_DEP_1)
	v_cndmask_b32_e64 v1, v1, 0xffffff82, vcc_lo
	v_add3_u32 v4, v6, v1, v4
	v_and_b32_e32 v1, 0xfffff, v18
	s_delay_alu instid0(VALU_DEP_2) | instskip(NEXT) | instid1(VALU_DEP_2)
	v_add_nc_u32_e32 v6, 6, v4
	v_add_nc_u32_e32 v54, v1, v16
                                        ; implicit-def: $vgpr16_vgpr17
                                        ; implicit-def: $vgpr1
	s_delay_alu instid0(VALU_DEP_2)
	v_cmpx_ne_u32_e32 0, v6
	s_xor_b32 s10, exec_lo, s10
; %bb.5093:                             ;   in Loop: Header=BB6_4515 Depth=2
	s_delay_alu instid0(VALU_DEP_2) | instskip(SKIP_2) | instid1(VALU_DEP_2)
	v_cmp_lt_u64_e32 vcc_lo, 0xffffff, v[54:55]
	v_add_nc_u32_e32 v1, 7, v4
	v_cndmask_b32_e64 v4, 0, 1, vcc_lo
	v_cndmask_b32_e32 v1, v6, v1, vcc_lo
	s_delay_alu instid0(VALU_DEP_2)
	v_lshrrev_b64 v[16:17], v4, v[54:55]
; %bb.5094:                             ;   in Loop: Header=BB6_4515 Depth=2
	s_and_not1_saveexec_b32 s10, s10
; %bb.5095:                             ;   in Loop: Header=BB6_4515 Depth=2
	v_mov_b64_e32 v[16:17], v[54:55]
	v_bfe_u32 v1, v54, 23, 1
; %bb.5096:                             ;   in Loop: Header=BB6_4515 Depth=2
	s_or_b32 exec_lo, exec_lo, s10
	s_delay_alu instid0(VALU_DEP_2) | instskip(NEXT) | instid1(VALU_DEP_2)
	v_lshrrev_b64 v[6:7], 20, v[16:17]
	v_cmp_gt_i32_e32 vcc_lo, 16, v1
	v_cmp_ne_u32_e64 s10, 0, v1
                                        ; implicit-def: $vgpr31
	s_delay_alu instid0(VALU_DEP_3) | instskip(NEXT) | instid1(VALU_DEP_1)
	v_dual_cndmask_b32 v17, 0, v7 :: v_dual_cndmask_b32 v16, 7, v6
	v_cmp_ne_u64_e32 vcc_lo, 0, v[16:17]
	s_or_b32 s10, s10, vcc_lo
	s_delay_alu instid0(SALU_CYCLE_1) | instskip(NEXT) | instid1(SALU_CYCLE_1)
	s_and_saveexec_b32 s42, s10
	s_xor_b32 s10, exec_lo, s42
; %bb.5097:                             ;   in Loop: Header=BB6_4515 Depth=2
	v_min_i32_e32 v1, 15, v1
	s_delay_alu instid0(VALU_DEP_1) | instskip(NEXT) | instid1(VALU_DEP_1)
	v_lshl_or_b32 v0, v1, 3, v0
	v_and_or_b32 v31, v16, 7, v0
                                        ; implicit-def: $vgpr0
; %bb.5098:                             ;   in Loop: Header=BB6_4515 Depth=2
	s_and_not1_saveexec_b32 s10, s10
; %bb.5099:                             ;   in Loop: Header=BB6_4515 Depth=2
	v_mov_b32_e32 v31, v0
; %bb.5100:                             ;   in Loop: Header=BB6_4515 Depth=2
	s_or_b32 exec_lo, exec_lo, s10
.LBB6_5101:                             ;   in Loop: Header=BB6_4515 Depth=2
	s_delay_alu instid0(SALU_CYCLE_1)
	s_or_b32 exec_lo, exec_lo, s41
                                        ; implicit-def: $vgpr0
.LBB6_5102:                             ;   in Loop: Header=BB6_4515 Depth=2
	s_and_not1_saveexec_b32 s10, s40
; %bb.5103:                             ;   in Loop: Header=BB6_4515 Depth=2
	v_or_b32_e32 v31, 0x7e, v0
; %bb.5104:                             ;   in Loop: Header=BB6_4515 Depth=2
	s_or_b32 exec_lo, exec_lo, s10
                                        ; implicit-def: $vgpr0
.LBB6_5105:                             ;   in Loop: Header=BB6_4515 Depth=2
	s_and_not1_saveexec_b32 s10, s11
; %bb.5106:                             ;   in Loop: Header=BB6_4515 Depth=2
	v_or_b32_e32 v31, 0x7f, v0
; %bb.5107:                             ;   in Loop: Header=BB6_4515 Depth=2
	s_or_b32 exec_lo, exec_lo, s10
	flat_load_u8 v0, v[10:11] offset:672 th:TH_LOAD_NT
	v_mov_b32_e32 v1, 0
	s_mov_b32 s10, exec_lo
	s_wait_loadcnt_dscnt 0x0
	s_wait_xcnt 0x0
	v_cmpx_ne_u16_e32 0, v0
	s_cbranch_execz .LBB6_5115
; %bb.5108:                             ;   in Loop: Header=BB6_4515 Depth=2
	v_bfrev_b32_e32 v1, 1
	s_mov_b32 s11, exec_lo
	v_cmpx_ne_u16_e32 0x80, v0
	s_cbranch_execz .LBB6_5114
; %bb.5109:                             ;   in Loop: Header=BB6_4515 Depth=2
	v_and_b32_e32 v6, 0xffff, v0
	v_mov_b32_e32 v1, 0x7f800001
	s_mov_b32 s40, exec_lo
	s_delay_alu instid0(VALU_DEP_2) | instskip(NEXT) | instid1(VALU_DEP_1)
	v_and_b32_e32 v4, 0x7f, v6
	v_cmpx_ne_u32_e32 0x7f, v4
	s_cbranch_execz .LBB6_5113
; %bb.5110:                             ;   in Loop: Header=BB6_4515 Depth=2
	v_dual_lshrrev_b32 v1, 3, v4 :: v_dual_bitop2_b32 v54, 7, v6 bitop3:0x40
	s_mov_b32 s41, exec_lo
	s_delay_alu instid0(VALU_DEP_1)
	v_mov_b64_e32 v[16:17], v[54:55]
	v_cmpx_gt_u32_e32 8, v4
; %bb.5111:                             ;   in Loop: Header=BB6_4515 Depth=2
	v_clz_i32_u32_e32 v1, v54
	s_delay_alu instid0(VALU_DEP_1) | instskip(NEXT) | instid1(VALU_DEP_1)
	v_min_u32_e32 v1, 32, v1
	v_subrev_nc_u32_e32 v4, 28, v1
	s_delay_alu instid0(VALU_DEP_1) | instskip(NEXT) | instid1(VALU_DEP_1)
	v_lshlrev_b64_e32 v[6:7], v4, v[54:55]
	v_dual_sub_nc_u32 v1, 29, v1 :: v_dual_bitop2_b32 v16, 7, v6 bitop3:0x40
; %bb.5112:                             ;   in Loop: Header=BB6_4515 Depth=2
	s_or_b32 exec_lo, exec_lo, s41
	v_lshlrev_b32_e32 v0, 24, v0
	s_delay_alu instid0(VALU_DEP_2) | instskip(NEXT) | instid1(VALU_DEP_3)
	v_lshlrev_b32_e32 v4, 20, v16
	v_lshl_add_u32 v1, v1, 23, 0x3c000000
	s_delay_alu instid0(VALU_DEP_3) | instskip(NEXT) | instid1(VALU_DEP_1)
	v_and_b32_e32 v0, 0x80000000, v0
	v_or3_b32 v1, v4, v0, v1
.LBB6_5113:                             ;   in Loop: Header=BB6_4515 Depth=2
	s_or_b32 exec_lo, exec_lo, s40
.LBB6_5114:                             ;   in Loop: Header=BB6_4515 Depth=2
	s_delay_alu instid0(SALU_CYCLE_1)
	s_or_b32 exec_lo, exec_lo, s11
.LBB6_5115:                             ;   in Loop: Header=BB6_4515 Depth=2
	s_delay_alu instid0(SALU_CYCLE_1) | instskip(NEXT) | instid1(VALU_DEP_1)
	s_or_b32 exec_lo, exec_lo, s10
	v_mul_f32_e32 v1, s29, v1
                                        ; implicit-def: $vgpr29
	s_mov_b32 s10, exec_lo
	s_delay_alu instid0(VALU_DEP_1) | instskip(SKIP_1) | instid1(VALU_DEP_2)
	v_and_b32_e32 v54, 0x7f800000, v1
	v_lshrrev_b32_e32 v0, 24, v1
	v_cmpx_ne_u64_e32 0x7f800000, v[54:55]
	s_xor_b32 s11, exec_lo, s10
	s_cbranch_execz .LBB6_5133
; %bb.5116:                             ;   in Loop: Header=BB6_4515 Depth=2
	v_and_b32_e32 v54, 0x7fffffff, v1
	v_and_b32_e32 v0, 0x80, v0
                                        ; implicit-def: $vgpr29
	s_mov_b32 s10, exec_lo
	s_delay_alu instid0(VALU_DEP_2)
	v_cmpx_gt_u64_e32 0x43e00001, v[54:55]
	s_xor_b32 s40, exec_lo, s10
	s_cbranch_execz .LBB6_5130
; %bb.5117:                             ;   in Loop: Header=BB6_4515 Depth=2
	v_mov_b32_e32 v29, 0
	s_mov_b32 s41, exec_lo
	v_cmpx_ne_u32_e32 0, v1
	s_cbranch_execz .LBB6_5129
; %bb.5118:                             ;   in Loop: Header=BB6_4515 Depth=2
	v_bfe_u32 v4, v1, 23, 8
	v_and_b32_e32 v1, 0x7fffff, v1
	s_delay_alu instid0(VALU_DEP_2) | instskip(SKIP_1) | instid1(VALU_DEP_3)
	v_sub_nc_u32_e32 v6, 0x79, v4
	v_cmp_gt_u32_e32 vcc_lo, 0x7a, v4
	v_or_b32_e32 v16, 0x800000, v1
	s_delay_alu instid0(VALU_DEP_3) | instskip(SKIP_1) | instid1(VALU_DEP_3)
	v_cndmask_b32_e32 v6, 0, v6, vcc_lo
	v_cmp_eq_u32_e32 vcc_lo, 0, v4
	v_cndmask_b32_e32 v54, v16, v1, vcc_lo
	s_delay_alu instid0(VALU_DEP_3) | instskip(NEXT) | instid1(VALU_DEP_1)
	v_cndmask_b32_e64 v6, v6, 0x78, vcc_lo
	v_add_nc_u32_e32 v7, 20, v6
	s_delay_alu instid0(VALU_DEP_3) | instskip(NEXT) | instid1(VALU_DEP_2)
	v_lshrrev_b64 v[16:17], v6, v[54:55]
	v_lshlrev_b64_e64 v[8:9], v7, -1
	v_add_nc_u32_e32 v7, 19, v6
	s_delay_alu instid0(VALU_DEP_1) | instskip(NEXT) | instid1(VALU_DEP_3)
	v_lshlrev_b64_e64 v[18:19], v7, 1
	v_bfi_b32 v9, v9, 0, 0
	s_delay_alu instid0(VALU_DEP_4) | instskip(NEXT) | instid1(VALU_DEP_1)
	v_bfi_b32 v8, v8, 0, v54
	v_cmp_eq_u64_e64 s10, v[8:9], v[18:19]
	v_mov_b64_e32 v[18:19], v[16:17]
	s_and_saveexec_b32 s42, s10
; %bb.5119:                             ;   in Loop: Header=BB6_4515 Depth=2
	v_bfe_u32 v54, v16, 20, 1
	s_delay_alu instid0(VALU_DEP_1) | instskip(NEXT) | instid1(VALU_DEP_1)
	v_add_nc_u64_e32 v[8:9], v[16:17], v[54:55]
	v_add_nc_u64_e32 v[18:19], -1, v[8:9]
; %bb.5120:                             ;   in Loop: Header=BB6_4515 Depth=2
	s_or_b32 exec_lo, exec_lo, s42
	v_add_nc_u32_e32 v1, 0xffffff81, v4
	v_lshrrev_b32_e32 v4, 23, v16
	s_mov_b32 s10, exec_lo
	s_delay_alu instid0(VALU_DEP_2) | instskip(NEXT) | instid1(VALU_DEP_1)
	v_cndmask_b32_e64 v1, v1, 0xffffff82, vcc_lo
	v_add3_u32 v4, v6, v1, v4
	v_and_b32_e32 v1, 0xfffff, v18
	s_delay_alu instid0(VALU_DEP_2) | instskip(NEXT) | instid1(VALU_DEP_2)
	v_add_nc_u32_e32 v6, 6, v4
	v_add_nc_u32_e32 v54, v1, v16
                                        ; implicit-def: $vgpr16_vgpr17
                                        ; implicit-def: $vgpr1
	s_delay_alu instid0(VALU_DEP_2)
	v_cmpx_ne_u32_e32 0, v6
	s_xor_b32 s10, exec_lo, s10
; %bb.5121:                             ;   in Loop: Header=BB6_4515 Depth=2
	s_delay_alu instid0(VALU_DEP_2) | instskip(SKIP_2) | instid1(VALU_DEP_2)
	v_cmp_lt_u64_e32 vcc_lo, 0xffffff, v[54:55]
	v_add_nc_u32_e32 v1, 7, v4
	v_cndmask_b32_e64 v4, 0, 1, vcc_lo
	v_cndmask_b32_e32 v1, v6, v1, vcc_lo
	s_delay_alu instid0(VALU_DEP_2)
	v_lshrrev_b64 v[16:17], v4, v[54:55]
; %bb.5122:                             ;   in Loop: Header=BB6_4515 Depth=2
	s_and_not1_saveexec_b32 s10, s10
; %bb.5123:                             ;   in Loop: Header=BB6_4515 Depth=2
	v_mov_b64_e32 v[16:17], v[54:55]
	v_bfe_u32 v1, v54, 23, 1
; %bb.5124:                             ;   in Loop: Header=BB6_4515 Depth=2
	s_or_b32 exec_lo, exec_lo, s10
	s_delay_alu instid0(VALU_DEP_2) | instskip(NEXT) | instid1(VALU_DEP_2)
	v_lshrrev_b64 v[6:7], 20, v[16:17]
	v_cmp_gt_i32_e32 vcc_lo, 16, v1
	v_cmp_ne_u32_e64 s10, 0, v1
                                        ; implicit-def: $vgpr29
	s_delay_alu instid0(VALU_DEP_3) | instskip(NEXT) | instid1(VALU_DEP_1)
	v_dual_cndmask_b32 v17, 0, v7 :: v_dual_cndmask_b32 v16, 7, v6
	v_cmp_ne_u64_e32 vcc_lo, 0, v[16:17]
	s_or_b32 s10, s10, vcc_lo
	s_delay_alu instid0(SALU_CYCLE_1) | instskip(NEXT) | instid1(SALU_CYCLE_1)
	s_and_saveexec_b32 s42, s10
	s_xor_b32 s10, exec_lo, s42
; %bb.5125:                             ;   in Loop: Header=BB6_4515 Depth=2
	v_min_i32_e32 v1, 15, v1
	s_delay_alu instid0(VALU_DEP_1) | instskip(NEXT) | instid1(VALU_DEP_1)
	v_lshl_or_b32 v0, v1, 3, v0
	v_and_or_b32 v29, v16, 7, v0
                                        ; implicit-def: $vgpr0
; %bb.5126:                             ;   in Loop: Header=BB6_4515 Depth=2
	s_and_not1_saveexec_b32 s10, s10
; %bb.5127:                             ;   in Loop: Header=BB6_4515 Depth=2
	v_mov_b32_e32 v29, v0
; %bb.5128:                             ;   in Loop: Header=BB6_4515 Depth=2
	s_or_b32 exec_lo, exec_lo, s10
.LBB6_5129:                             ;   in Loop: Header=BB6_4515 Depth=2
	s_delay_alu instid0(SALU_CYCLE_1)
	s_or_b32 exec_lo, exec_lo, s41
                                        ; implicit-def: $vgpr0
.LBB6_5130:                             ;   in Loop: Header=BB6_4515 Depth=2
	s_and_not1_saveexec_b32 s10, s40
; %bb.5131:                             ;   in Loop: Header=BB6_4515 Depth=2
	v_or_b32_e32 v29, 0x7e, v0
; %bb.5132:                             ;   in Loop: Header=BB6_4515 Depth=2
	s_or_b32 exec_lo, exec_lo, s10
                                        ; implicit-def: $vgpr0
.LBB6_5133:                             ;   in Loop: Header=BB6_4515 Depth=2
	s_and_not1_saveexec_b32 s10, s11
; %bb.5134:                             ;   in Loop: Header=BB6_4515 Depth=2
	v_or_b32_e32 v29, 0x7f, v0
; %bb.5135:                             ;   in Loop: Header=BB6_4515 Depth=2
	s_or_b32 exec_lo, exec_lo, s10
	flat_load_u8 v0, v[10:11] offset:704 th:TH_LOAD_NT
	v_mov_b32_e32 v1, 0
	s_mov_b32 s10, exec_lo
	s_wait_loadcnt_dscnt 0x0
	s_wait_xcnt 0x0
	v_cmpx_ne_u16_e32 0, v0
	s_cbranch_execz .LBB6_5143
; %bb.5136:                             ;   in Loop: Header=BB6_4515 Depth=2
	v_bfrev_b32_e32 v1, 1
	s_mov_b32 s11, exec_lo
	v_cmpx_ne_u16_e32 0x80, v0
	s_cbranch_execz .LBB6_5142
; %bb.5137:                             ;   in Loop: Header=BB6_4515 Depth=2
	v_and_b32_e32 v6, 0xffff, v0
	v_mov_b32_e32 v1, 0x7f800001
	s_mov_b32 s40, exec_lo
	s_delay_alu instid0(VALU_DEP_2) | instskip(NEXT) | instid1(VALU_DEP_1)
	v_and_b32_e32 v4, 0x7f, v6
	v_cmpx_ne_u32_e32 0x7f, v4
	s_cbranch_execz .LBB6_5141
; %bb.5138:                             ;   in Loop: Header=BB6_4515 Depth=2
	v_dual_lshrrev_b32 v1, 3, v4 :: v_dual_bitop2_b32 v54, 7, v6 bitop3:0x40
	s_mov_b32 s41, exec_lo
	s_delay_alu instid0(VALU_DEP_1)
	v_mov_b64_e32 v[16:17], v[54:55]
	v_cmpx_gt_u32_e32 8, v4
; %bb.5139:                             ;   in Loop: Header=BB6_4515 Depth=2
	v_clz_i32_u32_e32 v1, v54
	s_delay_alu instid0(VALU_DEP_1) | instskip(NEXT) | instid1(VALU_DEP_1)
	v_min_u32_e32 v1, 32, v1
	v_subrev_nc_u32_e32 v4, 28, v1
	s_delay_alu instid0(VALU_DEP_1) | instskip(NEXT) | instid1(VALU_DEP_1)
	v_lshlrev_b64_e32 v[6:7], v4, v[54:55]
	v_dual_sub_nc_u32 v1, 29, v1 :: v_dual_bitop2_b32 v16, 7, v6 bitop3:0x40
; %bb.5140:                             ;   in Loop: Header=BB6_4515 Depth=2
	s_or_b32 exec_lo, exec_lo, s41
	v_lshlrev_b32_e32 v0, 24, v0
	s_delay_alu instid0(VALU_DEP_2) | instskip(NEXT) | instid1(VALU_DEP_3)
	v_lshlrev_b32_e32 v4, 20, v16
	v_lshl_add_u32 v1, v1, 23, 0x3c000000
	s_delay_alu instid0(VALU_DEP_3) | instskip(NEXT) | instid1(VALU_DEP_1)
	v_and_b32_e32 v0, 0x80000000, v0
	v_or3_b32 v1, v4, v0, v1
.LBB6_5141:                             ;   in Loop: Header=BB6_4515 Depth=2
	s_or_b32 exec_lo, exec_lo, s40
.LBB6_5142:                             ;   in Loop: Header=BB6_4515 Depth=2
	s_delay_alu instid0(SALU_CYCLE_1)
	s_or_b32 exec_lo, exec_lo, s11
.LBB6_5143:                             ;   in Loop: Header=BB6_4515 Depth=2
	s_delay_alu instid0(SALU_CYCLE_1) | instskip(NEXT) | instid1(VALU_DEP_1)
	s_or_b32 exec_lo, exec_lo, s10
	v_mul_f32_e32 v1, s29, v1
                                        ; implicit-def: $vgpr28
	s_mov_b32 s10, exec_lo
	s_delay_alu instid0(VALU_DEP_1) | instskip(SKIP_1) | instid1(VALU_DEP_2)
	v_and_b32_e32 v54, 0x7f800000, v1
	v_lshrrev_b32_e32 v0, 24, v1
	v_cmpx_ne_u64_e32 0x7f800000, v[54:55]
	s_xor_b32 s11, exec_lo, s10
	s_cbranch_execz .LBB6_5161
; %bb.5144:                             ;   in Loop: Header=BB6_4515 Depth=2
	v_and_b32_e32 v54, 0x7fffffff, v1
	v_and_b32_e32 v0, 0x80, v0
                                        ; implicit-def: $vgpr28
	s_mov_b32 s10, exec_lo
	s_delay_alu instid0(VALU_DEP_2)
	v_cmpx_gt_u64_e32 0x43e00001, v[54:55]
	s_xor_b32 s40, exec_lo, s10
	s_cbranch_execz .LBB6_5158
; %bb.5145:                             ;   in Loop: Header=BB6_4515 Depth=2
	v_mov_b32_e32 v28, 0
	s_mov_b32 s41, exec_lo
	v_cmpx_ne_u32_e32 0, v1
	s_cbranch_execz .LBB6_5157
; %bb.5146:                             ;   in Loop: Header=BB6_4515 Depth=2
	v_bfe_u32 v4, v1, 23, 8
	v_and_b32_e32 v1, 0x7fffff, v1
	s_delay_alu instid0(VALU_DEP_2) | instskip(SKIP_1) | instid1(VALU_DEP_3)
	v_sub_nc_u32_e32 v6, 0x79, v4
	v_cmp_gt_u32_e32 vcc_lo, 0x7a, v4
	v_or_b32_e32 v16, 0x800000, v1
	s_delay_alu instid0(VALU_DEP_3) | instskip(SKIP_1) | instid1(VALU_DEP_3)
	v_cndmask_b32_e32 v6, 0, v6, vcc_lo
	v_cmp_eq_u32_e32 vcc_lo, 0, v4
	v_cndmask_b32_e32 v54, v16, v1, vcc_lo
	s_delay_alu instid0(VALU_DEP_3) | instskip(NEXT) | instid1(VALU_DEP_1)
	v_cndmask_b32_e64 v6, v6, 0x78, vcc_lo
	v_add_nc_u32_e32 v7, 20, v6
	s_delay_alu instid0(VALU_DEP_3) | instskip(NEXT) | instid1(VALU_DEP_2)
	v_lshrrev_b64 v[16:17], v6, v[54:55]
	v_lshlrev_b64_e64 v[8:9], v7, -1
	v_add_nc_u32_e32 v7, 19, v6
	s_delay_alu instid0(VALU_DEP_1) | instskip(NEXT) | instid1(VALU_DEP_3)
	v_lshlrev_b64_e64 v[18:19], v7, 1
	v_bfi_b32 v9, v9, 0, 0
	s_delay_alu instid0(VALU_DEP_4) | instskip(NEXT) | instid1(VALU_DEP_1)
	v_bfi_b32 v8, v8, 0, v54
	v_cmp_eq_u64_e64 s10, v[8:9], v[18:19]
	v_mov_b64_e32 v[18:19], v[16:17]
	s_and_saveexec_b32 s42, s10
; %bb.5147:                             ;   in Loop: Header=BB6_4515 Depth=2
	v_bfe_u32 v54, v16, 20, 1
	s_delay_alu instid0(VALU_DEP_1) | instskip(NEXT) | instid1(VALU_DEP_1)
	v_add_nc_u64_e32 v[8:9], v[16:17], v[54:55]
	v_add_nc_u64_e32 v[18:19], -1, v[8:9]
; %bb.5148:                             ;   in Loop: Header=BB6_4515 Depth=2
	s_or_b32 exec_lo, exec_lo, s42
	v_add_nc_u32_e32 v1, 0xffffff81, v4
	v_lshrrev_b32_e32 v4, 23, v16
	s_mov_b32 s10, exec_lo
	s_delay_alu instid0(VALU_DEP_2) | instskip(NEXT) | instid1(VALU_DEP_1)
	v_cndmask_b32_e64 v1, v1, 0xffffff82, vcc_lo
	v_add3_u32 v4, v6, v1, v4
	v_and_b32_e32 v1, 0xfffff, v18
	s_delay_alu instid0(VALU_DEP_2) | instskip(NEXT) | instid1(VALU_DEP_2)
	v_add_nc_u32_e32 v6, 6, v4
	v_add_nc_u32_e32 v54, v1, v16
                                        ; implicit-def: $vgpr16_vgpr17
                                        ; implicit-def: $vgpr1
	s_delay_alu instid0(VALU_DEP_2)
	v_cmpx_ne_u32_e32 0, v6
	s_xor_b32 s10, exec_lo, s10
; %bb.5149:                             ;   in Loop: Header=BB6_4515 Depth=2
	s_delay_alu instid0(VALU_DEP_2) | instskip(SKIP_2) | instid1(VALU_DEP_2)
	v_cmp_lt_u64_e32 vcc_lo, 0xffffff, v[54:55]
	v_add_nc_u32_e32 v1, 7, v4
	v_cndmask_b32_e64 v4, 0, 1, vcc_lo
	v_cndmask_b32_e32 v1, v6, v1, vcc_lo
	s_delay_alu instid0(VALU_DEP_2)
	v_lshrrev_b64 v[16:17], v4, v[54:55]
; %bb.5150:                             ;   in Loop: Header=BB6_4515 Depth=2
	s_and_not1_saveexec_b32 s10, s10
; %bb.5151:                             ;   in Loop: Header=BB6_4515 Depth=2
	v_mov_b64_e32 v[16:17], v[54:55]
	v_bfe_u32 v1, v54, 23, 1
; %bb.5152:                             ;   in Loop: Header=BB6_4515 Depth=2
	s_or_b32 exec_lo, exec_lo, s10
	s_delay_alu instid0(VALU_DEP_2) | instskip(NEXT) | instid1(VALU_DEP_2)
	v_lshrrev_b64 v[6:7], 20, v[16:17]
	v_cmp_gt_i32_e32 vcc_lo, 16, v1
	v_cmp_ne_u32_e64 s10, 0, v1
                                        ; implicit-def: $vgpr28
	s_delay_alu instid0(VALU_DEP_3) | instskip(NEXT) | instid1(VALU_DEP_1)
	v_dual_cndmask_b32 v17, 0, v7 :: v_dual_cndmask_b32 v16, 7, v6
	v_cmp_ne_u64_e32 vcc_lo, 0, v[16:17]
	s_or_b32 s10, s10, vcc_lo
	s_delay_alu instid0(SALU_CYCLE_1) | instskip(NEXT) | instid1(SALU_CYCLE_1)
	s_and_saveexec_b32 s42, s10
	s_xor_b32 s10, exec_lo, s42
; %bb.5153:                             ;   in Loop: Header=BB6_4515 Depth=2
	v_min_i32_e32 v1, 15, v1
	s_delay_alu instid0(VALU_DEP_1) | instskip(NEXT) | instid1(VALU_DEP_1)
	v_lshl_or_b32 v0, v1, 3, v0
	v_and_or_b32 v28, v16, 7, v0
                                        ; implicit-def: $vgpr0
; %bb.5154:                             ;   in Loop: Header=BB6_4515 Depth=2
	s_and_not1_saveexec_b32 s10, s10
; %bb.5155:                             ;   in Loop: Header=BB6_4515 Depth=2
	v_mov_b32_e32 v28, v0
; %bb.5156:                             ;   in Loop: Header=BB6_4515 Depth=2
	s_or_b32 exec_lo, exec_lo, s10
.LBB6_5157:                             ;   in Loop: Header=BB6_4515 Depth=2
	s_delay_alu instid0(SALU_CYCLE_1)
	s_or_b32 exec_lo, exec_lo, s41
                                        ; implicit-def: $vgpr0
.LBB6_5158:                             ;   in Loop: Header=BB6_4515 Depth=2
	s_and_not1_saveexec_b32 s10, s40
; %bb.5159:                             ;   in Loop: Header=BB6_4515 Depth=2
	v_or_b32_e32 v28, 0x7e, v0
; %bb.5160:                             ;   in Loop: Header=BB6_4515 Depth=2
	s_or_b32 exec_lo, exec_lo, s10
                                        ; implicit-def: $vgpr0
.LBB6_5161:                             ;   in Loop: Header=BB6_4515 Depth=2
	s_and_not1_saveexec_b32 s10, s11
; %bb.5162:                             ;   in Loop: Header=BB6_4515 Depth=2
	v_or_b32_e32 v28, 0x7f, v0
; %bb.5163:                             ;   in Loop: Header=BB6_4515 Depth=2
	s_or_b32 exec_lo, exec_lo, s10
	flat_load_u8 v0, v[10:11] offset:736 th:TH_LOAD_NT
	v_mov_b32_e32 v1, 0
	s_mov_b32 s10, exec_lo
	s_wait_loadcnt_dscnt 0x0
	s_wait_xcnt 0x0
	v_cmpx_ne_u16_e32 0, v0
	s_cbranch_execz .LBB6_5171
; %bb.5164:                             ;   in Loop: Header=BB6_4515 Depth=2
	v_bfrev_b32_e32 v1, 1
	s_mov_b32 s11, exec_lo
	v_cmpx_ne_u16_e32 0x80, v0
	s_cbranch_execz .LBB6_5170
; %bb.5165:                             ;   in Loop: Header=BB6_4515 Depth=2
	v_and_b32_e32 v6, 0xffff, v0
	v_mov_b32_e32 v1, 0x7f800001
	s_mov_b32 s40, exec_lo
	s_delay_alu instid0(VALU_DEP_2) | instskip(NEXT) | instid1(VALU_DEP_1)
	v_and_b32_e32 v4, 0x7f, v6
	v_cmpx_ne_u32_e32 0x7f, v4
	s_cbranch_execz .LBB6_5169
; %bb.5166:                             ;   in Loop: Header=BB6_4515 Depth=2
	v_dual_lshrrev_b32 v1, 3, v4 :: v_dual_bitop2_b32 v54, 7, v6 bitop3:0x40
	s_mov_b32 s41, exec_lo
	s_delay_alu instid0(VALU_DEP_1)
	v_mov_b64_e32 v[16:17], v[54:55]
	v_cmpx_gt_u32_e32 8, v4
; %bb.5167:                             ;   in Loop: Header=BB6_4515 Depth=2
	v_clz_i32_u32_e32 v1, v54
	s_delay_alu instid0(VALU_DEP_1) | instskip(NEXT) | instid1(VALU_DEP_1)
	v_min_u32_e32 v1, 32, v1
	v_subrev_nc_u32_e32 v4, 28, v1
	s_delay_alu instid0(VALU_DEP_1) | instskip(NEXT) | instid1(VALU_DEP_1)
	v_lshlrev_b64_e32 v[6:7], v4, v[54:55]
	v_dual_sub_nc_u32 v1, 29, v1 :: v_dual_bitop2_b32 v16, 7, v6 bitop3:0x40
; %bb.5168:                             ;   in Loop: Header=BB6_4515 Depth=2
	s_or_b32 exec_lo, exec_lo, s41
	v_lshlrev_b32_e32 v0, 24, v0
	s_delay_alu instid0(VALU_DEP_2) | instskip(NEXT) | instid1(VALU_DEP_3)
	v_lshlrev_b32_e32 v4, 20, v16
	v_lshl_add_u32 v1, v1, 23, 0x3c000000
	s_delay_alu instid0(VALU_DEP_3) | instskip(NEXT) | instid1(VALU_DEP_1)
	v_and_b32_e32 v0, 0x80000000, v0
	v_or3_b32 v1, v4, v0, v1
.LBB6_5169:                             ;   in Loop: Header=BB6_4515 Depth=2
	s_or_b32 exec_lo, exec_lo, s40
.LBB6_5170:                             ;   in Loop: Header=BB6_4515 Depth=2
	s_delay_alu instid0(SALU_CYCLE_1)
	s_or_b32 exec_lo, exec_lo, s11
.LBB6_5171:                             ;   in Loop: Header=BB6_4515 Depth=2
	s_delay_alu instid0(SALU_CYCLE_1) | instskip(NEXT) | instid1(VALU_DEP_1)
	s_or_b32 exec_lo, exec_lo, s10
	v_mul_f32_e32 v1, s29, v1
                                        ; implicit-def: $vgpr27
	s_mov_b32 s10, exec_lo
	s_delay_alu instid0(VALU_DEP_1) | instskip(SKIP_1) | instid1(VALU_DEP_2)
	v_and_b32_e32 v54, 0x7f800000, v1
	v_lshrrev_b32_e32 v0, 24, v1
	v_cmpx_ne_u64_e32 0x7f800000, v[54:55]
	s_xor_b32 s11, exec_lo, s10
	s_cbranch_execz .LBB6_5189
; %bb.5172:                             ;   in Loop: Header=BB6_4515 Depth=2
	v_and_b32_e32 v54, 0x7fffffff, v1
	v_and_b32_e32 v0, 0x80, v0
                                        ; implicit-def: $vgpr27
	s_mov_b32 s10, exec_lo
	s_delay_alu instid0(VALU_DEP_2)
	v_cmpx_gt_u64_e32 0x43e00001, v[54:55]
	s_xor_b32 s40, exec_lo, s10
	s_cbranch_execz .LBB6_5186
; %bb.5173:                             ;   in Loop: Header=BB6_4515 Depth=2
	v_mov_b32_e32 v27, 0
	s_mov_b32 s41, exec_lo
	v_cmpx_ne_u32_e32 0, v1
	s_cbranch_execz .LBB6_5185
; %bb.5174:                             ;   in Loop: Header=BB6_4515 Depth=2
	v_bfe_u32 v4, v1, 23, 8
	v_and_b32_e32 v1, 0x7fffff, v1
	s_delay_alu instid0(VALU_DEP_2) | instskip(SKIP_1) | instid1(VALU_DEP_3)
	v_sub_nc_u32_e32 v6, 0x79, v4
	v_cmp_gt_u32_e32 vcc_lo, 0x7a, v4
	v_or_b32_e32 v16, 0x800000, v1
	s_delay_alu instid0(VALU_DEP_3) | instskip(SKIP_1) | instid1(VALU_DEP_3)
	v_cndmask_b32_e32 v6, 0, v6, vcc_lo
	v_cmp_eq_u32_e32 vcc_lo, 0, v4
	v_cndmask_b32_e32 v54, v16, v1, vcc_lo
	s_delay_alu instid0(VALU_DEP_3) | instskip(NEXT) | instid1(VALU_DEP_1)
	v_cndmask_b32_e64 v6, v6, 0x78, vcc_lo
	v_add_nc_u32_e32 v7, 20, v6
	s_delay_alu instid0(VALU_DEP_3) | instskip(NEXT) | instid1(VALU_DEP_2)
	v_lshrrev_b64 v[16:17], v6, v[54:55]
	v_lshlrev_b64_e64 v[8:9], v7, -1
	v_add_nc_u32_e32 v7, 19, v6
	s_delay_alu instid0(VALU_DEP_1) | instskip(NEXT) | instid1(VALU_DEP_3)
	v_lshlrev_b64_e64 v[18:19], v7, 1
	v_bfi_b32 v9, v9, 0, 0
	s_delay_alu instid0(VALU_DEP_4) | instskip(NEXT) | instid1(VALU_DEP_1)
	v_bfi_b32 v8, v8, 0, v54
	v_cmp_eq_u64_e64 s10, v[8:9], v[18:19]
	v_mov_b64_e32 v[18:19], v[16:17]
	s_and_saveexec_b32 s42, s10
; %bb.5175:                             ;   in Loop: Header=BB6_4515 Depth=2
	v_bfe_u32 v54, v16, 20, 1
	s_delay_alu instid0(VALU_DEP_1) | instskip(NEXT) | instid1(VALU_DEP_1)
	v_add_nc_u64_e32 v[8:9], v[16:17], v[54:55]
	v_add_nc_u64_e32 v[18:19], -1, v[8:9]
; %bb.5176:                             ;   in Loop: Header=BB6_4515 Depth=2
	s_or_b32 exec_lo, exec_lo, s42
	v_add_nc_u32_e32 v1, 0xffffff81, v4
	v_lshrrev_b32_e32 v4, 23, v16
	s_mov_b32 s10, exec_lo
	s_delay_alu instid0(VALU_DEP_2) | instskip(NEXT) | instid1(VALU_DEP_1)
	v_cndmask_b32_e64 v1, v1, 0xffffff82, vcc_lo
	v_add3_u32 v4, v6, v1, v4
	v_and_b32_e32 v1, 0xfffff, v18
	s_delay_alu instid0(VALU_DEP_2) | instskip(NEXT) | instid1(VALU_DEP_2)
	v_add_nc_u32_e32 v6, 6, v4
	v_add_nc_u32_e32 v54, v1, v16
                                        ; implicit-def: $vgpr16_vgpr17
                                        ; implicit-def: $vgpr1
	s_delay_alu instid0(VALU_DEP_2)
	v_cmpx_ne_u32_e32 0, v6
	s_xor_b32 s10, exec_lo, s10
; %bb.5177:                             ;   in Loop: Header=BB6_4515 Depth=2
	s_delay_alu instid0(VALU_DEP_2) | instskip(SKIP_2) | instid1(VALU_DEP_2)
	v_cmp_lt_u64_e32 vcc_lo, 0xffffff, v[54:55]
	v_add_nc_u32_e32 v1, 7, v4
	v_cndmask_b32_e64 v4, 0, 1, vcc_lo
	v_cndmask_b32_e32 v1, v6, v1, vcc_lo
	s_delay_alu instid0(VALU_DEP_2)
	v_lshrrev_b64 v[16:17], v4, v[54:55]
; %bb.5178:                             ;   in Loop: Header=BB6_4515 Depth=2
	s_and_not1_saveexec_b32 s10, s10
; %bb.5179:                             ;   in Loop: Header=BB6_4515 Depth=2
	v_mov_b64_e32 v[16:17], v[54:55]
	v_bfe_u32 v1, v54, 23, 1
; %bb.5180:                             ;   in Loop: Header=BB6_4515 Depth=2
	s_or_b32 exec_lo, exec_lo, s10
	s_delay_alu instid0(VALU_DEP_2) | instskip(NEXT) | instid1(VALU_DEP_2)
	v_lshrrev_b64 v[6:7], 20, v[16:17]
	v_cmp_gt_i32_e32 vcc_lo, 16, v1
	v_cmp_ne_u32_e64 s10, 0, v1
                                        ; implicit-def: $vgpr27
	s_delay_alu instid0(VALU_DEP_3) | instskip(NEXT) | instid1(VALU_DEP_1)
	v_dual_cndmask_b32 v17, 0, v7 :: v_dual_cndmask_b32 v16, 7, v6
	v_cmp_ne_u64_e32 vcc_lo, 0, v[16:17]
	s_or_b32 s10, s10, vcc_lo
	s_delay_alu instid0(SALU_CYCLE_1) | instskip(NEXT) | instid1(SALU_CYCLE_1)
	s_and_saveexec_b32 s42, s10
	s_xor_b32 s10, exec_lo, s42
; %bb.5181:                             ;   in Loop: Header=BB6_4515 Depth=2
	v_min_i32_e32 v1, 15, v1
	s_delay_alu instid0(VALU_DEP_1) | instskip(NEXT) | instid1(VALU_DEP_1)
	v_lshl_or_b32 v0, v1, 3, v0
	v_and_or_b32 v27, v16, 7, v0
                                        ; implicit-def: $vgpr0
; %bb.5182:                             ;   in Loop: Header=BB6_4515 Depth=2
	s_and_not1_saveexec_b32 s10, s10
; %bb.5183:                             ;   in Loop: Header=BB6_4515 Depth=2
	v_mov_b32_e32 v27, v0
; %bb.5184:                             ;   in Loop: Header=BB6_4515 Depth=2
	s_or_b32 exec_lo, exec_lo, s10
.LBB6_5185:                             ;   in Loop: Header=BB6_4515 Depth=2
	s_delay_alu instid0(SALU_CYCLE_1)
	s_or_b32 exec_lo, exec_lo, s41
                                        ; implicit-def: $vgpr0
.LBB6_5186:                             ;   in Loop: Header=BB6_4515 Depth=2
	s_and_not1_saveexec_b32 s10, s40
; %bb.5187:                             ;   in Loop: Header=BB6_4515 Depth=2
	v_or_b32_e32 v27, 0x7e, v0
; %bb.5188:                             ;   in Loop: Header=BB6_4515 Depth=2
	s_or_b32 exec_lo, exec_lo, s10
                                        ; implicit-def: $vgpr0
.LBB6_5189:                             ;   in Loop: Header=BB6_4515 Depth=2
	s_and_not1_saveexec_b32 s10, s11
; %bb.5190:                             ;   in Loop: Header=BB6_4515 Depth=2
	v_or_b32_e32 v27, 0x7f, v0
; %bb.5191:                             ;   in Loop: Header=BB6_4515 Depth=2
	s_or_b32 exec_lo, exec_lo, s10
	flat_load_u8 v0, v[10:11] offset:768 th:TH_LOAD_NT
	v_mov_b32_e32 v1, 0
	s_mov_b32 s10, exec_lo
	s_wait_loadcnt_dscnt 0x0
	s_wait_xcnt 0x0
	v_cmpx_ne_u16_e32 0, v0
	s_cbranch_execz .LBB6_5199
; %bb.5192:                             ;   in Loop: Header=BB6_4515 Depth=2
	v_bfrev_b32_e32 v1, 1
	s_mov_b32 s11, exec_lo
	v_cmpx_ne_u16_e32 0x80, v0
	s_cbranch_execz .LBB6_5198
; %bb.5193:                             ;   in Loop: Header=BB6_4515 Depth=2
	v_and_b32_e32 v6, 0xffff, v0
	v_mov_b32_e32 v1, 0x7f800001
	s_mov_b32 s40, exec_lo
	s_delay_alu instid0(VALU_DEP_2) | instskip(NEXT) | instid1(VALU_DEP_1)
	v_and_b32_e32 v4, 0x7f, v6
	v_cmpx_ne_u32_e32 0x7f, v4
	s_cbranch_execz .LBB6_5197
; %bb.5194:                             ;   in Loop: Header=BB6_4515 Depth=2
	v_dual_lshrrev_b32 v1, 3, v4 :: v_dual_bitop2_b32 v54, 7, v6 bitop3:0x40
	s_mov_b32 s41, exec_lo
	s_delay_alu instid0(VALU_DEP_1)
	v_mov_b64_e32 v[16:17], v[54:55]
	v_cmpx_gt_u32_e32 8, v4
; %bb.5195:                             ;   in Loop: Header=BB6_4515 Depth=2
	v_clz_i32_u32_e32 v1, v54
	s_delay_alu instid0(VALU_DEP_1) | instskip(NEXT) | instid1(VALU_DEP_1)
	v_min_u32_e32 v1, 32, v1
	v_subrev_nc_u32_e32 v4, 28, v1
	s_delay_alu instid0(VALU_DEP_1) | instskip(NEXT) | instid1(VALU_DEP_1)
	v_lshlrev_b64_e32 v[6:7], v4, v[54:55]
	v_dual_sub_nc_u32 v1, 29, v1 :: v_dual_bitop2_b32 v16, 7, v6 bitop3:0x40
; %bb.5196:                             ;   in Loop: Header=BB6_4515 Depth=2
	s_or_b32 exec_lo, exec_lo, s41
	v_lshlrev_b32_e32 v0, 24, v0
	s_delay_alu instid0(VALU_DEP_2) | instskip(NEXT) | instid1(VALU_DEP_3)
	v_lshlrev_b32_e32 v4, 20, v16
	v_lshl_add_u32 v1, v1, 23, 0x3c000000
	s_delay_alu instid0(VALU_DEP_3) | instskip(NEXT) | instid1(VALU_DEP_1)
	v_and_b32_e32 v0, 0x80000000, v0
	v_or3_b32 v1, v4, v0, v1
.LBB6_5197:                             ;   in Loop: Header=BB6_4515 Depth=2
	s_or_b32 exec_lo, exec_lo, s40
.LBB6_5198:                             ;   in Loop: Header=BB6_4515 Depth=2
	s_delay_alu instid0(SALU_CYCLE_1)
	s_or_b32 exec_lo, exec_lo, s11
.LBB6_5199:                             ;   in Loop: Header=BB6_4515 Depth=2
	s_delay_alu instid0(SALU_CYCLE_1) | instskip(NEXT) | instid1(VALU_DEP_1)
	s_or_b32 exec_lo, exec_lo, s10
	v_mul_f32_e32 v1, s29, v1
                                        ; implicit-def: $vgpr25
	s_mov_b32 s10, exec_lo
	s_delay_alu instid0(VALU_DEP_1) | instskip(SKIP_1) | instid1(VALU_DEP_2)
	v_and_b32_e32 v54, 0x7f800000, v1
	v_lshrrev_b32_e32 v0, 24, v1
	v_cmpx_ne_u64_e32 0x7f800000, v[54:55]
	s_xor_b32 s11, exec_lo, s10
	s_cbranch_execz .LBB6_5217
; %bb.5200:                             ;   in Loop: Header=BB6_4515 Depth=2
	v_and_b32_e32 v54, 0x7fffffff, v1
	v_and_b32_e32 v0, 0x80, v0
                                        ; implicit-def: $vgpr25
	s_mov_b32 s10, exec_lo
	s_delay_alu instid0(VALU_DEP_2)
	v_cmpx_gt_u64_e32 0x43e00001, v[54:55]
	s_xor_b32 s40, exec_lo, s10
	s_cbranch_execz .LBB6_5214
; %bb.5201:                             ;   in Loop: Header=BB6_4515 Depth=2
	v_mov_b32_e32 v25, 0
	s_mov_b32 s41, exec_lo
	v_cmpx_ne_u32_e32 0, v1
	s_cbranch_execz .LBB6_5213
; %bb.5202:                             ;   in Loop: Header=BB6_4515 Depth=2
	v_bfe_u32 v4, v1, 23, 8
	v_and_b32_e32 v1, 0x7fffff, v1
	s_delay_alu instid0(VALU_DEP_2) | instskip(SKIP_1) | instid1(VALU_DEP_3)
	v_sub_nc_u32_e32 v6, 0x79, v4
	v_cmp_gt_u32_e32 vcc_lo, 0x7a, v4
	v_or_b32_e32 v16, 0x800000, v1
	s_delay_alu instid0(VALU_DEP_3) | instskip(SKIP_1) | instid1(VALU_DEP_3)
	v_cndmask_b32_e32 v6, 0, v6, vcc_lo
	v_cmp_eq_u32_e32 vcc_lo, 0, v4
	v_cndmask_b32_e32 v54, v16, v1, vcc_lo
	s_delay_alu instid0(VALU_DEP_3) | instskip(NEXT) | instid1(VALU_DEP_1)
	v_cndmask_b32_e64 v6, v6, 0x78, vcc_lo
	v_add_nc_u32_e32 v7, 20, v6
	s_delay_alu instid0(VALU_DEP_3) | instskip(NEXT) | instid1(VALU_DEP_2)
	v_lshrrev_b64 v[16:17], v6, v[54:55]
	v_lshlrev_b64_e64 v[8:9], v7, -1
	v_add_nc_u32_e32 v7, 19, v6
	s_delay_alu instid0(VALU_DEP_1) | instskip(NEXT) | instid1(VALU_DEP_3)
	v_lshlrev_b64_e64 v[18:19], v7, 1
	v_bfi_b32 v9, v9, 0, 0
	s_delay_alu instid0(VALU_DEP_4) | instskip(NEXT) | instid1(VALU_DEP_1)
	v_bfi_b32 v8, v8, 0, v54
	v_cmp_eq_u64_e64 s10, v[8:9], v[18:19]
	v_mov_b64_e32 v[18:19], v[16:17]
	s_and_saveexec_b32 s42, s10
; %bb.5203:                             ;   in Loop: Header=BB6_4515 Depth=2
	v_bfe_u32 v54, v16, 20, 1
	s_delay_alu instid0(VALU_DEP_1) | instskip(NEXT) | instid1(VALU_DEP_1)
	v_add_nc_u64_e32 v[8:9], v[16:17], v[54:55]
	v_add_nc_u64_e32 v[18:19], -1, v[8:9]
; %bb.5204:                             ;   in Loop: Header=BB6_4515 Depth=2
	s_or_b32 exec_lo, exec_lo, s42
	v_add_nc_u32_e32 v1, 0xffffff81, v4
	v_lshrrev_b32_e32 v4, 23, v16
	s_mov_b32 s10, exec_lo
	s_delay_alu instid0(VALU_DEP_2) | instskip(NEXT) | instid1(VALU_DEP_1)
	v_cndmask_b32_e64 v1, v1, 0xffffff82, vcc_lo
	v_add3_u32 v4, v6, v1, v4
	v_and_b32_e32 v1, 0xfffff, v18
	s_delay_alu instid0(VALU_DEP_2) | instskip(NEXT) | instid1(VALU_DEP_2)
	v_add_nc_u32_e32 v6, 6, v4
	v_add_nc_u32_e32 v54, v1, v16
                                        ; implicit-def: $vgpr16_vgpr17
                                        ; implicit-def: $vgpr1
	s_delay_alu instid0(VALU_DEP_2)
	v_cmpx_ne_u32_e32 0, v6
	s_xor_b32 s10, exec_lo, s10
; %bb.5205:                             ;   in Loop: Header=BB6_4515 Depth=2
	s_delay_alu instid0(VALU_DEP_2) | instskip(SKIP_2) | instid1(VALU_DEP_2)
	v_cmp_lt_u64_e32 vcc_lo, 0xffffff, v[54:55]
	v_add_nc_u32_e32 v1, 7, v4
	v_cndmask_b32_e64 v4, 0, 1, vcc_lo
	v_cndmask_b32_e32 v1, v6, v1, vcc_lo
	s_delay_alu instid0(VALU_DEP_2)
	v_lshrrev_b64 v[16:17], v4, v[54:55]
; %bb.5206:                             ;   in Loop: Header=BB6_4515 Depth=2
	s_and_not1_saveexec_b32 s10, s10
; %bb.5207:                             ;   in Loop: Header=BB6_4515 Depth=2
	v_mov_b64_e32 v[16:17], v[54:55]
	v_bfe_u32 v1, v54, 23, 1
; %bb.5208:                             ;   in Loop: Header=BB6_4515 Depth=2
	s_or_b32 exec_lo, exec_lo, s10
	s_delay_alu instid0(VALU_DEP_2) | instskip(NEXT) | instid1(VALU_DEP_2)
	v_lshrrev_b64 v[6:7], 20, v[16:17]
	v_cmp_gt_i32_e32 vcc_lo, 16, v1
	v_cmp_ne_u32_e64 s10, 0, v1
                                        ; implicit-def: $vgpr25
	s_delay_alu instid0(VALU_DEP_3) | instskip(NEXT) | instid1(VALU_DEP_1)
	v_dual_cndmask_b32 v17, 0, v7 :: v_dual_cndmask_b32 v16, 7, v6
	v_cmp_ne_u64_e32 vcc_lo, 0, v[16:17]
	s_or_b32 s10, s10, vcc_lo
	s_delay_alu instid0(SALU_CYCLE_1) | instskip(NEXT) | instid1(SALU_CYCLE_1)
	s_and_saveexec_b32 s42, s10
	s_xor_b32 s10, exec_lo, s42
; %bb.5209:                             ;   in Loop: Header=BB6_4515 Depth=2
	v_min_i32_e32 v1, 15, v1
	s_delay_alu instid0(VALU_DEP_1) | instskip(NEXT) | instid1(VALU_DEP_1)
	v_lshl_or_b32 v0, v1, 3, v0
	v_and_or_b32 v25, v16, 7, v0
                                        ; implicit-def: $vgpr0
; %bb.5210:                             ;   in Loop: Header=BB6_4515 Depth=2
	s_and_not1_saveexec_b32 s10, s10
; %bb.5211:                             ;   in Loop: Header=BB6_4515 Depth=2
	v_mov_b32_e32 v25, v0
; %bb.5212:                             ;   in Loop: Header=BB6_4515 Depth=2
	s_or_b32 exec_lo, exec_lo, s10
.LBB6_5213:                             ;   in Loop: Header=BB6_4515 Depth=2
	s_delay_alu instid0(SALU_CYCLE_1)
	s_or_b32 exec_lo, exec_lo, s41
                                        ; implicit-def: $vgpr0
.LBB6_5214:                             ;   in Loop: Header=BB6_4515 Depth=2
	s_and_not1_saveexec_b32 s10, s40
; %bb.5215:                             ;   in Loop: Header=BB6_4515 Depth=2
	v_or_b32_e32 v25, 0x7e, v0
; %bb.5216:                             ;   in Loop: Header=BB6_4515 Depth=2
	s_or_b32 exec_lo, exec_lo, s10
                                        ; implicit-def: $vgpr0
.LBB6_5217:                             ;   in Loop: Header=BB6_4515 Depth=2
	s_and_not1_saveexec_b32 s10, s11
; %bb.5218:                             ;   in Loop: Header=BB6_4515 Depth=2
	v_or_b32_e32 v25, 0x7f, v0
; %bb.5219:                             ;   in Loop: Header=BB6_4515 Depth=2
	s_or_b32 exec_lo, exec_lo, s10
	flat_load_u8 v0, v[10:11] offset:800 th:TH_LOAD_NT
	v_mov_b32_e32 v1, 0
	s_mov_b32 s10, exec_lo
	s_wait_loadcnt_dscnt 0x0
	s_wait_xcnt 0x0
	v_cmpx_ne_u16_e32 0, v0
	s_cbranch_execz .LBB6_5227
; %bb.5220:                             ;   in Loop: Header=BB6_4515 Depth=2
	v_bfrev_b32_e32 v1, 1
	s_mov_b32 s11, exec_lo
	v_cmpx_ne_u16_e32 0x80, v0
	s_cbranch_execz .LBB6_5226
; %bb.5221:                             ;   in Loop: Header=BB6_4515 Depth=2
	v_and_b32_e32 v6, 0xffff, v0
	v_mov_b32_e32 v1, 0x7f800001
	s_mov_b32 s40, exec_lo
	s_delay_alu instid0(VALU_DEP_2) | instskip(NEXT) | instid1(VALU_DEP_1)
	v_and_b32_e32 v4, 0x7f, v6
	v_cmpx_ne_u32_e32 0x7f, v4
	s_cbranch_execz .LBB6_5225
; %bb.5222:                             ;   in Loop: Header=BB6_4515 Depth=2
	v_dual_lshrrev_b32 v1, 3, v4 :: v_dual_bitop2_b32 v54, 7, v6 bitop3:0x40
	s_mov_b32 s41, exec_lo
	s_delay_alu instid0(VALU_DEP_1)
	v_mov_b64_e32 v[16:17], v[54:55]
	v_cmpx_gt_u32_e32 8, v4
; %bb.5223:                             ;   in Loop: Header=BB6_4515 Depth=2
	v_clz_i32_u32_e32 v1, v54
	s_delay_alu instid0(VALU_DEP_1) | instskip(NEXT) | instid1(VALU_DEP_1)
	v_min_u32_e32 v1, 32, v1
	v_subrev_nc_u32_e32 v4, 28, v1
	s_delay_alu instid0(VALU_DEP_1) | instskip(NEXT) | instid1(VALU_DEP_1)
	v_lshlrev_b64_e32 v[6:7], v4, v[54:55]
	v_dual_sub_nc_u32 v1, 29, v1 :: v_dual_bitop2_b32 v16, 7, v6 bitop3:0x40
; %bb.5224:                             ;   in Loop: Header=BB6_4515 Depth=2
	s_or_b32 exec_lo, exec_lo, s41
	v_lshlrev_b32_e32 v0, 24, v0
	s_delay_alu instid0(VALU_DEP_2) | instskip(NEXT) | instid1(VALU_DEP_3)
	v_lshlrev_b32_e32 v4, 20, v16
	v_lshl_add_u32 v1, v1, 23, 0x3c000000
	s_delay_alu instid0(VALU_DEP_3) | instskip(NEXT) | instid1(VALU_DEP_1)
	v_and_b32_e32 v0, 0x80000000, v0
	v_or3_b32 v1, v4, v0, v1
.LBB6_5225:                             ;   in Loop: Header=BB6_4515 Depth=2
	s_or_b32 exec_lo, exec_lo, s40
.LBB6_5226:                             ;   in Loop: Header=BB6_4515 Depth=2
	s_delay_alu instid0(SALU_CYCLE_1)
	s_or_b32 exec_lo, exec_lo, s11
.LBB6_5227:                             ;   in Loop: Header=BB6_4515 Depth=2
	s_delay_alu instid0(SALU_CYCLE_1) | instskip(NEXT) | instid1(VALU_DEP_1)
	s_or_b32 exec_lo, exec_lo, s10
	v_mul_f32_e32 v1, s29, v1
                                        ; implicit-def: $vgpr24
	s_mov_b32 s10, exec_lo
	s_delay_alu instid0(VALU_DEP_1) | instskip(SKIP_1) | instid1(VALU_DEP_2)
	v_and_b32_e32 v54, 0x7f800000, v1
	v_lshrrev_b32_e32 v0, 24, v1
	v_cmpx_ne_u64_e32 0x7f800000, v[54:55]
	s_xor_b32 s11, exec_lo, s10
	s_cbranch_execz .LBB6_5245
; %bb.5228:                             ;   in Loop: Header=BB6_4515 Depth=2
	v_and_b32_e32 v54, 0x7fffffff, v1
	v_and_b32_e32 v0, 0x80, v0
                                        ; implicit-def: $vgpr24
	s_mov_b32 s10, exec_lo
	s_delay_alu instid0(VALU_DEP_2)
	v_cmpx_gt_u64_e32 0x43e00001, v[54:55]
	s_xor_b32 s40, exec_lo, s10
	s_cbranch_execz .LBB6_5242
; %bb.5229:                             ;   in Loop: Header=BB6_4515 Depth=2
	v_mov_b32_e32 v24, 0
	s_mov_b32 s41, exec_lo
	v_cmpx_ne_u32_e32 0, v1
	s_cbranch_execz .LBB6_5241
; %bb.5230:                             ;   in Loop: Header=BB6_4515 Depth=2
	v_bfe_u32 v4, v1, 23, 8
	v_and_b32_e32 v1, 0x7fffff, v1
	s_delay_alu instid0(VALU_DEP_2) | instskip(SKIP_1) | instid1(VALU_DEP_3)
	v_sub_nc_u32_e32 v6, 0x79, v4
	v_cmp_gt_u32_e32 vcc_lo, 0x7a, v4
	v_or_b32_e32 v16, 0x800000, v1
	s_delay_alu instid0(VALU_DEP_3) | instskip(SKIP_1) | instid1(VALU_DEP_3)
	v_cndmask_b32_e32 v6, 0, v6, vcc_lo
	v_cmp_eq_u32_e32 vcc_lo, 0, v4
	v_cndmask_b32_e32 v54, v16, v1, vcc_lo
	s_delay_alu instid0(VALU_DEP_3) | instskip(NEXT) | instid1(VALU_DEP_1)
	v_cndmask_b32_e64 v6, v6, 0x78, vcc_lo
	v_add_nc_u32_e32 v7, 20, v6
	s_delay_alu instid0(VALU_DEP_3) | instskip(NEXT) | instid1(VALU_DEP_2)
	v_lshrrev_b64 v[16:17], v6, v[54:55]
	v_lshlrev_b64_e64 v[8:9], v7, -1
	v_add_nc_u32_e32 v7, 19, v6
	s_delay_alu instid0(VALU_DEP_1) | instskip(NEXT) | instid1(VALU_DEP_3)
	v_lshlrev_b64_e64 v[18:19], v7, 1
	v_bfi_b32 v9, v9, 0, 0
	s_delay_alu instid0(VALU_DEP_4) | instskip(NEXT) | instid1(VALU_DEP_1)
	v_bfi_b32 v8, v8, 0, v54
	v_cmp_eq_u64_e64 s10, v[8:9], v[18:19]
	v_mov_b64_e32 v[18:19], v[16:17]
	s_and_saveexec_b32 s42, s10
; %bb.5231:                             ;   in Loop: Header=BB6_4515 Depth=2
	v_bfe_u32 v54, v16, 20, 1
	s_delay_alu instid0(VALU_DEP_1) | instskip(NEXT) | instid1(VALU_DEP_1)
	v_add_nc_u64_e32 v[8:9], v[16:17], v[54:55]
	v_add_nc_u64_e32 v[18:19], -1, v[8:9]
; %bb.5232:                             ;   in Loop: Header=BB6_4515 Depth=2
	s_or_b32 exec_lo, exec_lo, s42
	v_add_nc_u32_e32 v1, 0xffffff81, v4
	v_lshrrev_b32_e32 v4, 23, v16
	s_mov_b32 s10, exec_lo
	s_delay_alu instid0(VALU_DEP_2) | instskip(NEXT) | instid1(VALU_DEP_1)
	v_cndmask_b32_e64 v1, v1, 0xffffff82, vcc_lo
	v_add3_u32 v4, v6, v1, v4
	v_and_b32_e32 v1, 0xfffff, v18
	s_delay_alu instid0(VALU_DEP_2) | instskip(NEXT) | instid1(VALU_DEP_2)
	v_add_nc_u32_e32 v6, 6, v4
	v_add_nc_u32_e32 v54, v1, v16
                                        ; implicit-def: $vgpr16_vgpr17
                                        ; implicit-def: $vgpr1
	s_delay_alu instid0(VALU_DEP_2)
	v_cmpx_ne_u32_e32 0, v6
	s_xor_b32 s10, exec_lo, s10
; %bb.5233:                             ;   in Loop: Header=BB6_4515 Depth=2
	s_delay_alu instid0(VALU_DEP_2) | instskip(SKIP_2) | instid1(VALU_DEP_2)
	v_cmp_lt_u64_e32 vcc_lo, 0xffffff, v[54:55]
	v_add_nc_u32_e32 v1, 7, v4
	v_cndmask_b32_e64 v4, 0, 1, vcc_lo
	v_cndmask_b32_e32 v1, v6, v1, vcc_lo
	s_delay_alu instid0(VALU_DEP_2)
	v_lshrrev_b64 v[16:17], v4, v[54:55]
; %bb.5234:                             ;   in Loop: Header=BB6_4515 Depth=2
	s_and_not1_saveexec_b32 s10, s10
; %bb.5235:                             ;   in Loop: Header=BB6_4515 Depth=2
	v_mov_b64_e32 v[16:17], v[54:55]
	v_bfe_u32 v1, v54, 23, 1
; %bb.5236:                             ;   in Loop: Header=BB6_4515 Depth=2
	s_or_b32 exec_lo, exec_lo, s10
	s_delay_alu instid0(VALU_DEP_2) | instskip(NEXT) | instid1(VALU_DEP_2)
	v_lshrrev_b64 v[6:7], 20, v[16:17]
	v_cmp_gt_i32_e32 vcc_lo, 16, v1
	v_cmp_ne_u32_e64 s10, 0, v1
                                        ; implicit-def: $vgpr24
	s_delay_alu instid0(VALU_DEP_3) | instskip(NEXT) | instid1(VALU_DEP_1)
	v_dual_cndmask_b32 v17, 0, v7 :: v_dual_cndmask_b32 v16, 7, v6
	v_cmp_ne_u64_e32 vcc_lo, 0, v[16:17]
	s_or_b32 s10, s10, vcc_lo
	s_delay_alu instid0(SALU_CYCLE_1) | instskip(NEXT) | instid1(SALU_CYCLE_1)
	s_and_saveexec_b32 s42, s10
	s_xor_b32 s10, exec_lo, s42
; %bb.5237:                             ;   in Loop: Header=BB6_4515 Depth=2
	v_min_i32_e32 v1, 15, v1
	s_delay_alu instid0(VALU_DEP_1) | instskip(NEXT) | instid1(VALU_DEP_1)
	v_lshl_or_b32 v0, v1, 3, v0
	v_and_or_b32 v24, v16, 7, v0
                                        ; implicit-def: $vgpr0
; %bb.5238:                             ;   in Loop: Header=BB6_4515 Depth=2
	s_and_not1_saveexec_b32 s10, s10
; %bb.5239:                             ;   in Loop: Header=BB6_4515 Depth=2
	v_mov_b32_e32 v24, v0
; %bb.5240:                             ;   in Loop: Header=BB6_4515 Depth=2
	s_or_b32 exec_lo, exec_lo, s10
.LBB6_5241:                             ;   in Loop: Header=BB6_4515 Depth=2
	s_delay_alu instid0(SALU_CYCLE_1)
	s_or_b32 exec_lo, exec_lo, s41
                                        ; implicit-def: $vgpr0
.LBB6_5242:                             ;   in Loop: Header=BB6_4515 Depth=2
	s_and_not1_saveexec_b32 s10, s40
; %bb.5243:                             ;   in Loop: Header=BB6_4515 Depth=2
	v_or_b32_e32 v24, 0x7e, v0
; %bb.5244:                             ;   in Loop: Header=BB6_4515 Depth=2
	s_or_b32 exec_lo, exec_lo, s10
                                        ; implicit-def: $vgpr0
.LBB6_5245:                             ;   in Loop: Header=BB6_4515 Depth=2
	s_and_not1_saveexec_b32 s10, s11
; %bb.5246:                             ;   in Loop: Header=BB6_4515 Depth=2
	v_or_b32_e32 v24, 0x7f, v0
; %bb.5247:                             ;   in Loop: Header=BB6_4515 Depth=2
	s_or_b32 exec_lo, exec_lo, s10
	flat_load_u8 v0, v[10:11] offset:832 th:TH_LOAD_NT
	v_mov_b32_e32 v1, 0
	s_mov_b32 s10, exec_lo
	s_wait_loadcnt_dscnt 0x0
	s_wait_xcnt 0x0
	v_cmpx_ne_u16_e32 0, v0
	s_cbranch_execz .LBB6_5255
; %bb.5248:                             ;   in Loop: Header=BB6_4515 Depth=2
	v_bfrev_b32_e32 v1, 1
	s_mov_b32 s11, exec_lo
	v_cmpx_ne_u16_e32 0x80, v0
	s_cbranch_execz .LBB6_5254
; %bb.5249:                             ;   in Loop: Header=BB6_4515 Depth=2
	v_and_b32_e32 v6, 0xffff, v0
	v_mov_b32_e32 v1, 0x7f800001
	s_mov_b32 s40, exec_lo
	s_delay_alu instid0(VALU_DEP_2) | instskip(NEXT) | instid1(VALU_DEP_1)
	v_and_b32_e32 v4, 0x7f, v6
	v_cmpx_ne_u32_e32 0x7f, v4
	s_cbranch_execz .LBB6_5253
; %bb.5250:                             ;   in Loop: Header=BB6_4515 Depth=2
	v_dual_lshrrev_b32 v1, 3, v4 :: v_dual_bitop2_b32 v54, 7, v6 bitop3:0x40
	s_mov_b32 s41, exec_lo
	s_delay_alu instid0(VALU_DEP_1)
	v_mov_b64_e32 v[16:17], v[54:55]
	v_cmpx_gt_u32_e32 8, v4
; %bb.5251:                             ;   in Loop: Header=BB6_4515 Depth=2
	v_clz_i32_u32_e32 v1, v54
	s_delay_alu instid0(VALU_DEP_1) | instskip(NEXT) | instid1(VALU_DEP_1)
	v_min_u32_e32 v1, 32, v1
	v_subrev_nc_u32_e32 v4, 28, v1
	s_delay_alu instid0(VALU_DEP_1) | instskip(NEXT) | instid1(VALU_DEP_1)
	v_lshlrev_b64_e32 v[6:7], v4, v[54:55]
	v_dual_sub_nc_u32 v1, 29, v1 :: v_dual_bitop2_b32 v16, 7, v6 bitop3:0x40
; %bb.5252:                             ;   in Loop: Header=BB6_4515 Depth=2
	s_or_b32 exec_lo, exec_lo, s41
	v_lshlrev_b32_e32 v0, 24, v0
	s_delay_alu instid0(VALU_DEP_2) | instskip(NEXT) | instid1(VALU_DEP_3)
	v_lshlrev_b32_e32 v4, 20, v16
	v_lshl_add_u32 v1, v1, 23, 0x3c000000
	s_delay_alu instid0(VALU_DEP_3) | instskip(NEXT) | instid1(VALU_DEP_1)
	v_and_b32_e32 v0, 0x80000000, v0
	v_or3_b32 v1, v4, v0, v1
.LBB6_5253:                             ;   in Loop: Header=BB6_4515 Depth=2
	s_or_b32 exec_lo, exec_lo, s40
.LBB6_5254:                             ;   in Loop: Header=BB6_4515 Depth=2
	s_delay_alu instid0(SALU_CYCLE_1)
	s_or_b32 exec_lo, exec_lo, s11
.LBB6_5255:                             ;   in Loop: Header=BB6_4515 Depth=2
	s_delay_alu instid0(SALU_CYCLE_1) | instskip(NEXT) | instid1(VALU_DEP_1)
	s_or_b32 exec_lo, exec_lo, s10
	v_mul_f32_e32 v1, s29, v1
                                        ; implicit-def: $vgpr9
	s_mov_b32 s10, exec_lo
	s_delay_alu instid0(VALU_DEP_1) | instskip(SKIP_1) | instid1(VALU_DEP_2)
	v_and_b32_e32 v54, 0x7f800000, v1
	v_lshrrev_b32_e32 v0, 24, v1
	v_cmpx_ne_u64_e32 0x7f800000, v[54:55]
	s_xor_b32 s11, exec_lo, s10
	s_cbranch_execz .LBB6_5273
; %bb.5256:                             ;   in Loop: Header=BB6_4515 Depth=2
	v_and_b32_e32 v54, 0x7fffffff, v1
	v_and_b32_e32 v0, 0x80, v0
                                        ; implicit-def: $vgpr9
	s_mov_b32 s10, exec_lo
	s_delay_alu instid0(VALU_DEP_2)
	v_cmpx_gt_u64_e32 0x43e00001, v[54:55]
	s_xor_b32 s40, exec_lo, s10
	s_cbranch_execz .LBB6_5270
; %bb.5257:                             ;   in Loop: Header=BB6_4515 Depth=2
	v_mov_b32_e32 v9, 0
	s_mov_b32 s41, exec_lo
	v_cmpx_ne_u32_e32 0, v1
	s_cbranch_execz .LBB6_5269
; %bb.5258:                             ;   in Loop: Header=BB6_4515 Depth=2
	v_bfe_u32 v4, v1, 23, 8
	v_and_b32_e32 v1, 0x7fffff, v1
	s_delay_alu instid0(VALU_DEP_2) | instskip(SKIP_1) | instid1(VALU_DEP_3)
	v_sub_nc_u32_e32 v6, 0x79, v4
	v_cmp_gt_u32_e32 vcc_lo, 0x7a, v4
	v_or_b32_e32 v16, 0x800000, v1
	s_delay_alu instid0(VALU_DEP_3) | instskip(SKIP_1) | instid1(VALU_DEP_3)
	v_cndmask_b32_e32 v6, 0, v6, vcc_lo
	v_cmp_eq_u32_e32 vcc_lo, 0, v4
	v_cndmask_b32_e32 v54, v16, v1, vcc_lo
	s_delay_alu instid0(VALU_DEP_3) | instskip(NEXT) | instid1(VALU_DEP_1)
	v_cndmask_b32_e64 v6, v6, 0x78, vcc_lo
	v_add_nc_u32_e32 v7, 20, v6
	s_delay_alu instid0(VALU_DEP_3) | instskip(NEXT) | instid1(VALU_DEP_2)
	v_lshrrev_b64 v[16:17], v6, v[54:55]
	v_lshlrev_b64_e64 v[8:9], v7, -1
	v_add_nc_u32_e32 v7, 19, v6
	s_delay_alu instid0(VALU_DEP_1) | instskip(NEXT) | instid1(VALU_DEP_3)
	v_lshlrev_b64_e64 v[18:19], v7, 1
	v_bfi_b32 v9, v9, 0, 0
	s_delay_alu instid0(VALU_DEP_4) | instskip(NEXT) | instid1(VALU_DEP_1)
	v_bfi_b32 v8, v8, 0, v54
	v_cmp_eq_u64_e64 s10, v[8:9], v[18:19]
	v_mov_b64_e32 v[18:19], v[16:17]
	s_and_saveexec_b32 s42, s10
; %bb.5259:                             ;   in Loop: Header=BB6_4515 Depth=2
	v_bfe_u32 v54, v16, 20, 1
	s_delay_alu instid0(VALU_DEP_1) | instskip(NEXT) | instid1(VALU_DEP_1)
	v_add_nc_u64_e32 v[8:9], v[16:17], v[54:55]
	v_add_nc_u64_e32 v[18:19], -1, v[8:9]
; %bb.5260:                             ;   in Loop: Header=BB6_4515 Depth=2
	s_or_b32 exec_lo, exec_lo, s42
	v_add_nc_u32_e32 v1, 0xffffff81, v4
	v_lshrrev_b32_e32 v4, 23, v16
	s_mov_b32 s10, exec_lo
	s_delay_alu instid0(VALU_DEP_2) | instskip(NEXT) | instid1(VALU_DEP_1)
	v_cndmask_b32_e64 v1, v1, 0xffffff82, vcc_lo
	v_add3_u32 v4, v6, v1, v4
	v_and_b32_e32 v1, 0xfffff, v18
	s_delay_alu instid0(VALU_DEP_2) | instskip(NEXT) | instid1(VALU_DEP_2)
	v_add_nc_u32_e32 v6, 6, v4
	v_add_nc_u32_e32 v54, v1, v16
                                        ; implicit-def: $vgpr16_vgpr17
                                        ; implicit-def: $vgpr1
	s_delay_alu instid0(VALU_DEP_2)
	v_cmpx_ne_u32_e32 0, v6
	s_xor_b32 s10, exec_lo, s10
; %bb.5261:                             ;   in Loop: Header=BB6_4515 Depth=2
	s_delay_alu instid0(VALU_DEP_2) | instskip(SKIP_2) | instid1(VALU_DEP_2)
	v_cmp_lt_u64_e32 vcc_lo, 0xffffff, v[54:55]
	v_add_nc_u32_e32 v1, 7, v4
	v_cndmask_b32_e64 v4, 0, 1, vcc_lo
	v_cndmask_b32_e32 v1, v6, v1, vcc_lo
	s_delay_alu instid0(VALU_DEP_2)
	v_lshrrev_b64 v[16:17], v4, v[54:55]
; %bb.5262:                             ;   in Loop: Header=BB6_4515 Depth=2
	s_and_not1_saveexec_b32 s10, s10
; %bb.5263:                             ;   in Loop: Header=BB6_4515 Depth=2
	v_mov_b64_e32 v[16:17], v[54:55]
	v_bfe_u32 v1, v54, 23, 1
; %bb.5264:                             ;   in Loop: Header=BB6_4515 Depth=2
	s_or_b32 exec_lo, exec_lo, s10
	s_delay_alu instid0(VALU_DEP_2) | instskip(NEXT) | instid1(VALU_DEP_2)
	v_lshrrev_b64 v[6:7], 20, v[16:17]
	v_cmp_gt_i32_e32 vcc_lo, 16, v1
	v_cmp_ne_u32_e64 s10, 0, v1
                                        ; implicit-def: $vgpr9
	s_delay_alu instid0(VALU_DEP_3) | instskip(NEXT) | instid1(VALU_DEP_1)
	v_dual_cndmask_b32 v17, 0, v7 :: v_dual_cndmask_b32 v16, 7, v6
	v_cmp_ne_u64_e32 vcc_lo, 0, v[16:17]
	s_or_b32 s10, s10, vcc_lo
	s_delay_alu instid0(SALU_CYCLE_1) | instskip(NEXT) | instid1(SALU_CYCLE_1)
	s_and_saveexec_b32 s42, s10
	s_xor_b32 s10, exec_lo, s42
; %bb.5265:                             ;   in Loop: Header=BB6_4515 Depth=2
	v_min_i32_e32 v1, 15, v1
	s_delay_alu instid0(VALU_DEP_1) | instskip(NEXT) | instid1(VALU_DEP_1)
	v_lshl_or_b32 v0, v1, 3, v0
	v_and_or_b32 v9, v16, 7, v0
                                        ; implicit-def: $vgpr0
; %bb.5266:                             ;   in Loop: Header=BB6_4515 Depth=2
	s_and_not1_saveexec_b32 s10, s10
; %bb.5267:                             ;   in Loop: Header=BB6_4515 Depth=2
	v_mov_b32_e32 v9, v0
; %bb.5268:                             ;   in Loop: Header=BB6_4515 Depth=2
	s_or_b32 exec_lo, exec_lo, s10
.LBB6_5269:                             ;   in Loop: Header=BB6_4515 Depth=2
	s_delay_alu instid0(SALU_CYCLE_1)
	s_or_b32 exec_lo, exec_lo, s41
                                        ; implicit-def: $vgpr0
.LBB6_5270:                             ;   in Loop: Header=BB6_4515 Depth=2
	s_and_not1_saveexec_b32 s10, s40
; %bb.5271:                             ;   in Loop: Header=BB6_4515 Depth=2
	v_or_b32_e32 v9, 0x7e, v0
; %bb.5272:                             ;   in Loop: Header=BB6_4515 Depth=2
	s_or_b32 exec_lo, exec_lo, s10
                                        ; implicit-def: $vgpr0
.LBB6_5273:                             ;   in Loop: Header=BB6_4515 Depth=2
	s_and_not1_saveexec_b32 s10, s11
; %bb.5274:                             ;   in Loop: Header=BB6_4515 Depth=2
	v_or_b32_e32 v9, 0x7f, v0
; %bb.5275:                             ;   in Loop: Header=BB6_4515 Depth=2
	s_or_b32 exec_lo, exec_lo, s10
	flat_load_u8 v0, v[10:11] offset:864 th:TH_LOAD_NT
	v_mov_b32_e32 v1, 0
	s_mov_b32 s10, exec_lo
	s_wait_loadcnt_dscnt 0x0
	s_wait_xcnt 0x0
	v_cmpx_ne_u16_e32 0, v0
	s_cbranch_execz .LBB6_5283
; %bb.5276:                             ;   in Loop: Header=BB6_4515 Depth=2
	v_bfrev_b32_e32 v1, 1
	s_mov_b32 s11, exec_lo
	v_cmpx_ne_u16_e32 0x80, v0
	s_cbranch_execz .LBB6_5282
; %bb.5277:                             ;   in Loop: Header=BB6_4515 Depth=2
	v_and_b32_e32 v6, 0xffff, v0
	v_mov_b32_e32 v1, 0x7f800001
	s_mov_b32 s40, exec_lo
	s_delay_alu instid0(VALU_DEP_2) | instskip(NEXT) | instid1(VALU_DEP_1)
	v_and_b32_e32 v4, 0x7f, v6
	v_cmpx_ne_u32_e32 0x7f, v4
	s_cbranch_execz .LBB6_5281
; %bb.5278:                             ;   in Loop: Header=BB6_4515 Depth=2
	v_dual_lshrrev_b32 v1, 3, v4 :: v_dual_bitop2_b32 v54, 7, v6 bitop3:0x40
	s_mov_b32 s41, exec_lo
	s_delay_alu instid0(VALU_DEP_1)
	v_mov_b64_e32 v[16:17], v[54:55]
	v_cmpx_gt_u32_e32 8, v4
; %bb.5279:                             ;   in Loop: Header=BB6_4515 Depth=2
	v_clz_i32_u32_e32 v1, v54
	s_delay_alu instid0(VALU_DEP_1) | instskip(NEXT) | instid1(VALU_DEP_1)
	v_min_u32_e32 v1, 32, v1
	v_subrev_nc_u32_e32 v4, 28, v1
	s_delay_alu instid0(VALU_DEP_1) | instskip(NEXT) | instid1(VALU_DEP_1)
	v_lshlrev_b64_e32 v[6:7], v4, v[54:55]
	v_dual_sub_nc_u32 v1, 29, v1 :: v_dual_bitop2_b32 v16, 7, v6 bitop3:0x40
; %bb.5280:                             ;   in Loop: Header=BB6_4515 Depth=2
	s_or_b32 exec_lo, exec_lo, s41
	v_lshlrev_b32_e32 v0, 24, v0
	s_delay_alu instid0(VALU_DEP_2) | instskip(NEXT) | instid1(VALU_DEP_3)
	v_lshlrev_b32_e32 v4, 20, v16
	v_lshl_add_u32 v1, v1, 23, 0x3c000000
	s_delay_alu instid0(VALU_DEP_3) | instskip(NEXT) | instid1(VALU_DEP_1)
	v_and_b32_e32 v0, 0x80000000, v0
	v_or3_b32 v1, v4, v0, v1
.LBB6_5281:                             ;   in Loop: Header=BB6_4515 Depth=2
	s_or_b32 exec_lo, exec_lo, s40
.LBB6_5282:                             ;   in Loop: Header=BB6_4515 Depth=2
	s_delay_alu instid0(SALU_CYCLE_1)
	s_or_b32 exec_lo, exec_lo, s11
.LBB6_5283:                             ;   in Loop: Header=BB6_4515 Depth=2
	s_delay_alu instid0(SALU_CYCLE_1) | instskip(NEXT) | instid1(VALU_DEP_1)
	s_or_b32 exec_lo, exec_lo, s10
	v_mul_f32_e32 v1, s29, v1
                                        ; implicit-def: $vgpr8
	s_mov_b32 s10, exec_lo
	s_delay_alu instid0(VALU_DEP_1) | instskip(SKIP_1) | instid1(VALU_DEP_2)
	v_and_b32_e32 v54, 0x7f800000, v1
	v_lshrrev_b32_e32 v0, 24, v1
	v_cmpx_ne_u64_e32 0x7f800000, v[54:55]
	s_xor_b32 s11, exec_lo, s10
	s_cbranch_execz .LBB6_5301
; %bb.5284:                             ;   in Loop: Header=BB6_4515 Depth=2
	v_and_b32_e32 v54, 0x7fffffff, v1
	v_and_b32_e32 v0, 0x80, v0
                                        ; implicit-def: $vgpr8
	s_mov_b32 s10, exec_lo
	s_delay_alu instid0(VALU_DEP_2)
	v_cmpx_gt_u64_e32 0x43e00001, v[54:55]
	s_xor_b32 s40, exec_lo, s10
	s_cbranch_execz .LBB6_5298
; %bb.5285:                             ;   in Loop: Header=BB6_4515 Depth=2
	v_mov_b32_e32 v8, 0
	s_mov_b32 s41, exec_lo
	v_cmpx_ne_u32_e32 0, v1
	s_cbranch_execz .LBB6_5297
; %bb.5286:                             ;   in Loop: Header=BB6_4515 Depth=2
	v_bfe_u32 v4, v1, 23, 8
	v_and_b32_e32 v1, 0x7fffff, v1
	s_delay_alu instid0(VALU_DEP_2) | instskip(SKIP_1) | instid1(VALU_DEP_3)
	v_sub_nc_u32_e32 v6, 0x79, v4
	v_cmp_gt_u32_e32 vcc_lo, 0x7a, v4
	v_or_b32_e32 v8, 0x800000, v1
	s_delay_alu instid0(VALU_DEP_3) | instskip(SKIP_1) | instid1(VALU_DEP_3)
	v_cndmask_b32_e32 v6, 0, v6, vcc_lo
	v_cmp_eq_u32_e32 vcc_lo, 0, v4
	v_cndmask_b32_e32 v54, v8, v1, vcc_lo
	s_delay_alu instid0(VALU_DEP_3) | instskip(NEXT) | instid1(VALU_DEP_1)
	v_cndmask_b32_e64 v6, v6, 0x78, vcc_lo
	v_add_nc_u32_e32 v7, 20, v6
	s_delay_alu instid0(VALU_DEP_1) | instskip(SKIP_1) | instid1(VALU_DEP_1)
	v_lshlrev_b64_e64 v[16:17], v7, -1
	v_add_nc_u32_e32 v7, 19, v6
	v_lshlrev_b64_e64 v[18:19], v7, 1
	s_delay_alu instid0(VALU_DEP_3) | instskip(NEXT) | instid1(VALU_DEP_4)
	v_bfi_b32 v117, v17, 0, 0
	v_bfi_b32 v116, v16, 0, v54
	v_lshrrev_b64 v[16:17], v6, v[54:55]
	s_delay_alu instid0(VALU_DEP_2) | instskip(NEXT) | instid1(VALU_DEP_2)
	v_cmp_eq_u64_e64 s10, v[116:117], v[18:19]
	v_mov_b64_e32 v[18:19], v[16:17]
	s_and_saveexec_b32 s42, s10
; %bb.5287:                             ;   in Loop: Header=BB6_4515 Depth=2
	v_bfe_u32 v54, v16, 20, 1
	s_delay_alu instid0(VALU_DEP_1) | instskip(NEXT) | instid1(VALU_DEP_1)
	v_add_nc_u64_e32 v[18:19], v[16:17], v[54:55]
	v_add_nc_u64_e32 v[18:19], -1, v[18:19]
; %bb.5288:                             ;   in Loop: Header=BB6_4515 Depth=2
	s_or_b32 exec_lo, exec_lo, s42
	v_add_nc_u32_e32 v1, 0xffffff81, v4
	v_lshrrev_b32_e32 v4, 23, v16
	s_mov_b32 s10, exec_lo
	s_delay_alu instid0(VALU_DEP_2) | instskip(NEXT) | instid1(VALU_DEP_1)
	v_cndmask_b32_e64 v1, v1, 0xffffff82, vcc_lo
	v_add3_u32 v4, v6, v1, v4
	v_and_b32_e32 v1, 0xfffff, v18
	s_delay_alu instid0(VALU_DEP_2) | instskip(NEXT) | instid1(VALU_DEP_2)
	v_add_nc_u32_e32 v6, 6, v4
	v_add_nc_u32_e32 v54, v1, v16
                                        ; implicit-def: $vgpr16_vgpr17
                                        ; implicit-def: $vgpr1
	s_delay_alu instid0(VALU_DEP_2)
	v_cmpx_ne_u32_e32 0, v6
	s_xor_b32 s10, exec_lo, s10
; %bb.5289:                             ;   in Loop: Header=BB6_4515 Depth=2
	s_delay_alu instid0(VALU_DEP_2) | instskip(SKIP_2) | instid1(VALU_DEP_2)
	v_cmp_lt_u64_e32 vcc_lo, 0xffffff, v[54:55]
	v_add_nc_u32_e32 v1, 7, v4
	v_cndmask_b32_e64 v4, 0, 1, vcc_lo
	v_cndmask_b32_e32 v1, v6, v1, vcc_lo
	s_delay_alu instid0(VALU_DEP_2)
	v_lshrrev_b64 v[16:17], v4, v[54:55]
; %bb.5290:                             ;   in Loop: Header=BB6_4515 Depth=2
	s_and_not1_saveexec_b32 s10, s10
; %bb.5291:                             ;   in Loop: Header=BB6_4515 Depth=2
	v_mov_b64_e32 v[16:17], v[54:55]
	v_bfe_u32 v1, v54, 23, 1
; %bb.5292:                             ;   in Loop: Header=BB6_4515 Depth=2
	s_or_b32 exec_lo, exec_lo, s10
	s_delay_alu instid0(VALU_DEP_2) | instskip(NEXT) | instid1(VALU_DEP_2)
	v_lshrrev_b64 v[6:7], 20, v[16:17]
	v_cmp_gt_i32_e32 vcc_lo, 16, v1
	v_cmp_ne_u32_e64 s10, 0, v1
                                        ; implicit-def: $vgpr8
	s_delay_alu instid0(VALU_DEP_3) | instskip(NEXT) | instid1(VALU_DEP_1)
	v_dual_cndmask_b32 v17, 0, v7 :: v_dual_cndmask_b32 v16, 7, v6
	v_cmp_ne_u64_e32 vcc_lo, 0, v[16:17]
	s_or_b32 s10, s10, vcc_lo
	s_delay_alu instid0(SALU_CYCLE_1) | instskip(NEXT) | instid1(SALU_CYCLE_1)
	s_and_saveexec_b32 s42, s10
	s_xor_b32 s10, exec_lo, s42
; %bb.5293:                             ;   in Loop: Header=BB6_4515 Depth=2
	v_min_i32_e32 v1, 15, v1
	s_delay_alu instid0(VALU_DEP_1) | instskip(NEXT) | instid1(VALU_DEP_1)
	v_lshl_or_b32 v0, v1, 3, v0
	v_and_or_b32 v8, v16, 7, v0
                                        ; implicit-def: $vgpr0
; %bb.5294:                             ;   in Loop: Header=BB6_4515 Depth=2
	s_and_not1_saveexec_b32 s10, s10
; %bb.5295:                             ;   in Loop: Header=BB6_4515 Depth=2
	v_mov_b32_e32 v8, v0
; %bb.5296:                             ;   in Loop: Header=BB6_4515 Depth=2
	s_or_b32 exec_lo, exec_lo, s10
.LBB6_5297:                             ;   in Loop: Header=BB6_4515 Depth=2
	s_delay_alu instid0(SALU_CYCLE_1)
	s_or_b32 exec_lo, exec_lo, s41
                                        ; implicit-def: $vgpr0
.LBB6_5298:                             ;   in Loop: Header=BB6_4515 Depth=2
	s_and_not1_saveexec_b32 s10, s40
; %bb.5299:                             ;   in Loop: Header=BB6_4515 Depth=2
	v_or_b32_e32 v8, 0x7e, v0
; %bb.5300:                             ;   in Loop: Header=BB6_4515 Depth=2
	s_or_b32 exec_lo, exec_lo, s10
                                        ; implicit-def: $vgpr0
.LBB6_5301:                             ;   in Loop: Header=BB6_4515 Depth=2
	s_and_not1_saveexec_b32 s10, s11
; %bb.5302:                             ;   in Loop: Header=BB6_4515 Depth=2
	v_or_b32_e32 v8, 0x7f, v0
; %bb.5303:                             ;   in Loop: Header=BB6_4515 Depth=2
	s_or_b32 exec_lo, exec_lo, s10
	flat_load_u8 v0, v[10:11] offset:896 th:TH_LOAD_NT
	v_mov_b32_e32 v1, 0
	s_mov_b32 s10, exec_lo
	s_wait_loadcnt_dscnt 0x0
	s_wait_xcnt 0x0
	v_cmpx_ne_u16_e32 0, v0
	s_cbranch_execz .LBB6_5311
; %bb.5304:                             ;   in Loop: Header=BB6_4515 Depth=2
	v_bfrev_b32_e32 v1, 1
	s_mov_b32 s11, exec_lo
	v_cmpx_ne_u16_e32 0x80, v0
	s_cbranch_execz .LBB6_5310
; %bb.5305:                             ;   in Loop: Header=BB6_4515 Depth=2
	v_and_b32_e32 v6, 0xffff, v0
	v_mov_b32_e32 v1, 0x7f800001
	s_mov_b32 s40, exec_lo
	s_delay_alu instid0(VALU_DEP_2) | instskip(NEXT) | instid1(VALU_DEP_1)
	v_and_b32_e32 v4, 0x7f, v6
	v_cmpx_ne_u32_e32 0x7f, v4
	s_cbranch_execz .LBB6_5309
; %bb.5306:                             ;   in Loop: Header=BB6_4515 Depth=2
	v_dual_lshrrev_b32 v1, 3, v4 :: v_dual_bitop2_b32 v54, 7, v6 bitop3:0x40
	s_mov_b32 s41, exec_lo
	s_delay_alu instid0(VALU_DEP_1)
	v_mov_b64_e32 v[16:17], v[54:55]
	v_cmpx_gt_u32_e32 8, v4
; %bb.5307:                             ;   in Loop: Header=BB6_4515 Depth=2
	v_clz_i32_u32_e32 v1, v54
	s_delay_alu instid0(VALU_DEP_1) | instskip(NEXT) | instid1(VALU_DEP_1)
	v_min_u32_e32 v1, 32, v1
	v_subrev_nc_u32_e32 v4, 28, v1
	s_delay_alu instid0(VALU_DEP_1) | instskip(NEXT) | instid1(VALU_DEP_1)
	v_lshlrev_b64_e32 v[6:7], v4, v[54:55]
	v_dual_sub_nc_u32 v1, 29, v1 :: v_dual_bitop2_b32 v16, 7, v6 bitop3:0x40
; %bb.5308:                             ;   in Loop: Header=BB6_4515 Depth=2
	s_or_b32 exec_lo, exec_lo, s41
	v_lshlrev_b32_e32 v0, 24, v0
	s_delay_alu instid0(VALU_DEP_2) | instskip(NEXT) | instid1(VALU_DEP_3)
	v_lshlrev_b32_e32 v4, 20, v16
	v_lshl_add_u32 v1, v1, 23, 0x3c000000
	s_delay_alu instid0(VALU_DEP_3) | instskip(NEXT) | instid1(VALU_DEP_1)
	v_and_b32_e32 v0, 0x80000000, v0
	v_or3_b32 v1, v4, v0, v1
.LBB6_5309:                             ;   in Loop: Header=BB6_4515 Depth=2
	s_or_b32 exec_lo, exec_lo, s40
.LBB6_5310:                             ;   in Loop: Header=BB6_4515 Depth=2
	s_delay_alu instid0(SALU_CYCLE_1)
	s_or_b32 exec_lo, exec_lo, s11
.LBB6_5311:                             ;   in Loop: Header=BB6_4515 Depth=2
	s_delay_alu instid0(SALU_CYCLE_1) | instskip(NEXT) | instid1(VALU_DEP_1)
	s_or_b32 exec_lo, exec_lo, s10
	v_mul_f32_e32 v1, s29, v1
                                        ; implicit-def: $vgpr7
	s_mov_b32 s10, exec_lo
	s_delay_alu instid0(VALU_DEP_1) | instskip(SKIP_1) | instid1(VALU_DEP_2)
	v_and_b32_e32 v54, 0x7f800000, v1
	v_lshrrev_b32_e32 v0, 24, v1
	v_cmpx_ne_u64_e32 0x7f800000, v[54:55]
	s_xor_b32 s11, exec_lo, s10
	s_cbranch_execz .LBB6_5329
; %bb.5312:                             ;   in Loop: Header=BB6_4515 Depth=2
	v_and_b32_e32 v54, 0x7fffffff, v1
	v_and_b32_e32 v0, 0x80, v0
                                        ; implicit-def: $vgpr7
	s_mov_b32 s10, exec_lo
	s_delay_alu instid0(VALU_DEP_2)
	v_cmpx_gt_u64_e32 0x43e00001, v[54:55]
	s_xor_b32 s40, exec_lo, s10
	s_cbranch_execz .LBB6_5326
; %bb.5313:                             ;   in Loop: Header=BB6_4515 Depth=2
	v_mov_b32_e32 v7, 0
	s_mov_b32 s41, exec_lo
	v_cmpx_ne_u32_e32 0, v1
	s_cbranch_execz .LBB6_5325
; %bb.5314:                             ;   in Loop: Header=BB6_4515 Depth=2
	v_bfe_u32 v4, v1, 23, 8
	v_and_b32_e32 v1, 0x7fffff, v1
	s_delay_alu instid0(VALU_DEP_2) | instskip(SKIP_1) | instid1(VALU_DEP_3)
	v_sub_nc_u32_e32 v6, 0x79, v4
	v_cmp_gt_u32_e32 vcc_lo, 0x7a, v4
	v_or_b32_e32 v18, 0x800000, v1
	s_delay_alu instid0(VALU_DEP_3) | instskip(SKIP_1) | instid1(VALU_DEP_3)
	v_cndmask_b32_e32 v6, 0, v6, vcc_lo
	v_cmp_eq_u32_e32 vcc_lo, 0, v4
	v_cndmask_b32_e32 v54, v18, v1, vcc_lo
	s_delay_alu instid0(VALU_DEP_3) | instskip(NEXT) | instid1(VALU_DEP_1)
	v_cndmask_b32_e64 v6, v6, 0x78, vcc_lo
	v_add_nc_u32_e32 v7, 20, v6
	s_delay_alu instid0(VALU_DEP_1) | instskip(SKIP_1) | instid1(VALU_DEP_1)
	v_lshlrev_b64_e64 v[16:17], v7, -1
	v_add_nc_u32_e32 v7, 19, v6
	v_lshlrev_b64_e64 v[18:19], v7, 1
	s_delay_alu instid0(VALU_DEP_3) | instskip(NEXT) | instid1(VALU_DEP_4)
	v_bfi_b32 v117, v17, 0, 0
	v_bfi_b32 v116, v16, 0, v54
	v_lshrrev_b64 v[16:17], v6, v[54:55]
	s_delay_alu instid0(VALU_DEP_2) | instskip(NEXT) | instid1(VALU_DEP_2)
	v_cmp_eq_u64_e64 s10, v[116:117], v[18:19]
	v_mov_b64_e32 v[18:19], v[16:17]
	s_and_saveexec_b32 s42, s10
; %bb.5315:                             ;   in Loop: Header=BB6_4515 Depth=2
	v_bfe_u32 v54, v16, 20, 1
	s_delay_alu instid0(VALU_DEP_1) | instskip(NEXT) | instid1(VALU_DEP_1)
	v_add_nc_u64_e32 v[18:19], v[16:17], v[54:55]
	v_add_nc_u64_e32 v[18:19], -1, v[18:19]
; %bb.5316:                             ;   in Loop: Header=BB6_4515 Depth=2
	s_or_b32 exec_lo, exec_lo, s42
	v_add_nc_u32_e32 v1, 0xffffff81, v4
	v_lshrrev_b32_e32 v4, 23, v16
	s_mov_b32 s10, exec_lo
	s_delay_alu instid0(VALU_DEP_2) | instskip(NEXT) | instid1(VALU_DEP_1)
	v_cndmask_b32_e64 v1, v1, 0xffffff82, vcc_lo
	v_add3_u32 v4, v6, v1, v4
	v_and_b32_e32 v1, 0xfffff, v18
	s_delay_alu instid0(VALU_DEP_2) | instskip(NEXT) | instid1(VALU_DEP_2)
	v_add_nc_u32_e32 v6, 6, v4
	v_add_nc_u32_e32 v54, v1, v16
                                        ; implicit-def: $vgpr16_vgpr17
                                        ; implicit-def: $vgpr1
	s_delay_alu instid0(VALU_DEP_2)
	v_cmpx_ne_u32_e32 0, v6
	s_xor_b32 s10, exec_lo, s10
; %bb.5317:                             ;   in Loop: Header=BB6_4515 Depth=2
	s_delay_alu instid0(VALU_DEP_2) | instskip(SKIP_2) | instid1(VALU_DEP_2)
	v_cmp_lt_u64_e32 vcc_lo, 0xffffff, v[54:55]
	v_add_nc_u32_e32 v1, 7, v4
	v_cndmask_b32_e64 v4, 0, 1, vcc_lo
	v_cndmask_b32_e32 v1, v6, v1, vcc_lo
	s_delay_alu instid0(VALU_DEP_2)
	v_lshrrev_b64 v[16:17], v4, v[54:55]
; %bb.5318:                             ;   in Loop: Header=BB6_4515 Depth=2
	s_and_not1_saveexec_b32 s10, s10
; %bb.5319:                             ;   in Loop: Header=BB6_4515 Depth=2
	v_mov_b64_e32 v[16:17], v[54:55]
	v_bfe_u32 v1, v54, 23, 1
; %bb.5320:                             ;   in Loop: Header=BB6_4515 Depth=2
	s_or_b32 exec_lo, exec_lo, s10
	s_delay_alu instid0(VALU_DEP_2) | instskip(NEXT) | instid1(VALU_DEP_2)
	v_lshrrev_b64 v[6:7], 20, v[16:17]
	v_cmp_gt_i32_e32 vcc_lo, 16, v1
	v_cmp_ne_u32_e64 s10, 0, v1
	s_delay_alu instid0(VALU_DEP_3) | instskip(NEXT) | instid1(VALU_DEP_1)
	v_dual_cndmask_b32 v17, 0, v7 :: v_dual_cndmask_b32 v16, 7, v6
                                        ; implicit-def: $vgpr7
	v_cmp_ne_u64_e32 vcc_lo, 0, v[16:17]
	s_or_b32 s10, s10, vcc_lo
	s_delay_alu instid0(SALU_CYCLE_1) | instskip(NEXT) | instid1(SALU_CYCLE_1)
	s_and_saveexec_b32 s42, s10
	s_xor_b32 s10, exec_lo, s42
; %bb.5321:                             ;   in Loop: Header=BB6_4515 Depth=2
	v_min_i32_e32 v1, 15, v1
	s_delay_alu instid0(VALU_DEP_1) | instskip(NEXT) | instid1(VALU_DEP_1)
	v_lshl_or_b32 v0, v1, 3, v0
	v_and_or_b32 v7, v16, 7, v0
                                        ; implicit-def: $vgpr0
; %bb.5322:                             ;   in Loop: Header=BB6_4515 Depth=2
	s_and_not1_saveexec_b32 s10, s10
; %bb.5323:                             ;   in Loop: Header=BB6_4515 Depth=2
	v_mov_b32_e32 v7, v0
; %bb.5324:                             ;   in Loop: Header=BB6_4515 Depth=2
	s_or_b32 exec_lo, exec_lo, s10
.LBB6_5325:                             ;   in Loop: Header=BB6_4515 Depth=2
	s_delay_alu instid0(SALU_CYCLE_1)
	s_or_b32 exec_lo, exec_lo, s41
                                        ; implicit-def: $vgpr0
.LBB6_5326:                             ;   in Loop: Header=BB6_4515 Depth=2
	s_and_not1_saveexec_b32 s10, s40
; %bb.5327:                             ;   in Loop: Header=BB6_4515 Depth=2
	v_or_b32_e32 v7, 0x7e, v0
; %bb.5328:                             ;   in Loop: Header=BB6_4515 Depth=2
	s_or_b32 exec_lo, exec_lo, s10
                                        ; implicit-def: $vgpr0
.LBB6_5329:                             ;   in Loop: Header=BB6_4515 Depth=2
	s_and_not1_saveexec_b32 s10, s11
; %bb.5330:                             ;   in Loop: Header=BB6_4515 Depth=2
	v_or_b32_e32 v7, 0x7f, v0
; %bb.5331:                             ;   in Loop: Header=BB6_4515 Depth=2
	s_or_b32 exec_lo, exec_lo, s10
	flat_load_u8 v0, v[10:11] offset:928 th:TH_LOAD_NT
	v_mov_b32_e32 v1, 0
	s_mov_b32 s10, exec_lo
	s_wait_loadcnt_dscnt 0x0
	s_wait_xcnt 0x0
	v_cmpx_ne_u16_e32 0, v0
	s_cbranch_execz .LBB6_5339
; %bb.5332:                             ;   in Loop: Header=BB6_4515 Depth=2
	v_bfrev_b32_e32 v1, 1
	s_mov_b32 s11, exec_lo
	v_cmpx_ne_u16_e32 0x80, v0
	s_cbranch_execz .LBB6_5338
; %bb.5333:                             ;   in Loop: Header=BB6_4515 Depth=2
	v_and_b32_e32 v6, 0xffff, v0
	v_mov_b32_e32 v1, 0x7f800001
	s_mov_b32 s40, exec_lo
	s_delay_alu instid0(VALU_DEP_2) | instskip(NEXT) | instid1(VALU_DEP_1)
	v_and_b32_e32 v4, 0x7f, v6
	v_cmpx_ne_u32_e32 0x7f, v4
	s_cbranch_execz .LBB6_5337
; %bb.5334:                             ;   in Loop: Header=BB6_4515 Depth=2
	v_dual_lshrrev_b32 v1, 3, v4 :: v_dual_bitop2_b32 v54, 7, v6 bitop3:0x40
	s_mov_b32 s41, exec_lo
	s_delay_alu instid0(VALU_DEP_1)
	v_mov_b64_e32 v[16:17], v[54:55]
	v_cmpx_gt_u32_e32 8, v4
; %bb.5335:                             ;   in Loop: Header=BB6_4515 Depth=2
	v_clz_i32_u32_e32 v1, v54
	s_delay_alu instid0(VALU_DEP_1) | instskip(NEXT) | instid1(VALU_DEP_1)
	v_min_u32_e32 v1, 32, v1
	v_subrev_nc_u32_e32 v4, 28, v1
	s_delay_alu instid0(VALU_DEP_1) | instskip(NEXT) | instid1(VALU_DEP_1)
	v_lshlrev_b64_e32 v[16:17], v4, v[54:55]
	v_dual_sub_nc_u32 v1, 29, v1 :: v_dual_bitop2_b32 v16, 7, v16 bitop3:0x40
; %bb.5336:                             ;   in Loop: Header=BB6_4515 Depth=2
	s_or_b32 exec_lo, exec_lo, s41
	v_lshlrev_b32_e32 v0, 24, v0
	s_delay_alu instid0(VALU_DEP_2) | instskip(NEXT) | instid1(VALU_DEP_3)
	v_lshlrev_b32_e32 v4, 20, v16
	v_lshl_add_u32 v1, v1, 23, 0x3c000000
	s_delay_alu instid0(VALU_DEP_3) | instskip(NEXT) | instid1(VALU_DEP_1)
	v_and_b32_e32 v0, 0x80000000, v0
	v_or3_b32 v1, v4, v0, v1
.LBB6_5337:                             ;   in Loop: Header=BB6_4515 Depth=2
	s_or_b32 exec_lo, exec_lo, s40
.LBB6_5338:                             ;   in Loop: Header=BB6_4515 Depth=2
	s_delay_alu instid0(SALU_CYCLE_1)
	s_or_b32 exec_lo, exec_lo, s11
.LBB6_5339:                             ;   in Loop: Header=BB6_4515 Depth=2
	s_delay_alu instid0(SALU_CYCLE_1) | instskip(NEXT) | instid1(VALU_DEP_1)
	s_or_b32 exec_lo, exec_lo, s10
	v_mul_f32_e32 v1, s29, v1
                                        ; implicit-def: $vgpr6
	s_mov_b32 s10, exec_lo
	s_delay_alu instid0(VALU_DEP_1) | instskip(SKIP_1) | instid1(VALU_DEP_2)
	v_and_b32_e32 v54, 0x7f800000, v1
	v_lshrrev_b32_e32 v0, 24, v1
	v_cmpx_ne_u64_e32 0x7f800000, v[54:55]
	s_xor_b32 s11, exec_lo, s10
	s_cbranch_execz .LBB6_5357
; %bb.5340:                             ;   in Loop: Header=BB6_4515 Depth=2
	v_and_b32_e32 v54, 0x7fffffff, v1
	v_and_b32_e32 v0, 0x80, v0
                                        ; implicit-def: $vgpr6
	s_mov_b32 s10, exec_lo
	s_delay_alu instid0(VALU_DEP_2)
	v_cmpx_gt_u64_e32 0x43e00001, v[54:55]
	s_xor_b32 s40, exec_lo, s10
	s_cbranch_execz .LBB6_5354
; %bb.5341:                             ;   in Loop: Header=BB6_4515 Depth=2
	v_mov_b32_e32 v6, 0
	s_mov_b32 s41, exec_lo
	v_cmpx_ne_u32_e32 0, v1
	s_cbranch_execz .LBB6_5353
; %bb.5342:                             ;   in Loop: Header=BB6_4515 Depth=2
	v_bfe_u32 v4, v1, 23, 8
	v_and_b32_e32 v1, 0x7fffff, v1
	s_delay_alu instid0(VALU_DEP_2) | instskip(SKIP_1) | instid1(VALU_DEP_3)
	v_sub_nc_u32_e32 v6, 0x79, v4
	v_cmp_gt_u32_e32 vcc_lo, 0x7a, v4
	v_or_b32_e32 v18, 0x800000, v1
	s_delay_alu instid0(VALU_DEP_3) | instskip(SKIP_1) | instid1(VALU_DEP_3)
	v_cndmask_b32_e32 v6, 0, v6, vcc_lo
	v_cmp_eq_u32_e32 vcc_lo, 0, v4
	v_cndmask_b32_e32 v54, v18, v1, vcc_lo
	s_delay_alu instid0(VALU_DEP_3) | instskip(NEXT) | instid1(VALU_DEP_1)
	v_cndmask_b32_e64 v6, v6, 0x78, vcc_lo
	v_dual_add_nc_u32 v16, 20, v6 :: v_dual_add_nc_u32 v19, 19, v6
	s_delay_alu instid0(VALU_DEP_1) | instskip(NEXT) | instid1(VALU_DEP_2)
	v_lshlrev_b64_e64 v[16:17], v16, -1
	v_lshlrev_b64_e64 v[18:19], v19, 1
	s_delay_alu instid0(VALU_DEP_2) | instskip(NEXT) | instid1(VALU_DEP_3)
	v_bfi_b32 v117, v17, 0, 0
	v_bfi_b32 v116, v16, 0, v54
	v_lshrrev_b64 v[16:17], v6, v[54:55]
	s_delay_alu instid0(VALU_DEP_2) | instskip(NEXT) | instid1(VALU_DEP_2)
	v_cmp_eq_u64_e64 s10, v[116:117], v[18:19]
	v_mov_b64_e32 v[18:19], v[16:17]
	s_and_saveexec_b32 s42, s10
; %bb.5343:                             ;   in Loop: Header=BB6_4515 Depth=2
	v_bfe_u32 v54, v16, 20, 1
	s_delay_alu instid0(VALU_DEP_1) | instskip(NEXT) | instid1(VALU_DEP_1)
	v_add_nc_u64_e32 v[18:19], v[16:17], v[54:55]
	v_add_nc_u64_e32 v[18:19], -1, v[18:19]
; %bb.5344:                             ;   in Loop: Header=BB6_4515 Depth=2
	s_or_b32 exec_lo, exec_lo, s42
	v_add_nc_u32_e32 v1, 0xffffff81, v4
	v_lshrrev_b32_e32 v4, 23, v16
	s_mov_b32 s10, exec_lo
	s_delay_alu instid0(VALU_DEP_2) | instskip(NEXT) | instid1(VALU_DEP_1)
	v_cndmask_b32_e64 v1, v1, 0xffffff82, vcc_lo
	v_add3_u32 v4, v6, v1, v4
	v_and_b32_e32 v1, 0xfffff, v18
	s_delay_alu instid0(VALU_DEP_2) | instskip(NEXT) | instid1(VALU_DEP_2)
	v_add_nc_u32_e32 v6, 6, v4
	v_add_nc_u32_e32 v54, v1, v16
                                        ; implicit-def: $vgpr16_vgpr17
                                        ; implicit-def: $vgpr1
	s_delay_alu instid0(VALU_DEP_2)
	v_cmpx_ne_u32_e32 0, v6
	s_xor_b32 s10, exec_lo, s10
; %bb.5345:                             ;   in Loop: Header=BB6_4515 Depth=2
	s_delay_alu instid0(VALU_DEP_2) | instskip(SKIP_2) | instid1(VALU_DEP_2)
	v_cmp_lt_u64_e32 vcc_lo, 0xffffff, v[54:55]
	v_add_nc_u32_e32 v1, 7, v4
	v_cndmask_b32_e64 v4, 0, 1, vcc_lo
	v_cndmask_b32_e32 v1, v6, v1, vcc_lo
	s_delay_alu instid0(VALU_DEP_2)
	v_lshrrev_b64 v[16:17], v4, v[54:55]
; %bb.5346:                             ;   in Loop: Header=BB6_4515 Depth=2
	s_and_not1_saveexec_b32 s10, s10
; %bb.5347:                             ;   in Loop: Header=BB6_4515 Depth=2
	v_mov_b64_e32 v[16:17], v[54:55]
	v_bfe_u32 v1, v54, 23, 1
; %bb.5348:                             ;   in Loop: Header=BB6_4515 Depth=2
	s_or_b32 exec_lo, exec_lo, s10
	s_delay_alu instid0(VALU_DEP_2) | instskip(NEXT) | instid1(VALU_DEP_2)
	v_lshrrev_b64 v[16:17], 20, v[16:17]
	v_cmp_gt_i32_e32 vcc_lo, 16, v1
	v_cmp_ne_u32_e64 s10, 0, v1
                                        ; implicit-def: $vgpr6
	s_delay_alu instid0(VALU_DEP_3) | instskip(NEXT) | instid1(VALU_DEP_1)
	v_dual_cndmask_b32 v17, 0, v17 :: v_dual_cndmask_b32 v16, 7, v16
	v_cmp_ne_u64_e32 vcc_lo, 0, v[16:17]
	s_or_b32 s10, s10, vcc_lo
	s_delay_alu instid0(SALU_CYCLE_1) | instskip(NEXT) | instid1(SALU_CYCLE_1)
	s_and_saveexec_b32 s42, s10
	s_xor_b32 s10, exec_lo, s42
; %bb.5349:                             ;   in Loop: Header=BB6_4515 Depth=2
	v_min_i32_e32 v1, 15, v1
	s_delay_alu instid0(VALU_DEP_1) | instskip(NEXT) | instid1(VALU_DEP_1)
	v_lshl_or_b32 v0, v1, 3, v0
	v_and_or_b32 v6, v16, 7, v0
                                        ; implicit-def: $vgpr0
; %bb.5350:                             ;   in Loop: Header=BB6_4515 Depth=2
	s_and_not1_saveexec_b32 s10, s10
; %bb.5351:                             ;   in Loop: Header=BB6_4515 Depth=2
	v_mov_b32_e32 v6, v0
; %bb.5352:                             ;   in Loop: Header=BB6_4515 Depth=2
	s_or_b32 exec_lo, exec_lo, s10
.LBB6_5353:                             ;   in Loop: Header=BB6_4515 Depth=2
	s_delay_alu instid0(SALU_CYCLE_1)
	s_or_b32 exec_lo, exec_lo, s41
                                        ; implicit-def: $vgpr0
.LBB6_5354:                             ;   in Loop: Header=BB6_4515 Depth=2
	s_and_not1_saveexec_b32 s10, s40
; %bb.5355:                             ;   in Loop: Header=BB6_4515 Depth=2
	v_or_b32_e32 v6, 0x7e, v0
; %bb.5356:                             ;   in Loop: Header=BB6_4515 Depth=2
	s_or_b32 exec_lo, exec_lo, s10
                                        ; implicit-def: $vgpr0
.LBB6_5357:                             ;   in Loop: Header=BB6_4515 Depth=2
	s_and_not1_saveexec_b32 s10, s11
; %bb.5358:                             ;   in Loop: Header=BB6_4515 Depth=2
	v_or_b32_e32 v6, 0x7f, v0
; %bb.5359:                             ;   in Loop: Header=BB6_4515 Depth=2
	s_or_b32 exec_lo, exec_lo, s10
	flat_load_u8 v0, v[10:11] offset:960 th:TH_LOAD_NT
	v_mov_b32_e32 v1, 0
	s_mov_b32 s10, exec_lo
	s_wait_loadcnt_dscnt 0x0
	s_wait_xcnt 0x0
	v_cmpx_ne_u16_e32 0, v0
	s_cbranch_execz .LBB6_5367
; %bb.5360:                             ;   in Loop: Header=BB6_4515 Depth=2
	v_bfrev_b32_e32 v1, 1
	s_mov_b32 s11, exec_lo
	v_cmpx_ne_u16_e32 0x80, v0
	s_cbranch_execz .LBB6_5366
; %bb.5361:                             ;   in Loop: Header=BB6_4515 Depth=2
	v_and_b32_e32 v16, 0xffff, v0
	v_mov_b32_e32 v1, 0x7f800001
	s_mov_b32 s40, exec_lo
	s_delay_alu instid0(VALU_DEP_2) | instskip(NEXT) | instid1(VALU_DEP_1)
	v_and_b32_e32 v4, 0x7f, v16
	v_cmpx_ne_u32_e32 0x7f, v4
	s_cbranch_execz .LBB6_5365
; %bb.5362:                             ;   in Loop: Header=BB6_4515 Depth=2
	v_and_b32_e32 v54, 7, v16
	v_lshrrev_b32_e32 v1, 3, v4
	s_mov_b32 s41, exec_lo
	s_delay_alu instid0(VALU_DEP_2)
	v_mov_b64_e32 v[16:17], v[54:55]
	v_cmpx_gt_u32_e32 8, v4
; %bb.5363:                             ;   in Loop: Header=BB6_4515 Depth=2
	v_clz_i32_u32_e32 v1, v54
	s_delay_alu instid0(VALU_DEP_1) | instskip(NEXT) | instid1(VALU_DEP_1)
	v_min_u32_e32 v1, 32, v1
	v_subrev_nc_u32_e32 v4, 28, v1
	s_delay_alu instid0(VALU_DEP_1) | instskip(NEXT) | instid1(VALU_DEP_1)
	v_lshlrev_b64_e32 v[16:17], v4, v[54:55]
	v_dual_sub_nc_u32 v1, 29, v1 :: v_dual_bitop2_b32 v16, 7, v16 bitop3:0x40
; %bb.5364:                             ;   in Loop: Header=BB6_4515 Depth=2
	s_or_b32 exec_lo, exec_lo, s41
	v_lshlrev_b32_e32 v0, 24, v0
	s_delay_alu instid0(VALU_DEP_2) | instskip(NEXT) | instid1(VALU_DEP_3)
	v_lshlrev_b32_e32 v4, 20, v16
	v_lshl_add_u32 v1, v1, 23, 0x3c000000
	s_delay_alu instid0(VALU_DEP_3) | instskip(NEXT) | instid1(VALU_DEP_1)
	v_and_b32_e32 v0, 0x80000000, v0
	v_or3_b32 v1, v4, v0, v1
.LBB6_5365:                             ;   in Loop: Header=BB6_4515 Depth=2
	s_or_b32 exec_lo, exec_lo, s40
.LBB6_5366:                             ;   in Loop: Header=BB6_4515 Depth=2
	s_delay_alu instid0(SALU_CYCLE_1)
	s_or_b32 exec_lo, exec_lo, s11
.LBB6_5367:                             ;   in Loop: Header=BB6_4515 Depth=2
	s_delay_alu instid0(SALU_CYCLE_1) | instskip(NEXT) | instid1(VALU_DEP_1)
	s_or_b32 exec_lo, exec_lo, s10
	v_mul_f32_e32 v1, s29, v1
                                        ; implicit-def: $vgpr4
	s_mov_b32 s10, exec_lo
	s_delay_alu instid0(VALU_DEP_1) | instskip(SKIP_1) | instid1(VALU_DEP_2)
	v_and_b32_e32 v54, 0x7f800000, v1
	v_lshrrev_b32_e32 v0, 24, v1
	v_cmpx_ne_u64_e32 0x7f800000, v[54:55]
	s_xor_b32 s11, exec_lo, s10
	s_cbranch_execz .LBB6_5385
; %bb.5368:                             ;   in Loop: Header=BB6_4515 Depth=2
	v_and_b32_e32 v54, 0x7fffffff, v1
	v_and_b32_e32 v0, 0x80, v0
                                        ; implicit-def: $vgpr4
	s_mov_b32 s10, exec_lo
	s_delay_alu instid0(VALU_DEP_2)
	v_cmpx_gt_u64_e32 0x43e00001, v[54:55]
	s_xor_b32 s40, exec_lo, s10
	s_cbranch_execz .LBB6_5382
; %bb.5369:                             ;   in Loop: Header=BB6_4515 Depth=2
	v_mov_b32_e32 v4, 0
	s_mov_b32 s41, exec_lo
	v_cmpx_ne_u32_e32 0, v1
	s_cbranch_execz .LBB6_5381
; %bb.5370:                             ;   in Loop: Header=BB6_4515 Depth=2
	v_bfe_u32 v4, v1, 23, 8
	v_and_b32_e32 v1, 0x7fffff, v1
	s_delay_alu instid0(VALU_DEP_2) | instskip(SKIP_1) | instid1(VALU_DEP_3)
	v_sub_nc_u32_e32 v16, 0x79, v4
	v_cmp_gt_u32_e32 vcc_lo, 0x7a, v4
	v_or_b32_e32 v18, 0x800000, v1
	s_delay_alu instid0(VALU_DEP_3) | instskip(SKIP_1) | instid1(VALU_DEP_2)
	v_cndmask_b32_e32 v16, 0, v16, vcc_lo
	v_cmp_eq_u32_e32 vcc_lo, 0, v4
	v_cndmask_b32_e64 v23, v16, 0x78, vcc_lo
	s_delay_alu instid0(VALU_DEP_1) | instskip(SKIP_1) | instid1(VALU_DEP_2)
	v_dual_cndmask_b32 v54, v18, v1, vcc_lo :: v_dual_add_nc_u32 v16, 20, v23
	v_add_nc_u32_e32 v19, 19, v23
	v_lshlrev_b64_e64 v[16:17], v16, -1
	s_delay_alu instid0(VALU_DEP_2) | instskip(NEXT) | instid1(VALU_DEP_2)
	v_lshlrev_b64_e64 v[18:19], v19, 1
	v_bfi_b32 v117, v17, 0, 0
	s_delay_alu instid0(VALU_DEP_3) | instskip(SKIP_1) | instid1(VALU_DEP_2)
	v_bfi_b32 v116, v16, 0, v54
	v_lshrrev_b64 v[16:17], v23, v[54:55]
	v_cmp_eq_u64_e64 s10, v[116:117], v[18:19]
	s_delay_alu instid0(VALU_DEP_2)
	v_mov_b64_e32 v[18:19], v[16:17]
	s_and_saveexec_b32 s42, s10
; %bb.5371:                             ;   in Loop: Header=BB6_4515 Depth=2
	v_bfe_u32 v54, v16, 20, 1
	s_delay_alu instid0(VALU_DEP_1) | instskip(NEXT) | instid1(VALU_DEP_1)
	v_add_nc_u64_e32 v[18:19], v[16:17], v[54:55]
	v_add_nc_u64_e32 v[18:19], -1, v[18:19]
; %bb.5372:                             ;   in Loop: Header=BB6_4515 Depth=2
	s_or_b32 exec_lo, exec_lo, s42
	v_add_nc_u32_e32 v1, 0xffffff81, v4
	v_lshrrev_b32_e32 v4, 23, v16
	s_mov_b32 s10, exec_lo
	s_delay_alu instid0(VALU_DEP_2) | instskip(NEXT) | instid1(VALU_DEP_1)
	v_cndmask_b32_e64 v1, v1, 0xffffff82, vcc_lo
	v_add3_u32 v4, v23, v1, v4
	v_and_b32_e32 v1, 0xfffff, v18
	s_delay_alu instid0(VALU_DEP_2) | instskip(NEXT) | instid1(VALU_DEP_2)
	v_add_nc_u32_e32 v18, 6, v4
	v_add_nc_u32_e32 v54, v1, v16
                                        ; implicit-def: $vgpr16_vgpr17
                                        ; implicit-def: $vgpr1
	s_delay_alu instid0(VALU_DEP_2)
	v_cmpx_ne_u32_e32 0, v18
	s_xor_b32 s10, exec_lo, s10
; %bb.5373:                             ;   in Loop: Header=BB6_4515 Depth=2
	s_delay_alu instid0(VALU_DEP_2) | instskip(SKIP_2) | instid1(VALU_DEP_2)
	v_cmp_lt_u64_e32 vcc_lo, 0xffffff, v[54:55]
	v_add_nc_u32_e32 v1, 7, v4
	v_cndmask_b32_e64 v4, 0, 1, vcc_lo
	v_cndmask_b32_e32 v1, v18, v1, vcc_lo
	s_delay_alu instid0(VALU_DEP_2)
	v_lshrrev_b64 v[16:17], v4, v[54:55]
; %bb.5374:                             ;   in Loop: Header=BB6_4515 Depth=2
	s_and_not1_saveexec_b32 s10, s10
; %bb.5375:                             ;   in Loop: Header=BB6_4515 Depth=2
	v_mov_b64_e32 v[16:17], v[54:55]
	v_bfe_u32 v1, v54, 23, 1
; %bb.5376:                             ;   in Loop: Header=BB6_4515 Depth=2
	s_or_b32 exec_lo, exec_lo, s10
	s_delay_alu instid0(VALU_DEP_2) | instskip(NEXT) | instid1(VALU_DEP_2)
	v_lshrrev_b64 v[16:17], 20, v[16:17]
	v_cmp_gt_i32_e32 vcc_lo, 16, v1
	v_cmp_ne_u32_e64 s10, 0, v1
                                        ; implicit-def: $vgpr4
	s_delay_alu instid0(VALU_DEP_3) | instskip(NEXT) | instid1(VALU_DEP_1)
	v_dual_cndmask_b32 v17, 0, v17 :: v_dual_cndmask_b32 v16, 7, v16
	v_cmp_ne_u64_e32 vcc_lo, 0, v[16:17]
	s_or_b32 s10, s10, vcc_lo
	s_delay_alu instid0(SALU_CYCLE_1) | instskip(NEXT) | instid1(SALU_CYCLE_1)
	s_and_saveexec_b32 s42, s10
	s_xor_b32 s10, exec_lo, s42
; %bb.5377:                             ;   in Loop: Header=BB6_4515 Depth=2
	v_min_i32_e32 v1, 15, v1
	s_delay_alu instid0(VALU_DEP_1) | instskip(NEXT) | instid1(VALU_DEP_1)
	v_lshl_or_b32 v0, v1, 3, v0
	v_and_or_b32 v4, v16, 7, v0
                                        ; implicit-def: $vgpr0
; %bb.5378:                             ;   in Loop: Header=BB6_4515 Depth=2
	s_and_not1_saveexec_b32 s10, s10
; %bb.5379:                             ;   in Loop: Header=BB6_4515 Depth=2
	v_mov_b32_e32 v4, v0
; %bb.5380:                             ;   in Loop: Header=BB6_4515 Depth=2
	s_or_b32 exec_lo, exec_lo, s10
.LBB6_5381:                             ;   in Loop: Header=BB6_4515 Depth=2
	s_delay_alu instid0(SALU_CYCLE_1)
	s_or_b32 exec_lo, exec_lo, s41
                                        ; implicit-def: $vgpr0
.LBB6_5382:                             ;   in Loop: Header=BB6_4515 Depth=2
	s_and_not1_saveexec_b32 s10, s40
; %bb.5383:                             ;   in Loop: Header=BB6_4515 Depth=2
	v_or_b32_e32 v4, 0x7e, v0
; %bb.5384:                             ;   in Loop: Header=BB6_4515 Depth=2
	s_or_b32 exec_lo, exec_lo, s10
                                        ; implicit-def: $vgpr0
.LBB6_5385:                             ;   in Loop: Header=BB6_4515 Depth=2
	s_and_not1_saveexec_b32 s10, s11
; %bb.5386:                             ;   in Loop: Header=BB6_4515 Depth=2
	v_or_b32_e32 v4, 0x7f, v0
; %bb.5387:                             ;   in Loop: Header=BB6_4515 Depth=2
	s_or_b32 exec_lo, exec_lo, s10
	flat_load_u8 v0, v[10:11] offset:992 th:TH_LOAD_NT
	v_mov_b32_e32 v1, 0
	s_mov_b32 s10, exec_lo
	s_wait_loadcnt_dscnt 0x0
	s_wait_xcnt 0x0
	v_cmpx_ne_u16_e32 0, v0
	s_cbranch_execz .LBB6_5395
; %bb.5388:                             ;   in Loop: Header=BB6_4515 Depth=2
	v_bfrev_b32_e32 v1, 1
	s_mov_b32 s11, exec_lo
	v_cmpx_ne_u16_e32 0x80, v0
	s_cbranch_execz .LBB6_5394
; %bb.5389:                             ;   in Loop: Header=BB6_4515 Depth=2
	v_and_b32_e32 v17, 0xffff, v0
	v_mov_b32_e32 v1, 0x7f800001
	s_mov_b32 s40, exec_lo
	s_delay_alu instid0(VALU_DEP_2) | instskip(NEXT) | instid1(VALU_DEP_1)
	v_and_b32_e32 v16, 0x7f, v17
	v_cmpx_ne_u32_e32 0x7f, v16
	s_cbranch_execz .LBB6_5393
; %bb.5390:                             ;   in Loop: Header=BB6_4515 Depth=2
	v_dual_lshrrev_b32 v1, 3, v16 :: v_dual_bitop2_b32 v54, 7, v17 bitop3:0x40
	v_cmp_gt_u32_e32 vcc_lo, 8, v16
	s_delay_alu instid0(VALU_DEP_2)
	v_mov_b64_e32 v[16:17], v[54:55]
	s_and_saveexec_b32 s41, vcc_lo
; %bb.5391:                             ;   in Loop: Header=BB6_4515 Depth=2
	v_clz_i32_u32_e32 v1, v54
	s_delay_alu instid0(VALU_DEP_1) | instskip(NEXT) | instid1(VALU_DEP_1)
	v_min_u32_e32 v1, 32, v1
	v_subrev_nc_u32_e32 v16, 28, v1
	s_delay_alu instid0(VALU_DEP_1) | instskip(NEXT) | instid1(VALU_DEP_1)
	v_lshlrev_b64_e32 v[16:17], v16, v[54:55]
	v_dual_sub_nc_u32 v1, 29, v1 :: v_dual_bitop2_b32 v16, 7, v16 bitop3:0x40
; %bb.5392:                             ;   in Loop: Header=BB6_4515 Depth=2
	s_or_b32 exec_lo, exec_lo, s41
	v_lshlrev_b32_e32 v0, 24, v0
	s_delay_alu instid0(VALU_DEP_2) | instskip(NEXT) | instid1(VALU_DEP_3)
	v_lshlrev_b32_e32 v16, 20, v16
	v_lshl_add_u32 v1, v1, 23, 0x3c000000
	s_delay_alu instid0(VALU_DEP_3) | instskip(NEXT) | instid1(VALU_DEP_1)
	v_and_b32_e32 v0, 0x80000000, v0
	v_or3_b32 v1, v16, v0, v1
.LBB6_5393:                             ;   in Loop: Header=BB6_4515 Depth=2
	s_or_b32 exec_lo, exec_lo, s40
.LBB6_5394:                             ;   in Loop: Header=BB6_4515 Depth=2
	s_delay_alu instid0(SALU_CYCLE_1)
	s_or_b32 exec_lo, exec_lo, s11
.LBB6_5395:                             ;   in Loop: Header=BB6_4515 Depth=2
	s_delay_alu instid0(SALU_CYCLE_1) | instskip(NEXT) | instid1(VALU_DEP_1)
	s_or_b32 exec_lo, exec_lo, s10
	v_mul_f32_e32 v16, s29, v1
                                        ; implicit-def: $vgpr0
	s_mov_b32 s10, exec_lo
	s_delay_alu instid0(VALU_DEP_1) | instskip(SKIP_1) | instid1(VALU_DEP_2)
	v_and_b32_e32 v54, 0x7f800000, v16
	v_lshrrev_b32_e32 v1, 24, v16
	v_cmpx_ne_u64_e32 0x7f800000, v[54:55]
	s_xor_b32 s11, exec_lo, s10
	s_cbranch_execz .LBB6_5413
; %bb.5396:                             ;   in Loop: Header=BB6_4515 Depth=2
	v_and_b32_e32 v54, 0x7fffffff, v16
	v_and_b32_e32 v1, 0x80, v1
                                        ; implicit-def: $vgpr0
	s_mov_b32 s10, exec_lo
	s_delay_alu instid0(VALU_DEP_2)
	v_cmpx_gt_u64_e32 0x43e00001, v[54:55]
	s_xor_b32 s29, exec_lo, s10
	s_cbranch_execz .LBB6_5410
; %bb.5397:                             ;   in Loop: Header=BB6_4515 Depth=2
	v_mov_b32_e32 v0, 0
	s_mov_b32 s40, exec_lo
	v_cmpx_ne_u32_e32 0, v16
	s_cbranch_execz .LBB6_5409
; %bb.5398:                             ;   in Loop: Header=BB6_4515 Depth=2
	v_bfe_u32 v0, v16, 23, 8
	v_and_b32_e32 v18, 0x7fffff, v16
	s_delay_alu instid0(VALU_DEP_2) | instskip(NEXT) | instid1(VALU_DEP_2)
	v_cmp_gt_u32_e32 vcc_lo, 0x7a, v0
	v_or_b32_e32 v19, 0x800000, v18
	v_sub_nc_u32_e32 v17, 0x79, v0
	s_delay_alu instid0(VALU_DEP_1) | instskip(SKIP_1) | instid1(VALU_DEP_2)
	v_cndmask_b32_e32 v17, 0, v17, vcc_lo
	v_cmp_eq_u32_e32 vcc_lo, 0, v0
	v_cndmask_b32_e64 v23, v17, 0x78, vcc_lo
	s_delay_alu instid0(VALU_DEP_1) | instskip(SKIP_1) | instid1(VALU_DEP_2)
	v_dual_cndmask_b32 v54, v19, v18, vcc_lo :: v_dual_add_nc_u32 v16, 20, v23
	v_add_nc_u32_e32 v30, 19, v23
	v_lshlrev_b64_e64 v[16:17], v16, -1
	s_delay_alu instid0(VALU_DEP_2) | instskip(NEXT) | instid1(VALU_DEP_2)
	v_lshlrev_b64_e64 v[18:19], v30, 1
	v_bfi_b32 v117, v17, 0, 0
	s_delay_alu instid0(VALU_DEP_3) | instskip(SKIP_1) | instid1(VALU_DEP_2)
	v_bfi_b32 v116, v16, 0, v54
	v_lshrrev_b64 v[16:17], v23, v[54:55]
	v_cmp_eq_u64_e64 s10, v[116:117], v[18:19]
	s_delay_alu instid0(VALU_DEP_2)
	v_mov_b64_e32 v[18:19], v[16:17]
	s_and_saveexec_b32 s41, s10
; %bb.5399:                             ;   in Loop: Header=BB6_4515 Depth=2
	v_bfe_u32 v54, v16, 20, 1
	s_delay_alu instid0(VALU_DEP_1) | instskip(NEXT) | instid1(VALU_DEP_1)
	v_add_nc_u64_e32 v[18:19], v[16:17], v[54:55]
	v_add_nc_u64_e32 v[18:19], -1, v[18:19]
; %bb.5400:                             ;   in Loop: Header=BB6_4515 Depth=2
	s_or_b32 exec_lo, exec_lo, s41
	v_add_nc_u32_e32 v0, 0xffffff81, v0
	v_lshrrev_b32_e32 v17, 23, v16
	s_mov_b32 s10, exec_lo
	s_delay_alu instid0(VALU_DEP_2) | instskip(NEXT) | instid1(VALU_DEP_1)
	v_cndmask_b32_e64 v0, v0, 0xffffff82, vcc_lo
	v_add3_u32 v0, v23, v0, v17
	v_and_b32_e32 v17, 0xfffff, v18
                                        ; implicit-def: $vgpr18
	s_delay_alu instid0(VALU_DEP_2) | instskip(NEXT) | instid1(VALU_DEP_2)
	v_add_nc_u32_e32 v19, 6, v0
	v_add_nc_u32_e32 v54, v17, v16
                                        ; implicit-def: $vgpr16_vgpr17
	s_delay_alu instid0(VALU_DEP_2)
	v_cmpx_ne_u32_e32 0, v19
	s_xor_b32 s10, exec_lo, s10
; %bb.5401:                             ;   in Loop: Header=BB6_4515 Depth=2
	s_delay_alu instid0(VALU_DEP_2) | instskip(SKIP_1) | instid1(VALU_DEP_1)
	v_cmp_lt_u64_e32 vcc_lo, 0xffffff, v[54:55]
	v_add_nc_u32_e32 v0, 7, v0
	v_cndmask_b32_e32 v18, v19, v0, vcc_lo
	v_cndmask_b32_e64 v0, 0, 1, vcc_lo
	s_delay_alu instid0(VALU_DEP_1)
	v_lshrrev_b64 v[16:17], v0, v[54:55]
; %bb.5402:                             ;   in Loop: Header=BB6_4515 Depth=2
	s_and_not1_saveexec_b32 s10, s10
; %bb.5403:                             ;   in Loop: Header=BB6_4515 Depth=2
	v_mov_b64_e32 v[16:17], v[54:55]
	v_bfe_u32 v18, v54, 23, 1
; %bb.5404:                             ;   in Loop: Header=BB6_4515 Depth=2
	s_or_b32 exec_lo, exec_lo, s10
	s_delay_alu instid0(VALU_DEP_2) | instskip(NEXT) | instid1(VALU_DEP_2)
	v_lshrrev_b64 v[16:17], 20, v[16:17]
	v_cmp_gt_i32_e32 vcc_lo, 16, v18
	v_cmp_ne_u32_e64 s10, 0, v18
                                        ; implicit-def: $vgpr0
	s_delay_alu instid0(VALU_DEP_3) | instskip(NEXT) | instid1(VALU_DEP_1)
	v_dual_cndmask_b32 v17, 0, v17 :: v_dual_cndmask_b32 v16, 7, v16
	v_cmp_ne_u64_e32 vcc_lo, 0, v[16:17]
	s_or_b32 s10, s10, vcc_lo
	s_delay_alu instid0(SALU_CYCLE_1) | instskip(NEXT) | instid1(SALU_CYCLE_1)
	s_and_saveexec_b32 s41, s10
	s_xor_b32 s10, exec_lo, s41
; %bb.5405:                             ;   in Loop: Header=BB6_4515 Depth=2
	v_min_i32_e32 v0, 15, v18
	s_delay_alu instid0(VALU_DEP_1) | instskip(NEXT) | instid1(VALU_DEP_1)
	v_lshl_or_b32 v0, v0, 3, v1
                                        ; implicit-def: $vgpr1
	v_and_or_b32 v0, v16, 7, v0
; %bb.5406:                             ;   in Loop: Header=BB6_4515 Depth=2
	s_and_not1_saveexec_b32 s10, s10
; %bb.5407:                             ;   in Loop: Header=BB6_4515 Depth=2
	v_mov_b32_e32 v0, v1
; %bb.5408:                             ;   in Loop: Header=BB6_4515 Depth=2
	s_or_b32 exec_lo, exec_lo, s10
.LBB6_5409:                             ;   in Loop: Header=BB6_4515 Depth=2
	s_delay_alu instid0(SALU_CYCLE_1)
	s_or_b32 exec_lo, exec_lo, s40
                                        ; implicit-def: $vgpr1
.LBB6_5410:                             ;   in Loop: Header=BB6_4515 Depth=2
	s_and_not1_saveexec_b32 s10, s29
; %bb.5411:                             ;   in Loop: Header=BB6_4515 Depth=2
	v_or_b32_e32 v0, 0x7e, v1
; %bb.5412:                             ;   in Loop: Header=BB6_4515 Depth=2
	s_or_b32 exec_lo, exec_lo, s10
                                        ; implicit-def: $vgpr1
.LBB6_5413:                             ;   in Loop: Header=BB6_4515 Depth=2
	s_and_not1_saveexec_b32 s10, s11
; %bb.5414:                             ;   in Loop: Header=BB6_4515 Depth=2
	v_or_b32_e32 v0, 0x7f, v1
; %bb.5415:                             ;   in Loop: Header=BB6_4515 Depth=2
	s_or_b32 exec_lo, exec_lo, s10
	s_clause 0x1f
	flat_load_u8 v18, v[12:13] th:TH_LOAD_NT
	flat_load_u8 v75, v[12:13] offset:32 th:TH_LOAD_NT
	flat_load_u8 v74, v[12:13] offset:64 th:TH_LOAD_NT
	;; [unrolled: 1-line block ×31, first 2 shown]
	v_and_b32_e32 v16, 0xff, v5
	v_dual_mov_b32 v19, 0 :: v_dual_mov_b32 v76, 0
	s_mov_b32 s10, exec_lo
	s_wait_xcnt 0x0
	s_delay_alu instid0(VALU_DEP_2)
	v_cmpx_ne_u16_e32 0, v16
	s_cbranch_execz .LBB6_5423
; %bb.5416:                             ;   in Loop: Header=BB6_4515 Depth=2
	v_bfrev_b32_e32 v76, 1
	s_mov_b32 s11, exec_lo
	v_cmpx_ne_u16_e32 0x80, v16
	s_cbranch_execz .LBB6_5422
; %bb.5417:                             ;   in Loop: Header=BB6_4515 Depth=2
	v_and_b32_e32 v17, 0x7f, v5
	v_mov_b32_e32 v76, 0x7f800001
	s_mov_b32 s29, exec_lo
	s_delay_alu instid0(VALU_DEP_2)
	v_cmpx_ne_u32_e32 0x7f, v17
	s_cbranch_execz .LBB6_5421
; %bb.5418:                             ;   in Loop: Header=BB6_4515 Depth=2
	v_dual_lshrrev_b32 v76, 3, v17 :: v_dual_bitop2_b32 v54, 7, v16 bitop3:0x40
	v_cmp_gt_u32_e32 vcc_lo, 8, v17
	s_delay_alu instid0(VALU_DEP_2)
	v_mov_b64_e32 v[16:17], v[54:55]
	s_and_saveexec_b32 s40, vcc_lo
; %bb.5419:                             ;   in Loop: Header=BB6_4515 Depth=2
	v_clz_i32_u32_e32 v16, v54
	s_delay_alu instid0(VALU_DEP_1) | instskip(NEXT) | instid1(VALU_DEP_1)
	v_min_u32_e32 v76, 32, v16
	v_subrev_nc_u32_e32 v16, 28, v76
	v_sub_nc_u32_e32 v76, 29, v76
	s_delay_alu instid0(VALU_DEP_2) | instskip(NEXT) | instid1(VALU_DEP_1)
	v_lshlrev_b64_e32 v[16:17], v16, v[54:55]
	v_and_b32_e32 v16, 7, v16
; %bb.5420:                             ;   in Loop: Header=BB6_4515 Depth=2
	s_or_b32 exec_lo, exec_lo, s40
	s_delay_alu instid0(VALU_DEP_1) | instskip(SKIP_1) | instid1(VALU_DEP_2)
	v_dual_lshlrev_b32 v5, 24, v5 :: v_dual_lshlrev_b32 v16, 20, v16
	v_lshl_add_u32 v17, v76, 23, 0x3c000000
	v_and_b32_e32 v5, 0x80000000, v5
	s_delay_alu instid0(VALU_DEP_1)
	v_or3_b32 v76, v16, v5, v17
.LBB6_5421:                             ;   in Loop: Header=BB6_4515 Depth=2
	s_or_b32 exec_lo, exec_lo, s29
.LBB6_5422:                             ;   in Loop: Header=BB6_4515 Depth=2
	s_delay_alu instid0(SALU_CYCLE_1)
	s_or_b32 exec_lo, exec_lo, s11
.LBB6_5423:                             ;   in Loop: Header=BB6_4515 Depth=2
	s_delay_alu instid0(SALU_CYCLE_1) | instskip(SKIP_3) | instid1(VALU_DEP_1)
	s_or_b32 exec_lo, exec_lo, s10
	s_wait_loadcnt_dscnt 0x1f1f
	v_and_b32_e32 v5, 0xff, v18
	s_mov_b32 s10, exec_lo
	v_cmpx_ne_u16_e32 0, v5
	s_cbranch_execz .LBB6_5431
; %bb.5424:                             ;   in Loop: Header=BB6_4515 Depth=2
	v_bfrev_b32_e32 v19, 1
	s_mov_b32 s11, exec_lo
	v_cmpx_ne_u16_e32 0x80, v5
	s_cbranch_execz .LBB6_5430
; %bb.5425:                             ;   in Loop: Header=BB6_4515 Depth=2
	v_and_b32_e32 v16, 0x7f, v18
	v_mov_b32_e32 v19, 0x7f800001
	s_mov_b32 s29, exec_lo
	s_delay_alu instid0(VALU_DEP_2)
	v_cmpx_ne_u32_e32 0x7f, v16
	s_cbranch_execz .LBB6_5429
; %bb.5426:                             ;   in Loop: Header=BB6_4515 Depth=2
	v_dual_lshrrev_b32 v5, 3, v16 :: v_dual_bitop2_b32 v54, 7, v5 bitop3:0x40
	v_cmp_gt_u32_e32 vcc_lo, 8, v16
	s_delay_alu instid0(VALU_DEP_2)
	v_mov_b64_e32 v[16:17], v[54:55]
	s_and_saveexec_b32 s40, vcc_lo
; %bb.5427:                             ;   in Loop: Header=BB6_4515 Depth=2
	v_clz_i32_u32_e32 v5, v54
	s_delay_alu instid0(VALU_DEP_1) | instskip(NEXT) | instid1(VALU_DEP_1)
	v_min_u32_e32 v5, 32, v5
	v_subrev_nc_u32_e32 v16, 28, v5
	s_delay_alu instid0(VALU_DEP_1) | instskip(NEXT) | instid1(VALU_DEP_1)
	v_lshlrev_b64_e32 v[16:17], v16, v[54:55]
	v_dual_sub_nc_u32 v5, 29, v5 :: v_dual_bitop2_b32 v16, 7, v16 bitop3:0x40
; %bb.5428:                             ;   in Loop: Header=BB6_4515 Depth=2
	s_or_b32 exec_lo, exec_lo, s40
	s_delay_alu instid0(VALU_DEP_1) | instskip(NEXT) | instid1(VALU_DEP_2)
	v_dual_lshlrev_b32 v17, 24, v18 :: v_dual_lshlrev_b32 v16, 20, v16
	v_lshl_add_u32 v5, v5, 23, 0x3c000000
	s_delay_alu instid0(VALU_DEP_2) | instskip(NEXT) | instid1(VALU_DEP_1)
	v_and_b32_e32 v17, 0x80000000, v17
	v_or3_b32 v19, v16, v17, v5
.LBB6_5429:                             ;   in Loop: Header=BB6_4515 Depth=2
	s_or_b32 exec_lo, exec_lo, s29
.LBB6_5430:                             ;   in Loop: Header=BB6_4515 Depth=2
	s_delay_alu instid0(SALU_CYCLE_1)
	s_or_b32 exec_lo, exec_lo, s11
.LBB6_5431:                             ;   in Loop: Header=BB6_4515 Depth=2
	s_delay_alu instid0(SALU_CYCLE_1) | instskip(NEXT) | instid1(VALU_DEP_1)
	s_or_b32 exec_lo, exec_lo, s10
	v_add_f32_e32 v16, v76, v19
                                        ; implicit-def: $vgpr5
	s_mov_b32 s10, exec_lo
	s_delay_alu instid0(VALU_DEP_1) | instskip(SKIP_1) | instid1(VALU_DEP_2)
	v_and_b32_e32 v54, 0x7f800000, v16
	v_lshrrev_b32_e32 v17, 24, v16
	v_cmpx_ne_u64_e32 0x7f800000, v[54:55]
	s_xor_b32 s11, exec_lo, s10
	s_cbranch_execz .LBB6_5449
; %bb.5432:                             ;   in Loop: Header=BB6_4515 Depth=2
	v_and_b32_e32 v54, 0x7fffffff, v16
	v_and_b32_e32 v76, 0x80, v17
                                        ; implicit-def: $vgpr5
	s_mov_b32 s10, exec_lo
	s_delay_alu instid0(VALU_DEP_2)
	v_cmpx_gt_u64_e32 0x43e00001, v[54:55]
	s_xor_b32 s29, exec_lo, s10
	s_cbranch_execz .LBB6_5446
; %bb.5433:                             ;   in Loop: Header=BB6_4515 Depth=2
	v_mov_b32_e32 v5, 0
	s_mov_b32 s40, exec_lo
	v_cmpx_ne_u32_e32 0, v16
	s_cbranch_execz .LBB6_5445
; %bb.5434:                             ;   in Loop: Header=BB6_4515 Depth=2
	v_bfe_u32 v5, v16, 23, 8
	v_and_b32_e32 v17, 0x7fffff, v16
	s_delay_alu instid0(VALU_DEP_2) | instskip(SKIP_2) | instid1(VALU_DEP_4)
	v_cmp_gt_u32_e64 s10, 0x7a, v5
	v_sub_nc_u32_e32 v16, 0x79, v5
	v_cmp_eq_u32_e32 vcc_lo, 0, v5
	v_or_b32_e32 v18, 0x800000, v17
	s_delay_alu instid0(VALU_DEP_1) | instskip(NEXT) | instid1(VALU_DEP_1)
	v_dual_cndmask_b32 v16, 0, v16, s10 :: v_dual_cndmask_b32 v54, v18, v17, vcc_lo
	v_cndmask_b32_e64 v77, v16, 0x78, vcc_lo
	s_delay_alu instid0(VALU_DEP_1) | instskip(NEXT) | instid1(VALU_DEP_1)
	v_dual_add_nc_u32 v16, 20, v77 :: v_dual_add_nc_u32 v18, 19, v77
	v_lshlrev_b64_e64 v[16:17], v16, -1
	s_delay_alu instid0(VALU_DEP_2) | instskip(NEXT) | instid1(VALU_DEP_2)
	v_lshlrev_b64_e64 v[18:19], v18, 1
	v_bfi_b32 v17, v17, 0, 0
	s_delay_alu instid0(VALU_DEP_3) | instskip(NEXT) | instid1(VALU_DEP_1)
	v_bfi_b32 v16, v16, 0, v54
	v_cmp_eq_u64_e64 s10, v[16:17], v[18:19]
	v_lshrrev_b64 v[16:17], v77, v[54:55]
	s_delay_alu instid0(VALU_DEP_1)
	v_mov_b64_e32 v[18:19], v[16:17]
	s_and_saveexec_b32 s41, s10
; %bb.5435:                             ;   in Loop: Header=BB6_4515 Depth=2
	v_bfe_u32 v54, v16, 20, 1
	s_delay_alu instid0(VALU_DEP_1) | instskip(NEXT) | instid1(VALU_DEP_1)
	v_add_nc_u64_e32 v[18:19], v[16:17], v[54:55]
	v_add_nc_u64_e32 v[18:19], -1, v[18:19]
; %bb.5436:                             ;   in Loop: Header=BB6_4515 Depth=2
	s_or_b32 exec_lo, exec_lo, s41
	v_add_nc_u32_e32 v5, 0xffffff81, v5
	v_lshrrev_b32_e32 v17, 23, v16
	s_mov_b32 s10, exec_lo
	s_delay_alu instid0(VALU_DEP_2) | instskip(NEXT) | instid1(VALU_DEP_1)
	v_cndmask_b32_e64 v5, v5, 0xffffff82, vcc_lo
	v_add3_u32 v19, v77, v5, v17
	v_and_b32_e32 v17, 0xfffff, v18
                                        ; implicit-def: $vgpr18
	s_delay_alu instid0(VALU_DEP_1) | instskip(NEXT) | instid1(VALU_DEP_1)
	v_dual_add_nc_u32 v5, 6, v19 :: v_dual_add_nc_u32 v54, v17, v16
                                        ; implicit-def: $vgpr16_vgpr17
	v_cmpx_ne_u32_e32 0, v5
	s_xor_b32 s10, exec_lo, s10
; %bb.5437:                             ;   in Loop: Header=BB6_4515 Depth=2
	s_delay_alu instid0(VALU_DEP_2) | instskip(SKIP_1) | instid1(VALU_DEP_1)
	v_cmp_lt_u64_e32 vcc_lo, 0xffffff, v[54:55]
	v_add_nc_u32_e32 v16, 7, v19
	v_cndmask_b32_e32 v18, v5, v16, vcc_lo
	v_cndmask_b32_e64 v5, 0, 1, vcc_lo
	s_delay_alu instid0(VALU_DEP_1)
	v_lshrrev_b64 v[16:17], v5, v[54:55]
; %bb.5438:                             ;   in Loop: Header=BB6_4515 Depth=2
	s_and_not1_saveexec_b32 s10, s10
; %bb.5439:                             ;   in Loop: Header=BB6_4515 Depth=2
	v_mov_b64_e32 v[16:17], v[54:55]
	v_bfe_u32 v18, v54, 23, 1
; %bb.5440:                             ;   in Loop: Header=BB6_4515 Depth=2
	s_or_b32 exec_lo, exec_lo, s10
	s_delay_alu instid0(VALU_DEP_2) | instskip(NEXT) | instid1(VALU_DEP_2)
	v_lshrrev_b64 v[16:17], 20, v[16:17]
	v_cmp_gt_i32_e32 vcc_lo, 16, v18
	v_cmp_ne_u32_e64 s10, 0, v18
                                        ; implicit-def: $vgpr5
	s_delay_alu instid0(VALU_DEP_3) | instskip(NEXT) | instid1(VALU_DEP_1)
	v_dual_cndmask_b32 v17, 0, v17 :: v_dual_cndmask_b32 v16, 7, v16
	v_cmp_ne_u64_e32 vcc_lo, 0, v[16:17]
	s_or_b32 s10, s10, vcc_lo
	s_delay_alu instid0(SALU_CYCLE_1) | instskip(NEXT) | instid1(SALU_CYCLE_1)
	s_and_saveexec_b32 s41, s10
	s_xor_b32 s10, exec_lo, s41
; %bb.5441:                             ;   in Loop: Header=BB6_4515 Depth=2
	v_min_i32_e32 v5, 15, v18
	s_delay_alu instid0(VALU_DEP_1) | instskip(NEXT) | instid1(VALU_DEP_1)
	v_lshl_or_b32 v5, v5, 3, v76
                                        ; implicit-def: $vgpr76
	v_and_or_b32 v5, v16, 7, v5
; %bb.5442:                             ;   in Loop: Header=BB6_4515 Depth=2
	s_and_not1_saveexec_b32 s10, s10
; %bb.5443:                             ;   in Loop: Header=BB6_4515 Depth=2
	v_mov_b32_e32 v5, v76
; %bb.5444:                             ;   in Loop: Header=BB6_4515 Depth=2
	s_or_b32 exec_lo, exec_lo, s10
.LBB6_5445:                             ;   in Loop: Header=BB6_4515 Depth=2
	s_delay_alu instid0(SALU_CYCLE_1)
	s_or_b32 exec_lo, exec_lo, s40
                                        ; implicit-def: $vgpr76
.LBB6_5446:                             ;   in Loop: Header=BB6_4515 Depth=2
	s_and_not1_saveexec_b32 s10, s29
; %bb.5447:                             ;   in Loop: Header=BB6_4515 Depth=2
	v_or_b32_e32 v5, 0x7e, v76
; %bb.5448:                             ;   in Loop: Header=BB6_4515 Depth=2
	s_or_b32 exec_lo, exec_lo, s10
                                        ; implicit-def: $vgpr17
.LBB6_5449:                             ;   in Loop: Header=BB6_4515 Depth=2
	s_and_not1_saveexec_b32 s10, s11
; %bb.5450:                             ;   in Loop: Header=BB6_4515 Depth=2
	v_or_b32_e32 v5, 0x7f, v17
; %bb.5451:                             ;   in Loop: Header=BB6_4515 Depth=2
	s_or_b32 exec_lo, exec_lo, s10
	v_and_b32_e32 v16, 0xff, v26
	v_dual_mov_b32 v18, 0 :: v_dual_mov_b32 v19, 0
	s_mov_b32 s10, exec_lo
	s_delay_alu instid0(VALU_DEP_2)
	v_cmpx_ne_u16_e32 0, v16
	s_cbranch_execz .LBB6_5459
; %bb.5452:                             ;   in Loop: Header=BB6_4515 Depth=2
	v_bfrev_b32_e32 v19, 1
	s_mov_b32 s11, exec_lo
	v_cmpx_ne_u16_e32 0x80, v16
	s_cbranch_execz .LBB6_5458
; %bb.5453:                             ;   in Loop: Header=BB6_4515 Depth=2
	v_and_b32_e32 v17, 0x7f, v26
	v_mov_b32_e32 v19, 0x7f800001
	s_mov_b32 s29, exec_lo
	s_delay_alu instid0(VALU_DEP_2)
	v_cmpx_ne_u32_e32 0x7f, v17
	s_cbranch_execz .LBB6_5457
; %bb.5454:                             ;   in Loop: Header=BB6_4515 Depth=2
	v_dual_lshrrev_b32 v19, 3, v17 :: v_dual_bitop2_b32 v54, 7, v16 bitop3:0x40
	v_cmp_gt_u32_e32 vcc_lo, 8, v17
	s_delay_alu instid0(VALU_DEP_2)
	v_mov_b64_e32 v[16:17], v[54:55]
	s_and_saveexec_b32 s40, vcc_lo
; %bb.5455:                             ;   in Loop: Header=BB6_4515 Depth=2
	v_clz_i32_u32_e32 v16, v54
	s_delay_alu instid0(VALU_DEP_1) | instskip(NEXT) | instid1(VALU_DEP_1)
	v_min_u32_e32 v19, 32, v16
	v_subrev_nc_u32_e32 v16, 28, v19
	s_delay_alu instid0(VALU_DEP_1) | instskip(NEXT) | instid1(VALU_DEP_1)
	v_lshlrev_b64_e32 v[16:17], v16, v[54:55]
	v_dual_sub_nc_u32 v19, 29, v19 :: v_dual_bitop2_b32 v16, 7, v16 bitop3:0x40
; %bb.5456:                             ;   in Loop: Header=BB6_4515 Depth=2
	s_or_b32 exec_lo, exec_lo, s40
	s_delay_alu instid0(VALU_DEP_1) | instskip(NEXT) | instid1(VALU_DEP_2)
	v_dual_lshlrev_b32 v17, 24, v26 :: v_dual_lshlrev_b32 v16, 20, v16
	v_lshl_add_u32 v19, v19, 23, 0x3c000000
	s_delay_alu instid0(VALU_DEP_2) | instskip(NEXT) | instid1(VALU_DEP_1)
	v_and_b32_e32 v17, 0x80000000, v17
	v_or3_b32 v19, v16, v17, v19
.LBB6_5457:                             ;   in Loop: Header=BB6_4515 Depth=2
	s_or_b32 exec_lo, exec_lo, s29
.LBB6_5458:                             ;   in Loop: Header=BB6_4515 Depth=2
	s_delay_alu instid0(SALU_CYCLE_1)
	s_or_b32 exec_lo, exec_lo, s11
.LBB6_5459:                             ;   in Loop: Header=BB6_4515 Depth=2
	s_delay_alu instid0(SALU_CYCLE_1) | instskip(SKIP_3) | instid1(VALU_DEP_1)
	s_or_b32 exec_lo, exec_lo, s10
	s_wait_loadcnt_dscnt 0x1e1e
	v_and_b32_e32 v16, 0xff, v75
	s_mov_b32 s10, exec_lo
	v_cmpx_ne_u16_e32 0, v16
	s_cbranch_execz .LBB6_5467
; %bb.5460:                             ;   in Loop: Header=BB6_4515 Depth=2
	v_bfrev_b32_e32 v18, 1
	s_mov_b32 s11, exec_lo
	v_cmpx_ne_u16_e32 0x80, v16
	s_cbranch_execz .LBB6_5466
; %bb.5461:                             ;   in Loop: Header=BB6_4515 Depth=2
	v_and_b32_e32 v17, 0x7f, v75
	v_mov_b32_e32 v18, 0x7f800001
	s_mov_b32 s29, exec_lo
	s_delay_alu instid0(VALU_DEP_2)
	v_cmpx_ne_u32_e32 0x7f, v17
	s_cbranch_execz .LBB6_5465
; %bb.5462:                             ;   in Loop: Header=BB6_4515 Depth=2
	v_dual_lshrrev_b32 v18, 3, v17 :: v_dual_bitop2_b32 v54, 7, v16 bitop3:0x40
	v_cmp_gt_u32_e32 vcc_lo, 8, v17
	s_delay_alu instid0(VALU_DEP_2)
	v_mov_b64_e32 v[16:17], v[54:55]
	s_and_saveexec_b32 s40, vcc_lo
; %bb.5463:                             ;   in Loop: Header=BB6_4515 Depth=2
	v_clz_i32_u32_e32 v16, v54
	s_delay_alu instid0(VALU_DEP_1) | instskip(NEXT) | instid1(VALU_DEP_1)
	v_min_u32_e32 v18, 32, v16
	v_subrev_nc_u32_e32 v16, 28, v18
	s_delay_alu instid0(VALU_DEP_1) | instskip(NEXT) | instid1(VALU_DEP_1)
	v_lshlrev_b64_e32 v[16:17], v16, v[54:55]
	v_dual_sub_nc_u32 v18, 29, v18 :: v_dual_bitop2_b32 v16, 7, v16 bitop3:0x40
; %bb.5464:                             ;   in Loop: Header=BB6_4515 Depth=2
	s_or_b32 exec_lo, exec_lo, s40
	s_delay_alu instid0(VALU_DEP_1) | instskip(NEXT) | instid1(VALU_DEP_2)
	v_dual_lshlrev_b32 v17, 24, v75 :: v_dual_lshlrev_b32 v16, 20, v16
	v_lshl_add_u32 v18, v18, 23, 0x3c000000
	s_delay_alu instid0(VALU_DEP_2) | instskip(NEXT) | instid1(VALU_DEP_1)
	v_and_b32_e32 v17, 0x80000000, v17
	v_or3_b32 v18, v16, v17, v18
.LBB6_5465:                             ;   in Loop: Header=BB6_4515 Depth=2
	s_or_b32 exec_lo, exec_lo, s29
.LBB6_5466:                             ;   in Loop: Header=BB6_4515 Depth=2
	s_delay_alu instid0(SALU_CYCLE_1)
	s_or_b32 exec_lo, exec_lo, s11
.LBB6_5467:                             ;   in Loop: Header=BB6_4515 Depth=2
	s_delay_alu instid0(SALU_CYCLE_1) | instskip(NEXT) | instid1(VALU_DEP_1)
	s_or_b32 exec_lo, exec_lo, s10
	v_add_f32_e32 v16, v19, v18
                                        ; implicit-def: $vgpr26
	s_mov_b32 s10, exec_lo
	s_delay_alu instid0(VALU_DEP_1) | instskip(SKIP_1) | instid1(VALU_DEP_2)
	v_and_b32_e32 v54, 0x7f800000, v16
	v_lshrrev_b32_e32 v17, 24, v16
	v_cmpx_ne_u64_e32 0x7f800000, v[54:55]
	s_xor_b32 s11, exec_lo, s10
	s_cbranch_execz .LBB6_5485
; %bb.5468:                             ;   in Loop: Header=BB6_4515 Depth=2
	v_and_b32_e32 v54, 0x7fffffff, v16
	v_and_b32_e32 v75, 0x80, v17
                                        ; implicit-def: $vgpr26
	s_mov_b32 s10, exec_lo
	s_delay_alu instid0(VALU_DEP_2)
	v_cmpx_gt_u64_e32 0x43e00001, v[54:55]
	s_xor_b32 s29, exec_lo, s10
	s_cbranch_execz .LBB6_5482
; %bb.5469:                             ;   in Loop: Header=BB6_4515 Depth=2
	v_mov_b32_e32 v26, 0
	s_mov_b32 s40, exec_lo
	v_cmpx_ne_u32_e32 0, v16
	s_cbranch_execz .LBB6_5481
; %bb.5470:                             ;   in Loop: Header=BB6_4515 Depth=2
	v_bfe_u32 v26, v16, 23, 8
	v_and_b32_e32 v17, 0x7fffff, v16
	s_delay_alu instid0(VALU_DEP_2) | instskip(SKIP_2) | instid1(VALU_DEP_4)
	v_cmp_gt_u32_e64 s10, 0x7a, v26
	v_sub_nc_u32_e32 v16, 0x79, v26
	v_cmp_eq_u32_e32 vcc_lo, 0, v26
	v_or_b32_e32 v18, 0x800000, v17
	s_delay_alu instid0(VALU_DEP_1) | instskip(NEXT) | instid1(VALU_DEP_1)
	v_dual_cndmask_b32 v16, 0, v16, s10 :: v_dual_cndmask_b32 v54, v18, v17, vcc_lo
	v_cndmask_b32_e64 v76, v16, 0x78, vcc_lo
	s_delay_alu instid0(VALU_DEP_1) | instskip(NEXT) | instid1(VALU_DEP_1)
	v_dual_add_nc_u32 v16, 20, v76 :: v_dual_add_nc_u32 v18, 19, v76
	v_lshlrev_b64_e64 v[16:17], v16, -1
	s_delay_alu instid0(VALU_DEP_2) | instskip(NEXT) | instid1(VALU_DEP_2)
	v_lshlrev_b64_e64 v[18:19], v18, 1
	v_bfi_b32 v17, v17, 0, 0
	s_delay_alu instid0(VALU_DEP_3) | instskip(NEXT) | instid1(VALU_DEP_1)
	v_bfi_b32 v16, v16, 0, v54
	v_cmp_eq_u64_e64 s10, v[16:17], v[18:19]
	v_lshrrev_b64 v[16:17], v76, v[54:55]
	s_delay_alu instid0(VALU_DEP_1)
	v_mov_b64_e32 v[18:19], v[16:17]
	s_and_saveexec_b32 s41, s10
; %bb.5471:                             ;   in Loop: Header=BB6_4515 Depth=2
	v_bfe_u32 v54, v16, 20, 1
	s_delay_alu instid0(VALU_DEP_1) | instskip(NEXT) | instid1(VALU_DEP_1)
	v_add_nc_u64_e32 v[18:19], v[16:17], v[54:55]
	v_add_nc_u64_e32 v[18:19], -1, v[18:19]
; %bb.5472:                             ;   in Loop: Header=BB6_4515 Depth=2
	s_or_b32 exec_lo, exec_lo, s41
	v_add_nc_u32_e32 v17, 0xffffff81, v26
	v_lshrrev_b32_e32 v19, 23, v16
	s_mov_b32 s10, exec_lo
	s_delay_alu instid0(VALU_DEP_2) | instskip(NEXT) | instid1(VALU_DEP_1)
	v_cndmask_b32_e64 v17, v17, 0xffffff82, vcc_lo
	v_add3_u32 v26, v76, v17, v19
	v_and_b32_e32 v17, 0xfffff, v18
                                        ; implicit-def: $vgpr18
	s_delay_alu instid0(VALU_DEP_1) | instskip(NEXT) | instid1(VALU_DEP_1)
	v_dual_add_nc_u32 v19, 6, v26 :: v_dual_add_nc_u32 v54, v17, v16
                                        ; implicit-def: $vgpr16_vgpr17
	v_cmpx_ne_u32_e32 0, v19
	s_xor_b32 s10, exec_lo, s10
; %bb.5473:                             ;   in Loop: Header=BB6_4515 Depth=2
	s_delay_alu instid0(VALU_DEP_2) | instskip(SKIP_1) | instid1(VALU_DEP_1)
	v_cmp_lt_u64_e32 vcc_lo, 0xffffff, v[54:55]
	v_add_nc_u32_e32 v16, 7, v26
	v_cndmask_b32_e32 v18, v19, v16, vcc_lo
	v_cndmask_b32_e64 v16, 0, 1, vcc_lo
	s_delay_alu instid0(VALU_DEP_1)
	v_lshrrev_b64 v[16:17], v16, v[54:55]
; %bb.5474:                             ;   in Loop: Header=BB6_4515 Depth=2
	s_and_not1_saveexec_b32 s10, s10
; %bb.5475:                             ;   in Loop: Header=BB6_4515 Depth=2
	v_mov_b64_e32 v[16:17], v[54:55]
	v_bfe_u32 v18, v54, 23, 1
; %bb.5476:                             ;   in Loop: Header=BB6_4515 Depth=2
	s_or_b32 exec_lo, exec_lo, s10
	s_delay_alu instid0(VALU_DEP_2) | instskip(NEXT) | instid1(VALU_DEP_2)
	v_lshrrev_b64 v[16:17], 20, v[16:17]
	v_cmp_gt_i32_e32 vcc_lo, 16, v18
	v_cmp_ne_u32_e64 s10, 0, v18
                                        ; implicit-def: $vgpr26
	s_delay_alu instid0(VALU_DEP_3) | instskip(NEXT) | instid1(VALU_DEP_1)
	v_dual_cndmask_b32 v17, 0, v17 :: v_dual_cndmask_b32 v16, 7, v16
	v_cmp_ne_u64_e32 vcc_lo, 0, v[16:17]
	s_or_b32 s10, s10, vcc_lo
	s_delay_alu instid0(SALU_CYCLE_1) | instskip(NEXT) | instid1(SALU_CYCLE_1)
	s_and_saveexec_b32 s41, s10
	s_xor_b32 s10, exec_lo, s41
; %bb.5477:                             ;   in Loop: Header=BB6_4515 Depth=2
	v_min_i32_e32 v17, 15, v18
	s_delay_alu instid0(VALU_DEP_1) | instskip(NEXT) | instid1(VALU_DEP_1)
	v_lshl_or_b32 v17, v17, 3, v75
                                        ; implicit-def: $vgpr75
	v_and_or_b32 v26, v16, 7, v17
; %bb.5478:                             ;   in Loop: Header=BB6_4515 Depth=2
	s_and_not1_saveexec_b32 s10, s10
; %bb.5479:                             ;   in Loop: Header=BB6_4515 Depth=2
	v_mov_b32_e32 v26, v75
; %bb.5480:                             ;   in Loop: Header=BB6_4515 Depth=2
	s_or_b32 exec_lo, exec_lo, s10
.LBB6_5481:                             ;   in Loop: Header=BB6_4515 Depth=2
	s_delay_alu instid0(SALU_CYCLE_1)
	s_or_b32 exec_lo, exec_lo, s40
                                        ; implicit-def: $vgpr75
.LBB6_5482:                             ;   in Loop: Header=BB6_4515 Depth=2
	s_and_not1_saveexec_b32 s10, s29
; %bb.5483:                             ;   in Loop: Header=BB6_4515 Depth=2
	v_or_b32_e32 v26, 0x7e, v75
; %bb.5484:                             ;   in Loop: Header=BB6_4515 Depth=2
	s_or_b32 exec_lo, exec_lo, s10
                                        ; implicit-def: $vgpr17
.LBB6_5485:                             ;   in Loop: Header=BB6_4515 Depth=2
	s_and_not1_saveexec_b32 s10, s11
; %bb.5486:                             ;   in Loop: Header=BB6_4515 Depth=2
	v_or_b32_e32 v26, 0x7f, v17
; %bb.5487:                             ;   in Loop: Header=BB6_4515 Depth=2
	s_or_b32 exec_lo, exec_lo, s10
	v_and_b32_e32 v16, 0xff, v36
	v_dual_mov_b32 v18, 0 :: v_dual_mov_b32 v19, 0
	s_mov_b32 s10, exec_lo
	s_delay_alu instid0(VALU_DEP_2)
	v_cmpx_ne_u16_e32 0, v16
	s_cbranch_execz .LBB6_5495
; %bb.5488:                             ;   in Loop: Header=BB6_4515 Depth=2
	v_bfrev_b32_e32 v19, 1
	s_mov_b32 s11, exec_lo
	v_cmpx_ne_u16_e32 0x80, v16
	s_cbranch_execz .LBB6_5494
; %bb.5489:                             ;   in Loop: Header=BB6_4515 Depth=2
	v_and_b32_e32 v17, 0x7f, v36
	v_mov_b32_e32 v19, 0x7f800001
	s_mov_b32 s29, exec_lo
	s_delay_alu instid0(VALU_DEP_2)
	v_cmpx_ne_u32_e32 0x7f, v17
	s_cbranch_execz .LBB6_5493
; %bb.5490:                             ;   in Loop: Header=BB6_4515 Depth=2
	v_dual_lshrrev_b32 v19, 3, v17 :: v_dual_bitop2_b32 v54, 7, v16 bitop3:0x40
	v_cmp_gt_u32_e32 vcc_lo, 8, v17
	s_delay_alu instid0(VALU_DEP_2)
	v_mov_b64_e32 v[16:17], v[54:55]
	s_and_saveexec_b32 s40, vcc_lo
; %bb.5491:                             ;   in Loop: Header=BB6_4515 Depth=2
	v_clz_i32_u32_e32 v16, v54
	s_delay_alu instid0(VALU_DEP_1) | instskip(NEXT) | instid1(VALU_DEP_1)
	v_min_u32_e32 v19, 32, v16
	v_subrev_nc_u32_e32 v16, 28, v19
	s_delay_alu instid0(VALU_DEP_1) | instskip(NEXT) | instid1(VALU_DEP_1)
	v_lshlrev_b64_e32 v[16:17], v16, v[54:55]
	v_dual_sub_nc_u32 v19, 29, v19 :: v_dual_bitop2_b32 v16, 7, v16 bitop3:0x40
; %bb.5492:                             ;   in Loop: Header=BB6_4515 Depth=2
	s_or_b32 exec_lo, exec_lo, s40
	v_lshlrev_b32_e32 v17, 24, v36
	s_delay_alu instid0(VALU_DEP_2) | instskip(NEXT) | instid1(VALU_DEP_3)
	v_lshlrev_b32_e32 v16, 20, v16
	v_lshl_add_u32 v19, v19, 23, 0x3c000000
	s_delay_alu instid0(VALU_DEP_3) | instskip(NEXT) | instid1(VALU_DEP_1)
	v_and_b32_e32 v17, 0x80000000, v17
	v_or3_b32 v19, v16, v17, v19
.LBB6_5493:                             ;   in Loop: Header=BB6_4515 Depth=2
	s_or_b32 exec_lo, exec_lo, s29
.LBB6_5494:                             ;   in Loop: Header=BB6_4515 Depth=2
	s_delay_alu instid0(SALU_CYCLE_1)
	s_or_b32 exec_lo, exec_lo, s11
.LBB6_5495:                             ;   in Loop: Header=BB6_4515 Depth=2
	s_delay_alu instid0(SALU_CYCLE_1) | instskip(SKIP_3) | instid1(VALU_DEP_1)
	s_or_b32 exec_lo, exec_lo, s10
	s_wait_loadcnt_dscnt 0x1d1d
	v_and_b32_e32 v16, 0xff, v74
	s_mov_b32 s10, exec_lo
	v_cmpx_ne_u16_e32 0, v16
	s_cbranch_execz .LBB6_5503
; %bb.5496:                             ;   in Loop: Header=BB6_4515 Depth=2
	v_bfrev_b32_e32 v18, 1
	s_mov_b32 s11, exec_lo
	v_cmpx_ne_u16_e32 0x80, v16
	s_cbranch_execz .LBB6_5502
; %bb.5497:                             ;   in Loop: Header=BB6_4515 Depth=2
	v_and_b32_e32 v17, 0x7f, v74
	v_mov_b32_e32 v18, 0x7f800001
	s_mov_b32 s29, exec_lo
	s_delay_alu instid0(VALU_DEP_2)
	v_cmpx_ne_u32_e32 0x7f, v17
	s_cbranch_execz .LBB6_5501
; %bb.5498:                             ;   in Loop: Header=BB6_4515 Depth=2
	v_dual_lshrrev_b32 v18, 3, v17 :: v_dual_bitop2_b32 v54, 7, v16 bitop3:0x40
	v_cmp_gt_u32_e32 vcc_lo, 8, v17
	s_delay_alu instid0(VALU_DEP_2)
	v_mov_b64_e32 v[16:17], v[54:55]
	s_and_saveexec_b32 s40, vcc_lo
; %bb.5499:                             ;   in Loop: Header=BB6_4515 Depth=2
	v_clz_i32_u32_e32 v16, v54
	s_delay_alu instid0(VALU_DEP_1) | instskip(NEXT) | instid1(VALU_DEP_1)
	v_min_u32_e32 v18, 32, v16
	v_subrev_nc_u32_e32 v16, 28, v18
	s_delay_alu instid0(VALU_DEP_1) | instskip(NEXT) | instid1(VALU_DEP_1)
	v_lshlrev_b64_e32 v[16:17], v16, v[54:55]
	v_dual_sub_nc_u32 v18, 29, v18 :: v_dual_bitop2_b32 v16, 7, v16 bitop3:0x40
; %bb.5500:                             ;   in Loop: Header=BB6_4515 Depth=2
	s_or_b32 exec_lo, exec_lo, s40
	s_delay_alu instid0(VALU_DEP_1) | instskip(NEXT) | instid1(VALU_DEP_2)
	v_dual_lshlrev_b32 v17, 24, v74 :: v_dual_lshlrev_b32 v16, 20, v16
	v_lshl_add_u32 v18, v18, 23, 0x3c000000
	s_delay_alu instid0(VALU_DEP_2) | instskip(NEXT) | instid1(VALU_DEP_1)
	v_and_b32_e32 v17, 0x80000000, v17
	v_or3_b32 v18, v16, v17, v18
.LBB6_5501:                             ;   in Loop: Header=BB6_4515 Depth=2
	s_or_b32 exec_lo, exec_lo, s29
.LBB6_5502:                             ;   in Loop: Header=BB6_4515 Depth=2
	s_delay_alu instid0(SALU_CYCLE_1)
	s_or_b32 exec_lo, exec_lo, s11
.LBB6_5503:                             ;   in Loop: Header=BB6_4515 Depth=2
	s_delay_alu instid0(SALU_CYCLE_1) | instskip(NEXT) | instid1(VALU_DEP_1)
	s_or_b32 exec_lo, exec_lo, s10
	v_add_f32_e32 v16, v19, v18
                                        ; implicit-def: $vgpr36
	s_mov_b32 s10, exec_lo
	s_delay_alu instid0(VALU_DEP_1) | instskip(SKIP_1) | instid1(VALU_DEP_2)
	v_and_b32_e32 v54, 0x7f800000, v16
	v_lshrrev_b32_e32 v17, 24, v16
	v_cmpx_ne_u64_e32 0x7f800000, v[54:55]
	s_xor_b32 s11, exec_lo, s10
	s_cbranch_execz .LBB6_5521
; %bb.5504:                             ;   in Loop: Header=BB6_4515 Depth=2
	v_and_b32_e32 v54, 0x7fffffff, v16
	v_and_b32_e32 v74, 0x80, v17
                                        ; implicit-def: $vgpr36
	s_mov_b32 s10, exec_lo
	s_delay_alu instid0(VALU_DEP_2)
	v_cmpx_gt_u64_e32 0x43e00001, v[54:55]
	s_xor_b32 s29, exec_lo, s10
	s_cbranch_execz .LBB6_5518
; %bb.5505:                             ;   in Loop: Header=BB6_4515 Depth=2
	v_mov_b32_e32 v36, 0
	s_mov_b32 s40, exec_lo
	v_cmpx_ne_u32_e32 0, v16
	s_cbranch_execz .LBB6_5517
; %bb.5506:                             ;   in Loop: Header=BB6_4515 Depth=2
	v_bfe_u32 v36, v16, 23, 8
	v_and_b32_e32 v17, 0x7fffff, v16
	s_delay_alu instid0(VALU_DEP_2) | instskip(SKIP_2) | instid1(VALU_DEP_4)
	v_cmp_gt_u32_e64 s10, 0x7a, v36
	v_sub_nc_u32_e32 v16, 0x79, v36
	v_cmp_eq_u32_e32 vcc_lo, 0, v36
	v_or_b32_e32 v18, 0x800000, v17
	s_delay_alu instid0(VALU_DEP_1) | instskip(NEXT) | instid1(VALU_DEP_1)
	v_dual_cndmask_b32 v16, 0, v16, s10 :: v_dual_cndmask_b32 v54, v18, v17, vcc_lo
	v_cndmask_b32_e64 v75, v16, 0x78, vcc_lo
	s_delay_alu instid0(VALU_DEP_1) | instskip(NEXT) | instid1(VALU_DEP_1)
	v_dual_add_nc_u32 v16, 20, v75 :: v_dual_add_nc_u32 v18, 19, v75
	v_lshlrev_b64_e64 v[16:17], v16, -1
	s_delay_alu instid0(VALU_DEP_2) | instskip(NEXT) | instid1(VALU_DEP_2)
	v_lshlrev_b64_e64 v[18:19], v18, 1
	v_bfi_b32 v17, v17, 0, 0
	s_delay_alu instid0(VALU_DEP_3) | instskip(NEXT) | instid1(VALU_DEP_1)
	v_bfi_b32 v16, v16, 0, v54
	v_cmp_eq_u64_e64 s10, v[16:17], v[18:19]
	v_lshrrev_b64 v[16:17], v75, v[54:55]
	s_delay_alu instid0(VALU_DEP_1)
	v_mov_b64_e32 v[18:19], v[16:17]
	s_and_saveexec_b32 s41, s10
; %bb.5507:                             ;   in Loop: Header=BB6_4515 Depth=2
	v_bfe_u32 v54, v16, 20, 1
	s_delay_alu instid0(VALU_DEP_1) | instskip(NEXT) | instid1(VALU_DEP_1)
	v_add_nc_u64_e32 v[18:19], v[16:17], v[54:55]
	v_add_nc_u64_e32 v[18:19], -1, v[18:19]
; %bb.5508:                             ;   in Loop: Header=BB6_4515 Depth=2
	s_or_b32 exec_lo, exec_lo, s41
	v_add_nc_u32_e32 v17, 0xffffff81, v36
	v_lshrrev_b32_e32 v19, 23, v16
	s_mov_b32 s10, exec_lo
	s_delay_alu instid0(VALU_DEP_2) | instskip(NEXT) | instid1(VALU_DEP_1)
	v_cndmask_b32_e64 v17, v17, 0xffffff82, vcc_lo
	v_add3_u32 v36, v75, v17, v19
	v_and_b32_e32 v17, 0xfffff, v18
                                        ; implicit-def: $vgpr18
	s_delay_alu instid0(VALU_DEP_2) | instskip(NEXT) | instid1(VALU_DEP_2)
	v_add_nc_u32_e32 v19, 6, v36
	v_add_nc_u32_e32 v54, v17, v16
                                        ; implicit-def: $vgpr16_vgpr17
	s_delay_alu instid0(VALU_DEP_2)
	v_cmpx_ne_u32_e32 0, v19
	s_xor_b32 s10, exec_lo, s10
; %bb.5509:                             ;   in Loop: Header=BB6_4515 Depth=2
	s_delay_alu instid0(VALU_DEP_2) | instskip(SKIP_1) | instid1(VALU_DEP_1)
	v_cmp_lt_u64_e32 vcc_lo, 0xffffff, v[54:55]
	v_add_nc_u32_e32 v16, 7, v36
	v_cndmask_b32_e32 v18, v19, v16, vcc_lo
	v_cndmask_b32_e64 v16, 0, 1, vcc_lo
	s_delay_alu instid0(VALU_DEP_1)
	v_lshrrev_b64 v[16:17], v16, v[54:55]
; %bb.5510:                             ;   in Loop: Header=BB6_4515 Depth=2
	s_and_not1_saveexec_b32 s10, s10
; %bb.5511:                             ;   in Loop: Header=BB6_4515 Depth=2
	v_mov_b64_e32 v[16:17], v[54:55]
	v_bfe_u32 v18, v54, 23, 1
; %bb.5512:                             ;   in Loop: Header=BB6_4515 Depth=2
	s_or_b32 exec_lo, exec_lo, s10
	s_delay_alu instid0(VALU_DEP_2) | instskip(NEXT) | instid1(VALU_DEP_2)
	v_lshrrev_b64 v[16:17], 20, v[16:17]
	v_cmp_gt_i32_e32 vcc_lo, 16, v18
	v_cmp_ne_u32_e64 s10, 0, v18
                                        ; implicit-def: $vgpr36
	s_delay_alu instid0(VALU_DEP_3) | instskip(NEXT) | instid1(VALU_DEP_1)
	v_dual_cndmask_b32 v17, 0, v17 :: v_dual_cndmask_b32 v16, 7, v16
	v_cmp_ne_u64_e32 vcc_lo, 0, v[16:17]
	s_or_b32 s10, s10, vcc_lo
	s_delay_alu instid0(SALU_CYCLE_1) | instskip(NEXT) | instid1(SALU_CYCLE_1)
	s_and_saveexec_b32 s41, s10
	s_xor_b32 s10, exec_lo, s41
; %bb.5513:                             ;   in Loop: Header=BB6_4515 Depth=2
	v_min_i32_e32 v17, 15, v18
	s_delay_alu instid0(VALU_DEP_1) | instskip(NEXT) | instid1(VALU_DEP_1)
	v_lshl_or_b32 v17, v17, 3, v74
                                        ; implicit-def: $vgpr74
	v_and_or_b32 v36, v16, 7, v17
; %bb.5514:                             ;   in Loop: Header=BB6_4515 Depth=2
	s_and_not1_saveexec_b32 s10, s10
; %bb.5515:                             ;   in Loop: Header=BB6_4515 Depth=2
	v_mov_b32_e32 v36, v74
; %bb.5516:                             ;   in Loop: Header=BB6_4515 Depth=2
	s_or_b32 exec_lo, exec_lo, s10
.LBB6_5517:                             ;   in Loop: Header=BB6_4515 Depth=2
	s_delay_alu instid0(SALU_CYCLE_1)
	s_or_b32 exec_lo, exec_lo, s40
                                        ; implicit-def: $vgpr74
.LBB6_5518:                             ;   in Loop: Header=BB6_4515 Depth=2
	s_and_not1_saveexec_b32 s10, s29
; %bb.5519:                             ;   in Loop: Header=BB6_4515 Depth=2
	v_or_b32_e32 v36, 0x7e, v74
; %bb.5520:                             ;   in Loop: Header=BB6_4515 Depth=2
	s_or_b32 exec_lo, exec_lo, s10
                                        ; implicit-def: $vgpr17
.LBB6_5521:                             ;   in Loop: Header=BB6_4515 Depth=2
	s_and_not1_saveexec_b32 s10, s11
; %bb.5522:                             ;   in Loop: Header=BB6_4515 Depth=2
	v_or_b32_e32 v36, 0x7f, v17
; %bb.5523:                             ;   in Loop: Header=BB6_4515 Depth=2
	s_or_b32 exec_lo, exec_lo, s10
	v_and_b32_e32 v16, 0xff, v53
	v_dual_mov_b32 v18, 0 :: v_dual_mov_b32 v19, 0
	s_mov_b32 s10, exec_lo
	s_delay_alu instid0(VALU_DEP_2)
	v_cmpx_ne_u16_e32 0, v16
	s_cbranch_execz .LBB6_5531
; %bb.5524:                             ;   in Loop: Header=BB6_4515 Depth=2
	v_bfrev_b32_e32 v19, 1
	s_mov_b32 s11, exec_lo
	v_cmpx_ne_u16_e32 0x80, v16
	s_cbranch_execz .LBB6_5530
; %bb.5525:                             ;   in Loop: Header=BB6_4515 Depth=2
	v_and_b32_e32 v17, 0x7f, v53
	v_mov_b32_e32 v19, 0x7f800001
	s_mov_b32 s29, exec_lo
	s_delay_alu instid0(VALU_DEP_2)
	v_cmpx_ne_u32_e32 0x7f, v17
	s_cbranch_execz .LBB6_5529
; %bb.5526:                             ;   in Loop: Header=BB6_4515 Depth=2
	v_dual_lshrrev_b32 v19, 3, v17 :: v_dual_bitop2_b32 v54, 7, v16 bitop3:0x40
	v_cmp_gt_u32_e32 vcc_lo, 8, v17
	s_delay_alu instid0(VALU_DEP_2)
	v_mov_b64_e32 v[16:17], v[54:55]
	s_and_saveexec_b32 s40, vcc_lo
; %bb.5527:                             ;   in Loop: Header=BB6_4515 Depth=2
	v_clz_i32_u32_e32 v16, v54
	s_delay_alu instid0(VALU_DEP_1) | instskip(NEXT) | instid1(VALU_DEP_1)
	v_min_u32_e32 v19, 32, v16
	v_subrev_nc_u32_e32 v16, 28, v19
	s_delay_alu instid0(VALU_DEP_1) | instskip(NEXT) | instid1(VALU_DEP_1)
	v_lshlrev_b64_e32 v[16:17], v16, v[54:55]
	v_dual_sub_nc_u32 v19, 29, v19 :: v_dual_bitop2_b32 v16, 7, v16 bitop3:0x40
; %bb.5528:                             ;   in Loop: Header=BB6_4515 Depth=2
	s_or_b32 exec_lo, exec_lo, s40
	s_delay_alu instid0(VALU_DEP_1) | instskip(NEXT) | instid1(VALU_DEP_2)
	v_dual_lshlrev_b32 v17, 24, v53 :: v_dual_lshlrev_b32 v16, 20, v16
	v_lshl_add_u32 v19, v19, 23, 0x3c000000
	s_delay_alu instid0(VALU_DEP_2) | instskip(NEXT) | instid1(VALU_DEP_1)
	v_and_b32_e32 v17, 0x80000000, v17
	v_or3_b32 v19, v16, v17, v19
.LBB6_5529:                             ;   in Loop: Header=BB6_4515 Depth=2
	s_or_b32 exec_lo, exec_lo, s29
.LBB6_5530:                             ;   in Loop: Header=BB6_4515 Depth=2
	s_delay_alu instid0(SALU_CYCLE_1)
	s_or_b32 exec_lo, exec_lo, s11
.LBB6_5531:                             ;   in Loop: Header=BB6_4515 Depth=2
	s_delay_alu instid0(SALU_CYCLE_1) | instskip(SKIP_3) | instid1(VALU_DEP_1)
	s_or_b32 exec_lo, exec_lo, s10
	s_wait_loadcnt_dscnt 0x1c1c
	v_and_b32_e32 v16, 0xff, v73
	s_mov_b32 s10, exec_lo
	v_cmpx_ne_u16_e32 0, v16
	s_cbranch_execz .LBB6_5539
; %bb.5532:                             ;   in Loop: Header=BB6_4515 Depth=2
	v_bfrev_b32_e32 v18, 1
	s_mov_b32 s11, exec_lo
	v_cmpx_ne_u16_e32 0x80, v16
	s_cbranch_execz .LBB6_5538
; %bb.5533:                             ;   in Loop: Header=BB6_4515 Depth=2
	v_and_b32_e32 v17, 0x7f, v73
	v_mov_b32_e32 v18, 0x7f800001
	s_mov_b32 s29, exec_lo
	s_delay_alu instid0(VALU_DEP_2)
	v_cmpx_ne_u32_e32 0x7f, v17
	s_cbranch_execz .LBB6_5537
; %bb.5534:                             ;   in Loop: Header=BB6_4515 Depth=2
	v_dual_lshrrev_b32 v18, 3, v17 :: v_dual_bitop2_b32 v54, 7, v16 bitop3:0x40
	v_cmp_gt_u32_e32 vcc_lo, 8, v17
	s_delay_alu instid0(VALU_DEP_2)
	v_mov_b64_e32 v[16:17], v[54:55]
	s_and_saveexec_b32 s40, vcc_lo
; %bb.5535:                             ;   in Loop: Header=BB6_4515 Depth=2
	v_clz_i32_u32_e32 v16, v54
	s_delay_alu instid0(VALU_DEP_1) | instskip(NEXT) | instid1(VALU_DEP_1)
	v_min_u32_e32 v18, 32, v16
	v_subrev_nc_u32_e32 v16, 28, v18
	s_delay_alu instid0(VALU_DEP_1) | instskip(NEXT) | instid1(VALU_DEP_1)
	v_lshlrev_b64_e32 v[16:17], v16, v[54:55]
	v_dual_sub_nc_u32 v18, 29, v18 :: v_dual_bitop2_b32 v16, 7, v16 bitop3:0x40
; %bb.5536:                             ;   in Loop: Header=BB6_4515 Depth=2
	s_or_b32 exec_lo, exec_lo, s40
	s_delay_alu instid0(VALU_DEP_1) | instskip(NEXT) | instid1(VALU_DEP_2)
	v_dual_lshlrev_b32 v17, 24, v73 :: v_dual_lshlrev_b32 v16, 20, v16
	v_lshl_add_u32 v18, v18, 23, 0x3c000000
	s_delay_alu instid0(VALU_DEP_2) | instskip(NEXT) | instid1(VALU_DEP_1)
	v_and_b32_e32 v17, 0x80000000, v17
	v_or3_b32 v18, v16, v17, v18
.LBB6_5537:                             ;   in Loop: Header=BB6_4515 Depth=2
	s_or_b32 exec_lo, exec_lo, s29
.LBB6_5538:                             ;   in Loop: Header=BB6_4515 Depth=2
	s_delay_alu instid0(SALU_CYCLE_1)
	s_or_b32 exec_lo, exec_lo, s11
.LBB6_5539:                             ;   in Loop: Header=BB6_4515 Depth=2
	s_delay_alu instid0(SALU_CYCLE_1) | instskip(NEXT) | instid1(VALU_DEP_1)
	s_or_b32 exec_lo, exec_lo, s10
	v_add_f32_e32 v16, v19, v18
                                        ; implicit-def: $vgpr53
	s_mov_b32 s10, exec_lo
	s_delay_alu instid0(VALU_DEP_1) | instskip(SKIP_1) | instid1(VALU_DEP_2)
	v_and_b32_e32 v54, 0x7f800000, v16
	v_lshrrev_b32_e32 v17, 24, v16
	v_cmpx_ne_u64_e32 0x7f800000, v[54:55]
	s_xor_b32 s11, exec_lo, s10
	s_cbranch_execz .LBB6_5557
; %bb.5540:                             ;   in Loop: Header=BB6_4515 Depth=2
	v_and_b32_e32 v54, 0x7fffffff, v16
	v_and_b32_e32 v73, 0x80, v17
                                        ; implicit-def: $vgpr53
	s_mov_b32 s10, exec_lo
	s_delay_alu instid0(VALU_DEP_2)
	v_cmpx_gt_u64_e32 0x43e00001, v[54:55]
	s_xor_b32 s29, exec_lo, s10
	s_cbranch_execz .LBB6_5554
; %bb.5541:                             ;   in Loop: Header=BB6_4515 Depth=2
	v_mov_b32_e32 v53, 0
	s_mov_b32 s40, exec_lo
	v_cmpx_ne_u32_e32 0, v16
	s_cbranch_execz .LBB6_5553
; %bb.5542:                             ;   in Loop: Header=BB6_4515 Depth=2
	v_bfe_u32 v53, v16, 23, 8
	v_and_b32_e32 v17, 0x7fffff, v16
	s_delay_alu instid0(VALU_DEP_2) | instskip(SKIP_2) | instid1(VALU_DEP_4)
	v_cmp_gt_u32_e64 s10, 0x7a, v53
	v_sub_nc_u32_e32 v16, 0x79, v53
	v_cmp_eq_u32_e32 vcc_lo, 0, v53
	v_or_b32_e32 v18, 0x800000, v17
	s_delay_alu instid0(VALU_DEP_1) | instskip(NEXT) | instid1(VALU_DEP_1)
	v_dual_cndmask_b32 v16, 0, v16, s10 :: v_dual_cndmask_b32 v54, v18, v17, vcc_lo
	v_cndmask_b32_e64 v74, v16, 0x78, vcc_lo
	s_delay_alu instid0(VALU_DEP_1) | instskip(NEXT) | instid1(VALU_DEP_1)
	v_dual_add_nc_u32 v16, 20, v74 :: v_dual_add_nc_u32 v18, 19, v74
	v_lshlrev_b64_e64 v[16:17], v16, -1
	s_delay_alu instid0(VALU_DEP_2) | instskip(NEXT) | instid1(VALU_DEP_2)
	v_lshlrev_b64_e64 v[18:19], v18, 1
	v_bfi_b32 v17, v17, 0, 0
	s_delay_alu instid0(VALU_DEP_3) | instskip(NEXT) | instid1(VALU_DEP_1)
	v_bfi_b32 v16, v16, 0, v54
	v_cmp_eq_u64_e64 s10, v[16:17], v[18:19]
	v_lshrrev_b64 v[16:17], v74, v[54:55]
	s_delay_alu instid0(VALU_DEP_1)
	v_mov_b64_e32 v[18:19], v[16:17]
	s_and_saveexec_b32 s41, s10
; %bb.5543:                             ;   in Loop: Header=BB6_4515 Depth=2
	v_bfe_u32 v54, v16, 20, 1
	s_delay_alu instid0(VALU_DEP_1) | instskip(NEXT) | instid1(VALU_DEP_1)
	v_add_nc_u64_e32 v[18:19], v[16:17], v[54:55]
	v_add_nc_u64_e32 v[18:19], -1, v[18:19]
; %bb.5544:                             ;   in Loop: Header=BB6_4515 Depth=2
	s_or_b32 exec_lo, exec_lo, s41
	v_add_nc_u32_e32 v17, 0xffffff81, v53
	v_lshrrev_b32_e32 v19, 23, v16
	s_mov_b32 s10, exec_lo
	s_delay_alu instid0(VALU_DEP_2) | instskip(NEXT) | instid1(VALU_DEP_1)
	v_cndmask_b32_e64 v17, v17, 0xffffff82, vcc_lo
	v_add3_u32 v53, v74, v17, v19
	v_and_b32_e32 v17, 0xfffff, v18
                                        ; implicit-def: $vgpr18
	s_delay_alu instid0(VALU_DEP_1) | instskip(NEXT) | instid1(VALU_DEP_1)
	v_dual_add_nc_u32 v19, 6, v53 :: v_dual_add_nc_u32 v54, v17, v16
                                        ; implicit-def: $vgpr16_vgpr17
	v_cmpx_ne_u32_e32 0, v19
	s_xor_b32 s10, exec_lo, s10
; %bb.5545:                             ;   in Loop: Header=BB6_4515 Depth=2
	s_delay_alu instid0(VALU_DEP_2) | instskip(SKIP_1) | instid1(VALU_DEP_1)
	v_cmp_lt_u64_e32 vcc_lo, 0xffffff, v[54:55]
	v_add_nc_u32_e32 v16, 7, v53
	v_cndmask_b32_e32 v18, v19, v16, vcc_lo
	v_cndmask_b32_e64 v16, 0, 1, vcc_lo
	s_delay_alu instid0(VALU_DEP_1)
	v_lshrrev_b64 v[16:17], v16, v[54:55]
; %bb.5546:                             ;   in Loop: Header=BB6_4515 Depth=2
	s_and_not1_saveexec_b32 s10, s10
; %bb.5547:                             ;   in Loop: Header=BB6_4515 Depth=2
	v_mov_b64_e32 v[16:17], v[54:55]
	v_bfe_u32 v18, v54, 23, 1
; %bb.5548:                             ;   in Loop: Header=BB6_4515 Depth=2
	s_or_b32 exec_lo, exec_lo, s10
	s_delay_alu instid0(VALU_DEP_2) | instskip(NEXT) | instid1(VALU_DEP_2)
	v_lshrrev_b64 v[16:17], 20, v[16:17]
	v_cmp_gt_i32_e32 vcc_lo, 16, v18
	v_cmp_ne_u32_e64 s10, 0, v18
                                        ; implicit-def: $vgpr53
	s_delay_alu instid0(VALU_DEP_3) | instskip(NEXT) | instid1(VALU_DEP_1)
	v_dual_cndmask_b32 v17, 0, v17 :: v_dual_cndmask_b32 v16, 7, v16
	v_cmp_ne_u64_e32 vcc_lo, 0, v[16:17]
	s_or_b32 s10, s10, vcc_lo
	s_delay_alu instid0(SALU_CYCLE_1) | instskip(NEXT) | instid1(SALU_CYCLE_1)
	s_and_saveexec_b32 s41, s10
	s_xor_b32 s10, exec_lo, s41
; %bb.5549:                             ;   in Loop: Header=BB6_4515 Depth=2
	v_min_i32_e32 v17, 15, v18
	s_delay_alu instid0(VALU_DEP_1) | instskip(NEXT) | instid1(VALU_DEP_1)
	v_lshl_or_b32 v17, v17, 3, v73
                                        ; implicit-def: $vgpr73
	v_and_or_b32 v53, v16, 7, v17
; %bb.5550:                             ;   in Loop: Header=BB6_4515 Depth=2
	s_and_not1_saveexec_b32 s10, s10
; %bb.5551:                             ;   in Loop: Header=BB6_4515 Depth=2
	v_mov_b32_e32 v53, v73
; %bb.5552:                             ;   in Loop: Header=BB6_4515 Depth=2
	s_or_b32 exec_lo, exec_lo, s10
.LBB6_5553:                             ;   in Loop: Header=BB6_4515 Depth=2
	s_delay_alu instid0(SALU_CYCLE_1)
	s_or_b32 exec_lo, exec_lo, s40
                                        ; implicit-def: $vgpr73
.LBB6_5554:                             ;   in Loop: Header=BB6_4515 Depth=2
	s_and_not1_saveexec_b32 s10, s29
; %bb.5555:                             ;   in Loop: Header=BB6_4515 Depth=2
	v_or_b32_e32 v53, 0x7e, v73
; %bb.5556:                             ;   in Loop: Header=BB6_4515 Depth=2
	s_or_b32 exec_lo, exec_lo, s10
                                        ; implicit-def: $vgpr17
.LBB6_5557:                             ;   in Loop: Header=BB6_4515 Depth=2
	s_and_not1_saveexec_b32 s10, s11
; %bb.5558:                             ;   in Loop: Header=BB6_4515 Depth=2
	v_or_b32_e32 v53, 0x7f, v17
; %bb.5559:                             ;   in Loop: Header=BB6_4515 Depth=2
	s_or_b32 exec_lo, exec_lo, s10
	v_and_b32_e32 v16, 0xff, v100
	v_dual_mov_b32 v18, 0 :: v_dual_mov_b32 v19, 0
	s_mov_b32 s10, exec_lo
	s_delay_alu instid0(VALU_DEP_2)
	v_cmpx_ne_u16_e32 0, v16
	s_cbranch_execz .LBB6_5567
; %bb.5560:                             ;   in Loop: Header=BB6_4515 Depth=2
	v_bfrev_b32_e32 v19, 1
	s_mov_b32 s11, exec_lo
	v_cmpx_ne_u16_e32 0x80, v16
	s_cbranch_execz .LBB6_5566
; %bb.5561:                             ;   in Loop: Header=BB6_4515 Depth=2
	v_and_b32_e32 v17, 0x7f, v100
	v_mov_b32_e32 v19, 0x7f800001
	s_mov_b32 s29, exec_lo
	s_delay_alu instid0(VALU_DEP_2)
	v_cmpx_ne_u32_e32 0x7f, v17
	s_cbranch_execz .LBB6_5565
; %bb.5562:                             ;   in Loop: Header=BB6_4515 Depth=2
	v_dual_lshrrev_b32 v19, 3, v17 :: v_dual_bitop2_b32 v54, 7, v16 bitop3:0x40
	v_cmp_gt_u32_e32 vcc_lo, 8, v17
	s_delay_alu instid0(VALU_DEP_2)
	v_mov_b64_e32 v[16:17], v[54:55]
	s_and_saveexec_b32 s40, vcc_lo
; %bb.5563:                             ;   in Loop: Header=BB6_4515 Depth=2
	v_clz_i32_u32_e32 v16, v54
	s_delay_alu instid0(VALU_DEP_1) | instskip(NEXT) | instid1(VALU_DEP_1)
	v_min_u32_e32 v19, 32, v16
	v_subrev_nc_u32_e32 v16, 28, v19
	s_delay_alu instid0(VALU_DEP_1) | instskip(NEXT) | instid1(VALU_DEP_1)
	v_lshlrev_b64_e32 v[16:17], v16, v[54:55]
	v_dual_sub_nc_u32 v19, 29, v19 :: v_dual_bitop2_b32 v16, 7, v16 bitop3:0x40
; %bb.5564:                             ;   in Loop: Header=BB6_4515 Depth=2
	s_or_b32 exec_lo, exec_lo, s40
	v_lshlrev_b32_e32 v17, 24, v100
	s_delay_alu instid0(VALU_DEP_2) | instskip(NEXT) | instid1(VALU_DEP_3)
	v_lshlrev_b32_e32 v16, 20, v16
	v_lshl_add_u32 v19, v19, 23, 0x3c000000
	s_delay_alu instid0(VALU_DEP_3) | instskip(NEXT) | instid1(VALU_DEP_1)
	v_and_b32_e32 v17, 0x80000000, v17
	v_or3_b32 v19, v16, v17, v19
.LBB6_5565:                             ;   in Loop: Header=BB6_4515 Depth=2
	s_or_b32 exec_lo, exec_lo, s29
.LBB6_5566:                             ;   in Loop: Header=BB6_4515 Depth=2
	s_delay_alu instid0(SALU_CYCLE_1)
	s_or_b32 exec_lo, exec_lo, s11
.LBB6_5567:                             ;   in Loop: Header=BB6_4515 Depth=2
	s_delay_alu instid0(SALU_CYCLE_1) | instskip(SKIP_3) | instid1(VALU_DEP_1)
	s_or_b32 exec_lo, exec_lo, s10
	s_wait_loadcnt_dscnt 0x1b1b
	v_and_b32_e32 v16, 0xff, v72
	s_mov_b32 s10, exec_lo
	v_cmpx_ne_u16_e32 0, v16
	s_cbranch_execz .LBB6_5575
; %bb.5568:                             ;   in Loop: Header=BB6_4515 Depth=2
	v_bfrev_b32_e32 v18, 1
	s_mov_b32 s11, exec_lo
	v_cmpx_ne_u16_e32 0x80, v16
	s_cbranch_execz .LBB6_5574
; %bb.5569:                             ;   in Loop: Header=BB6_4515 Depth=2
	v_and_b32_e32 v17, 0x7f, v72
	v_mov_b32_e32 v18, 0x7f800001
	s_mov_b32 s29, exec_lo
	s_delay_alu instid0(VALU_DEP_2)
	v_cmpx_ne_u32_e32 0x7f, v17
	s_cbranch_execz .LBB6_5573
; %bb.5570:                             ;   in Loop: Header=BB6_4515 Depth=2
	v_dual_lshrrev_b32 v18, 3, v17 :: v_dual_bitop2_b32 v54, 7, v16 bitop3:0x40
	v_cmp_gt_u32_e32 vcc_lo, 8, v17
	s_delay_alu instid0(VALU_DEP_2)
	v_mov_b64_e32 v[16:17], v[54:55]
	s_and_saveexec_b32 s40, vcc_lo
; %bb.5571:                             ;   in Loop: Header=BB6_4515 Depth=2
	v_clz_i32_u32_e32 v16, v54
	s_delay_alu instid0(VALU_DEP_1) | instskip(NEXT) | instid1(VALU_DEP_1)
	v_min_u32_e32 v18, 32, v16
	v_subrev_nc_u32_e32 v16, 28, v18
	s_delay_alu instid0(VALU_DEP_1) | instskip(NEXT) | instid1(VALU_DEP_1)
	v_lshlrev_b64_e32 v[16:17], v16, v[54:55]
	v_dual_sub_nc_u32 v18, 29, v18 :: v_dual_bitop2_b32 v16, 7, v16 bitop3:0x40
; %bb.5572:                             ;   in Loop: Header=BB6_4515 Depth=2
	s_or_b32 exec_lo, exec_lo, s40
	v_lshlrev_b32_e32 v17, 24, v72
	s_delay_alu instid0(VALU_DEP_2) | instskip(NEXT) | instid1(VALU_DEP_3)
	v_lshlrev_b32_e32 v16, 20, v16
	v_lshl_add_u32 v18, v18, 23, 0x3c000000
	s_delay_alu instid0(VALU_DEP_3) | instskip(NEXT) | instid1(VALU_DEP_1)
	v_and_b32_e32 v17, 0x80000000, v17
	v_or3_b32 v18, v16, v17, v18
.LBB6_5573:                             ;   in Loop: Header=BB6_4515 Depth=2
	s_or_b32 exec_lo, exec_lo, s29
.LBB6_5574:                             ;   in Loop: Header=BB6_4515 Depth=2
	s_delay_alu instid0(SALU_CYCLE_1)
	s_or_b32 exec_lo, exec_lo, s11
.LBB6_5575:                             ;   in Loop: Header=BB6_4515 Depth=2
	s_delay_alu instid0(SALU_CYCLE_1) | instskip(NEXT) | instid1(VALU_DEP_1)
	s_or_b32 exec_lo, exec_lo, s10
	v_add_f32_e32 v16, v19, v18
                                        ; implicit-def: $vgpr100
	s_mov_b32 s10, exec_lo
	s_delay_alu instid0(VALU_DEP_1) | instskip(SKIP_1) | instid1(VALU_DEP_2)
	v_and_b32_e32 v54, 0x7f800000, v16
	v_lshrrev_b32_e32 v17, 24, v16
	v_cmpx_ne_u64_e32 0x7f800000, v[54:55]
	s_xor_b32 s11, exec_lo, s10
	s_cbranch_execz .LBB6_5593
; %bb.5576:                             ;   in Loop: Header=BB6_4515 Depth=2
	v_and_b32_e32 v54, 0x7fffffff, v16
	v_and_b32_e32 v72, 0x80, v17
                                        ; implicit-def: $vgpr100
	s_mov_b32 s10, exec_lo
	s_delay_alu instid0(VALU_DEP_2)
	v_cmpx_gt_u64_e32 0x43e00001, v[54:55]
	s_xor_b32 s29, exec_lo, s10
	s_cbranch_execz .LBB6_5590
; %bb.5577:                             ;   in Loop: Header=BB6_4515 Depth=2
	v_mov_b32_e32 v100, 0
	s_mov_b32 s40, exec_lo
	v_cmpx_ne_u32_e32 0, v16
	s_cbranch_execz .LBB6_5589
; %bb.5578:                             ;   in Loop: Header=BB6_4515 Depth=2
	v_bfe_u32 v100, v16, 23, 8
	v_and_b32_e32 v17, 0x7fffff, v16
	s_delay_alu instid0(VALU_DEP_2) | instskip(SKIP_2) | instid1(VALU_DEP_4)
	v_cmp_gt_u32_e64 s10, 0x7a, v100
	v_sub_nc_u32_e32 v16, 0x79, v100
	v_cmp_eq_u32_e32 vcc_lo, 0, v100
	v_or_b32_e32 v18, 0x800000, v17
	s_delay_alu instid0(VALU_DEP_1) | instskip(NEXT) | instid1(VALU_DEP_1)
	v_dual_cndmask_b32 v16, 0, v16, s10 :: v_dual_cndmask_b32 v54, v18, v17, vcc_lo
	v_cndmask_b32_e64 v73, v16, 0x78, vcc_lo
	s_delay_alu instid0(VALU_DEP_1) | instskip(NEXT) | instid1(VALU_DEP_1)
	v_dual_add_nc_u32 v16, 20, v73 :: v_dual_add_nc_u32 v18, 19, v73
	v_lshlrev_b64_e64 v[16:17], v16, -1
	s_delay_alu instid0(VALU_DEP_2) | instskip(NEXT) | instid1(VALU_DEP_2)
	v_lshlrev_b64_e64 v[18:19], v18, 1
	v_bfi_b32 v17, v17, 0, 0
	s_delay_alu instid0(VALU_DEP_3) | instskip(NEXT) | instid1(VALU_DEP_1)
	v_bfi_b32 v16, v16, 0, v54
	v_cmp_eq_u64_e64 s10, v[16:17], v[18:19]
	v_lshrrev_b64 v[16:17], v73, v[54:55]
	s_delay_alu instid0(VALU_DEP_1)
	v_mov_b64_e32 v[18:19], v[16:17]
	s_and_saveexec_b32 s41, s10
; %bb.5579:                             ;   in Loop: Header=BB6_4515 Depth=2
	v_bfe_u32 v54, v16, 20, 1
	s_delay_alu instid0(VALU_DEP_1) | instskip(NEXT) | instid1(VALU_DEP_1)
	v_add_nc_u64_e32 v[18:19], v[16:17], v[54:55]
	v_add_nc_u64_e32 v[18:19], -1, v[18:19]
; %bb.5580:                             ;   in Loop: Header=BB6_4515 Depth=2
	s_or_b32 exec_lo, exec_lo, s41
	v_add_nc_u32_e32 v17, 0xffffff81, v100
	v_lshrrev_b32_e32 v19, 23, v16
	s_mov_b32 s10, exec_lo
	s_delay_alu instid0(VALU_DEP_2) | instskip(NEXT) | instid1(VALU_DEP_1)
	v_cndmask_b32_e64 v17, v17, 0xffffff82, vcc_lo
	v_add3_u32 v100, v73, v17, v19
	v_and_b32_e32 v17, 0xfffff, v18
                                        ; implicit-def: $vgpr18
	s_delay_alu instid0(VALU_DEP_2) | instskip(NEXT) | instid1(VALU_DEP_2)
	v_add_nc_u32_e32 v19, 6, v100
	v_add_nc_u32_e32 v54, v17, v16
                                        ; implicit-def: $vgpr16_vgpr17
	s_delay_alu instid0(VALU_DEP_2)
	v_cmpx_ne_u32_e32 0, v19
	s_xor_b32 s10, exec_lo, s10
; %bb.5581:                             ;   in Loop: Header=BB6_4515 Depth=2
	s_delay_alu instid0(VALU_DEP_2) | instskip(SKIP_1) | instid1(VALU_DEP_1)
	v_cmp_lt_u64_e32 vcc_lo, 0xffffff, v[54:55]
	v_add_nc_u32_e32 v16, 7, v100
	v_cndmask_b32_e32 v18, v19, v16, vcc_lo
	v_cndmask_b32_e64 v16, 0, 1, vcc_lo
	s_delay_alu instid0(VALU_DEP_1)
	v_lshrrev_b64 v[16:17], v16, v[54:55]
; %bb.5582:                             ;   in Loop: Header=BB6_4515 Depth=2
	s_and_not1_saveexec_b32 s10, s10
; %bb.5583:                             ;   in Loop: Header=BB6_4515 Depth=2
	v_mov_b64_e32 v[16:17], v[54:55]
	v_bfe_u32 v18, v54, 23, 1
; %bb.5584:                             ;   in Loop: Header=BB6_4515 Depth=2
	s_or_b32 exec_lo, exec_lo, s10
	s_delay_alu instid0(VALU_DEP_2) | instskip(NEXT) | instid1(VALU_DEP_2)
	v_lshrrev_b64 v[16:17], 20, v[16:17]
	v_cmp_gt_i32_e32 vcc_lo, 16, v18
	v_cmp_ne_u32_e64 s10, 0, v18
                                        ; implicit-def: $vgpr100
	s_delay_alu instid0(VALU_DEP_3) | instskip(NEXT) | instid1(VALU_DEP_1)
	v_dual_cndmask_b32 v17, 0, v17 :: v_dual_cndmask_b32 v16, 7, v16
	v_cmp_ne_u64_e32 vcc_lo, 0, v[16:17]
	s_or_b32 s10, s10, vcc_lo
	s_delay_alu instid0(SALU_CYCLE_1) | instskip(NEXT) | instid1(SALU_CYCLE_1)
	s_and_saveexec_b32 s41, s10
	s_xor_b32 s10, exec_lo, s41
; %bb.5585:                             ;   in Loop: Header=BB6_4515 Depth=2
	v_min_i32_e32 v17, 15, v18
	s_delay_alu instid0(VALU_DEP_1) | instskip(NEXT) | instid1(VALU_DEP_1)
	v_lshl_or_b32 v17, v17, 3, v72
                                        ; implicit-def: $vgpr72
	v_and_or_b32 v100, v16, 7, v17
; %bb.5586:                             ;   in Loop: Header=BB6_4515 Depth=2
	s_and_not1_saveexec_b32 s10, s10
; %bb.5587:                             ;   in Loop: Header=BB6_4515 Depth=2
	v_mov_b32_e32 v100, v72
; %bb.5588:                             ;   in Loop: Header=BB6_4515 Depth=2
	s_or_b32 exec_lo, exec_lo, s10
.LBB6_5589:                             ;   in Loop: Header=BB6_4515 Depth=2
	s_delay_alu instid0(SALU_CYCLE_1)
	s_or_b32 exec_lo, exec_lo, s40
                                        ; implicit-def: $vgpr72
.LBB6_5590:                             ;   in Loop: Header=BB6_4515 Depth=2
	s_and_not1_saveexec_b32 s10, s29
; %bb.5591:                             ;   in Loop: Header=BB6_4515 Depth=2
	v_or_b32_e32 v100, 0x7e, v72
; %bb.5592:                             ;   in Loop: Header=BB6_4515 Depth=2
	s_or_b32 exec_lo, exec_lo, s10
                                        ; implicit-def: $vgpr17
.LBB6_5593:                             ;   in Loop: Header=BB6_4515 Depth=2
	s_and_not1_saveexec_b32 s10, s11
; %bb.5594:                             ;   in Loop: Header=BB6_4515 Depth=2
	v_or_b32_e32 v100, 0x7f, v17
; %bb.5595:                             ;   in Loop: Header=BB6_4515 Depth=2
	s_or_b32 exec_lo, exec_lo, s10
	v_and_b32_e32 v16, 0xff, v114
	v_dual_mov_b32 v18, 0 :: v_dual_mov_b32 v19, 0
	s_mov_b32 s10, exec_lo
	s_delay_alu instid0(VALU_DEP_2)
	v_cmpx_ne_u16_e32 0, v16
	s_cbranch_execz .LBB6_5603
; %bb.5596:                             ;   in Loop: Header=BB6_4515 Depth=2
	v_bfrev_b32_e32 v19, 1
	s_mov_b32 s11, exec_lo
	v_cmpx_ne_u16_e32 0x80, v16
	s_cbranch_execz .LBB6_5602
; %bb.5597:                             ;   in Loop: Header=BB6_4515 Depth=2
	v_and_b32_e32 v17, 0x7f, v114
	v_mov_b32_e32 v19, 0x7f800001
	s_mov_b32 s29, exec_lo
	s_delay_alu instid0(VALU_DEP_2)
	v_cmpx_ne_u32_e32 0x7f, v17
	s_cbranch_execz .LBB6_5601
; %bb.5598:                             ;   in Loop: Header=BB6_4515 Depth=2
	v_dual_lshrrev_b32 v19, 3, v17 :: v_dual_bitop2_b32 v54, 7, v16 bitop3:0x40
	v_cmp_gt_u32_e32 vcc_lo, 8, v17
	s_delay_alu instid0(VALU_DEP_2)
	v_mov_b64_e32 v[16:17], v[54:55]
	s_and_saveexec_b32 s40, vcc_lo
; %bb.5599:                             ;   in Loop: Header=BB6_4515 Depth=2
	v_clz_i32_u32_e32 v16, v54
	s_delay_alu instid0(VALU_DEP_1) | instskip(NEXT) | instid1(VALU_DEP_1)
	v_min_u32_e32 v19, 32, v16
	v_subrev_nc_u32_e32 v16, 28, v19
	s_delay_alu instid0(VALU_DEP_1) | instskip(NEXT) | instid1(VALU_DEP_1)
	v_lshlrev_b64_e32 v[16:17], v16, v[54:55]
	v_dual_sub_nc_u32 v19, 29, v19 :: v_dual_bitop2_b32 v16, 7, v16 bitop3:0x40
; %bb.5600:                             ;   in Loop: Header=BB6_4515 Depth=2
	s_or_b32 exec_lo, exec_lo, s40
	s_delay_alu instid0(VALU_DEP_1) | instskip(NEXT) | instid1(VALU_DEP_2)
	v_dual_lshlrev_b32 v17, 24, v114 :: v_dual_lshlrev_b32 v16, 20, v16
	v_lshl_add_u32 v19, v19, 23, 0x3c000000
	s_delay_alu instid0(VALU_DEP_2) | instskip(NEXT) | instid1(VALU_DEP_1)
	v_and_b32_e32 v17, 0x80000000, v17
	v_or3_b32 v19, v16, v17, v19
.LBB6_5601:                             ;   in Loop: Header=BB6_4515 Depth=2
	s_or_b32 exec_lo, exec_lo, s29
.LBB6_5602:                             ;   in Loop: Header=BB6_4515 Depth=2
	s_delay_alu instid0(SALU_CYCLE_1)
	s_or_b32 exec_lo, exec_lo, s11
.LBB6_5603:                             ;   in Loop: Header=BB6_4515 Depth=2
	s_delay_alu instid0(SALU_CYCLE_1) | instskip(SKIP_3) | instid1(VALU_DEP_1)
	s_or_b32 exec_lo, exec_lo, s10
	s_wait_loadcnt_dscnt 0x1a1a
	v_and_b32_e32 v16, 0xff, v63
	s_mov_b32 s10, exec_lo
	v_cmpx_ne_u16_e32 0, v16
	s_cbranch_execz .LBB6_5611
; %bb.5604:                             ;   in Loop: Header=BB6_4515 Depth=2
	v_bfrev_b32_e32 v18, 1
	s_mov_b32 s11, exec_lo
	v_cmpx_ne_u16_e32 0x80, v16
	s_cbranch_execz .LBB6_5610
; %bb.5605:                             ;   in Loop: Header=BB6_4515 Depth=2
	v_and_b32_e32 v17, 0x7f, v63
	v_mov_b32_e32 v18, 0x7f800001
	s_mov_b32 s29, exec_lo
	s_delay_alu instid0(VALU_DEP_2)
	v_cmpx_ne_u32_e32 0x7f, v17
	s_cbranch_execz .LBB6_5609
; %bb.5606:                             ;   in Loop: Header=BB6_4515 Depth=2
	v_dual_lshrrev_b32 v18, 3, v17 :: v_dual_bitop2_b32 v54, 7, v16 bitop3:0x40
	v_cmp_gt_u32_e32 vcc_lo, 8, v17
	s_delay_alu instid0(VALU_DEP_2)
	v_mov_b64_e32 v[16:17], v[54:55]
	s_and_saveexec_b32 s40, vcc_lo
; %bb.5607:                             ;   in Loop: Header=BB6_4515 Depth=2
	v_clz_i32_u32_e32 v16, v54
	s_delay_alu instid0(VALU_DEP_1) | instskip(NEXT) | instid1(VALU_DEP_1)
	v_min_u32_e32 v18, 32, v16
	v_subrev_nc_u32_e32 v16, 28, v18
	s_delay_alu instid0(VALU_DEP_1) | instskip(NEXT) | instid1(VALU_DEP_1)
	v_lshlrev_b64_e32 v[16:17], v16, v[54:55]
	v_dual_sub_nc_u32 v18, 29, v18 :: v_dual_bitop2_b32 v16, 7, v16 bitop3:0x40
; %bb.5608:                             ;   in Loop: Header=BB6_4515 Depth=2
	s_or_b32 exec_lo, exec_lo, s40
	s_delay_alu instid0(VALU_DEP_1) | instskip(NEXT) | instid1(VALU_DEP_2)
	v_dual_lshlrev_b32 v17, 24, v63 :: v_dual_lshlrev_b32 v16, 20, v16
	v_lshl_add_u32 v18, v18, 23, 0x3c000000
	s_delay_alu instid0(VALU_DEP_2) | instskip(NEXT) | instid1(VALU_DEP_1)
	v_and_b32_e32 v17, 0x80000000, v17
	v_or3_b32 v18, v16, v17, v18
.LBB6_5609:                             ;   in Loop: Header=BB6_4515 Depth=2
	s_or_b32 exec_lo, exec_lo, s29
.LBB6_5610:                             ;   in Loop: Header=BB6_4515 Depth=2
	s_delay_alu instid0(SALU_CYCLE_1)
	s_or_b32 exec_lo, exec_lo, s11
.LBB6_5611:                             ;   in Loop: Header=BB6_4515 Depth=2
	s_delay_alu instid0(SALU_CYCLE_1) | instskip(NEXT) | instid1(VALU_DEP_1)
	s_or_b32 exec_lo, exec_lo, s10
	v_add_f32_e32 v16, v19, v18
                                        ; implicit-def: $vgpr114
	s_mov_b32 s10, exec_lo
	s_delay_alu instid0(VALU_DEP_1) | instskip(SKIP_1) | instid1(VALU_DEP_2)
	v_and_b32_e32 v54, 0x7f800000, v16
	v_lshrrev_b32_e32 v17, 24, v16
	v_cmpx_ne_u64_e32 0x7f800000, v[54:55]
	s_xor_b32 s11, exec_lo, s10
	s_cbranch_execz .LBB6_5629
; %bb.5612:                             ;   in Loop: Header=BB6_4515 Depth=2
	v_and_b32_e32 v54, 0x7fffffff, v16
	v_and_b32_e32 v63, 0x80, v17
                                        ; implicit-def: $vgpr114
	s_mov_b32 s10, exec_lo
	s_delay_alu instid0(VALU_DEP_2)
	v_cmpx_gt_u64_e32 0x43e00001, v[54:55]
	s_xor_b32 s29, exec_lo, s10
	s_cbranch_execz .LBB6_5626
; %bb.5613:                             ;   in Loop: Header=BB6_4515 Depth=2
	v_mov_b32_e32 v114, 0
	s_mov_b32 s40, exec_lo
	v_cmpx_ne_u32_e32 0, v16
	s_cbranch_execz .LBB6_5625
; %bb.5614:                             ;   in Loop: Header=BB6_4515 Depth=2
	v_bfe_u32 v114, v16, 23, 8
	v_and_b32_e32 v17, 0x7fffff, v16
	s_delay_alu instid0(VALU_DEP_2) | instskip(SKIP_2) | instid1(VALU_DEP_4)
	v_cmp_gt_u32_e64 s10, 0x7a, v114
	v_sub_nc_u32_e32 v16, 0x79, v114
	v_cmp_eq_u32_e32 vcc_lo, 0, v114
	v_or_b32_e32 v18, 0x800000, v17
	s_delay_alu instid0(VALU_DEP_1) | instskip(NEXT) | instid1(VALU_DEP_1)
	v_dual_cndmask_b32 v16, 0, v16, s10 :: v_dual_cndmask_b32 v54, v18, v17, vcc_lo
	v_cndmask_b32_e64 v72, v16, 0x78, vcc_lo
	s_delay_alu instid0(VALU_DEP_1) | instskip(NEXT) | instid1(VALU_DEP_1)
	v_dual_add_nc_u32 v16, 20, v72 :: v_dual_add_nc_u32 v18, 19, v72
	v_lshlrev_b64_e64 v[16:17], v16, -1
	s_delay_alu instid0(VALU_DEP_2) | instskip(NEXT) | instid1(VALU_DEP_2)
	v_lshlrev_b64_e64 v[18:19], v18, 1
	v_bfi_b32 v17, v17, 0, 0
	s_delay_alu instid0(VALU_DEP_3) | instskip(NEXT) | instid1(VALU_DEP_1)
	v_bfi_b32 v16, v16, 0, v54
	v_cmp_eq_u64_e64 s10, v[16:17], v[18:19]
	v_lshrrev_b64 v[16:17], v72, v[54:55]
	s_delay_alu instid0(VALU_DEP_1)
	v_mov_b64_e32 v[18:19], v[16:17]
	s_and_saveexec_b32 s41, s10
; %bb.5615:                             ;   in Loop: Header=BB6_4515 Depth=2
	v_bfe_u32 v54, v16, 20, 1
	s_delay_alu instid0(VALU_DEP_1) | instskip(NEXT) | instid1(VALU_DEP_1)
	v_add_nc_u64_e32 v[18:19], v[16:17], v[54:55]
	v_add_nc_u64_e32 v[18:19], -1, v[18:19]
; %bb.5616:                             ;   in Loop: Header=BB6_4515 Depth=2
	s_or_b32 exec_lo, exec_lo, s41
	v_add_nc_u32_e32 v17, 0xffffff81, v114
	v_lshrrev_b32_e32 v19, 23, v16
	s_mov_b32 s10, exec_lo
	s_delay_alu instid0(VALU_DEP_2) | instskip(NEXT) | instid1(VALU_DEP_1)
	v_cndmask_b32_e64 v17, v17, 0xffffff82, vcc_lo
	v_add3_u32 v114, v72, v17, v19
	v_and_b32_e32 v17, 0xfffff, v18
                                        ; implicit-def: $vgpr18
	s_delay_alu instid0(VALU_DEP_1) | instskip(NEXT) | instid1(VALU_DEP_1)
	v_dual_add_nc_u32 v19, 6, v114 :: v_dual_add_nc_u32 v54, v17, v16
                                        ; implicit-def: $vgpr16_vgpr17
	v_cmpx_ne_u32_e32 0, v19
	s_xor_b32 s10, exec_lo, s10
; %bb.5617:                             ;   in Loop: Header=BB6_4515 Depth=2
	s_delay_alu instid0(VALU_DEP_2) | instskip(SKIP_1) | instid1(VALU_DEP_1)
	v_cmp_lt_u64_e32 vcc_lo, 0xffffff, v[54:55]
	v_add_nc_u32_e32 v16, 7, v114
	v_cndmask_b32_e32 v18, v19, v16, vcc_lo
	v_cndmask_b32_e64 v16, 0, 1, vcc_lo
	s_delay_alu instid0(VALU_DEP_1)
	v_lshrrev_b64 v[16:17], v16, v[54:55]
; %bb.5618:                             ;   in Loop: Header=BB6_4515 Depth=2
	s_and_not1_saveexec_b32 s10, s10
; %bb.5619:                             ;   in Loop: Header=BB6_4515 Depth=2
	v_mov_b64_e32 v[16:17], v[54:55]
	v_bfe_u32 v18, v54, 23, 1
; %bb.5620:                             ;   in Loop: Header=BB6_4515 Depth=2
	s_or_b32 exec_lo, exec_lo, s10
	s_delay_alu instid0(VALU_DEP_2) | instskip(NEXT) | instid1(VALU_DEP_2)
	v_lshrrev_b64 v[16:17], 20, v[16:17]
	v_cmp_gt_i32_e32 vcc_lo, 16, v18
	v_cmp_ne_u32_e64 s10, 0, v18
                                        ; implicit-def: $vgpr114
	s_delay_alu instid0(VALU_DEP_3) | instskip(NEXT) | instid1(VALU_DEP_1)
	v_dual_cndmask_b32 v17, 0, v17 :: v_dual_cndmask_b32 v16, 7, v16
	v_cmp_ne_u64_e32 vcc_lo, 0, v[16:17]
	s_or_b32 s10, s10, vcc_lo
	s_delay_alu instid0(SALU_CYCLE_1) | instskip(NEXT) | instid1(SALU_CYCLE_1)
	s_and_saveexec_b32 s41, s10
	s_xor_b32 s10, exec_lo, s41
; %bb.5621:                             ;   in Loop: Header=BB6_4515 Depth=2
	v_min_i32_e32 v17, 15, v18
	s_delay_alu instid0(VALU_DEP_1) | instskip(NEXT) | instid1(VALU_DEP_1)
	v_lshl_or_b32 v17, v17, 3, v63
                                        ; implicit-def: $vgpr63
	v_and_or_b32 v114, v16, 7, v17
; %bb.5622:                             ;   in Loop: Header=BB6_4515 Depth=2
	s_and_not1_saveexec_b32 s10, s10
; %bb.5623:                             ;   in Loop: Header=BB6_4515 Depth=2
	v_mov_b32_e32 v114, v63
; %bb.5624:                             ;   in Loop: Header=BB6_4515 Depth=2
	s_or_b32 exec_lo, exec_lo, s10
.LBB6_5625:                             ;   in Loop: Header=BB6_4515 Depth=2
	s_delay_alu instid0(SALU_CYCLE_1)
	s_or_b32 exec_lo, exec_lo, s40
                                        ; implicit-def: $vgpr63
.LBB6_5626:                             ;   in Loop: Header=BB6_4515 Depth=2
	s_and_not1_saveexec_b32 s10, s29
; %bb.5627:                             ;   in Loop: Header=BB6_4515 Depth=2
	v_or_b32_e32 v114, 0x7e, v63
; %bb.5628:                             ;   in Loop: Header=BB6_4515 Depth=2
	s_or_b32 exec_lo, exec_lo, s10
                                        ; implicit-def: $vgpr17
.LBB6_5629:                             ;   in Loop: Header=BB6_4515 Depth=2
	s_and_not1_saveexec_b32 s10, s11
; %bb.5630:                             ;   in Loop: Header=BB6_4515 Depth=2
	v_or_b32_e32 v114, 0x7f, v17
; %bb.5631:                             ;   in Loop: Header=BB6_4515 Depth=2
	s_or_b32 exec_lo, exec_lo, s10
	v_and_b32_e32 v16, 0xff, v112
	v_dual_mov_b32 v18, 0 :: v_dual_mov_b32 v19, 0
	s_mov_b32 s10, exec_lo
	s_delay_alu instid0(VALU_DEP_2)
	v_cmpx_ne_u16_e32 0, v16
	s_cbranch_execz .LBB6_5639
; %bb.5632:                             ;   in Loop: Header=BB6_4515 Depth=2
	v_bfrev_b32_e32 v19, 1
	s_mov_b32 s11, exec_lo
	v_cmpx_ne_u16_e32 0x80, v16
	s_cbranch_execz .LBB6_5638
; %bb.5633:                             ;   in Loop: Header=BB6_4515 Depth=2
	v_and_b32_e32 v17, 0x7f, v112
	v_mov_b32_e32 v19, 0x7f800001
	s_mov_b32 s29, exec_lo
	s_delay_alu instid0(VALU_DEP_2)
	v_cmpx_ne_u32_e32 0x7f, v17
	s_cbranch_execz .LBB6_5637
; %bb.5634:                             ;   in Loop: Header=BB6_4515 Depth=2
	v_dual_lshrrev_b32 v19, 3, v17 :: v_dual_bitop2_b32 v54, 7, v16 bitop3:0x40
	v_cmp_gt_u32_e32 vcc_lo, 8, v17
	s_delay_alu instid0(VALU_DEP_2)
	v_mov_b64_e32 v[16:17], v[54:55]
	s_and_saveexec_b32 s40, vcc_lo
; %bb.5635:                             ;   in Loop: Header=BB6_4515 Depth=2
	v_clz_i32_u32_e32 v16, v54
	s_delay_alu instid0(VALU_DEP_1) | instskip(NEXT) | instid1(VALU_DEP_1)
	v_min_u32_e32 v19, 32, v16
	v_subrev_nc_u32_e32 v16, 28, v19
	s_delay_alu instid0(VALU_DEP_1) | instskip(NEXT) | instid1(VALU_DEP_1)
	v_lshlrev_b64_e32 v[16:17], v16, v[54:55]
	v_dual_sub_nc_u32 v19, 29, v19 :: v_dual_bitop2_b32 v16, 7, v16 bitop3:0x40
; %bb.5636:                             ;   in Loop: Header=BB6_4515 Depth=2
	s_or_b32 exec_lo, exec_lo, s40
	v_lshlrev_b32_e32 v17, 24, v112
	s_delay_alu instid0(VALU_DEP_2) | instskip(NEXT) | instid1(VALU_DEP_3)
	v_lshlrev_b32_e32 v16, 20, v16
	v_lshl_add_u32 v19, v19, 23, 0x3c000000
	s_delay_alu instid0(VALU_DEP_3) | instskip(NEXT) | instid1(VALU_DEP_1)
	v_and_b32_e32 v17, 0x80000000, v17
	v_or3_b32 v19, v16, v17, v19
.LBB6_5637:                             ;   in Loop: Header=BB6_4515 Depth=2
	s_or_b32 exec_lo, exec_lo, s29
.LBB6_5638:                             ;   in Loop: Header=BB6_4515 Depth=2
	s_delay_alu instid0(SALU_CYCLE_1)
	s_or_b32 exec_lo, exec_lo, s11
.LBB6_5639:                             ;   in Loop: Header=BB6_4515 Depth=2
	s_delay_alu instid0(SALU_CYCLE_1) | instskip(SKIP_3) | instid1(VALU_DEP_1)
	s_or_b32 exec_lo, exec_lo, s10
	s_wait_loadcnt_dscnt 0x1919
	v_and_b32_e32 v16, 0xff, v62
	s_mov_b32 s10, exec_lo
	v_cmpx_ne_u16_e32 0, v16
	s_cbranch_execz .LBB6_5647
; %bb.5640:                             ;   in Loop: Header=BB6_4515 Depth=2
	v_bfrev_b32_e32 v18, 1
	s_mov_b32 s11, exec_lo
	v_cmpx_ne_u16_e32 0x80, v16
	s_cbranch_execz .LBB6_5646
; %bb.5641:                             ;   in Loop: Header=BB6_4515 Depth=2
	v_and_b32_e32 v17, 0x7f, v62
	v_mov_b32_e32 v18, 0x7f800001
	s_mov_b32 s29, exec_lo
	s_delay_alu instid0(VALU_DEP_2)
	v_cmpx_ne_u32_e32 0x7f, v17
	s_cbranch_execz .LBB6_5645
; %bb.5642:                             ;   in Loop: Header=BB6_4515 Depth=2
	v_dual_lshrrev_b32 v18, 3, v17 :: v_dual_bitop2_b32 v54, 7, v16 bitop3:0x40
	v_cmp_gt_u32_e32 vcc_lo, 8, v17
	s_delay_alu instid0(VALU_DEP_2)
	v_mov_b64_e32 v[16:17], v[54:55]
	s_and_saveexec_b32 s40, vcc_lo
; %bb.5643:                             ;   in Loop: Header=BB6_4515 Depth=2
	v_clz_i32_u32_e32 v16, v54
	s_delay_alu instid0(VALU_DEP_1) | instskip(NEXT) | instid1(VALU_DEP_1)
	v_min_u32_e32 v18, 32, v16
	v_subrev_nc_u32_e32 v16, 28, v18
	s_delay_alu instid0(VALU_DEP_1) | instskip(NEXT) | instid1(VALU_DEP_1)
	v_lshlrev_b64_e32 v[16:17], v16, v[54:55]
	v_dual_sub_nc_u32 v18, 29, v18 :: v_dual_bitop2_b32 v16, 7, v16 bitop3:0x40
; %bb.5644:                             ;   in Loop: Header=BB6_4515 Depth=2
	s_or_b32 exec_lo, exec_lo, s40
	s_delay_alu instid0(VALU_DEP_1) | instskip(NEXT) | instid1(VALU_DEP_2)
	v_dual_lshlrev_b32 v17, 24, v62 :: v_dual_lshlrev_b32 v16, 20, v16
	v_lshl_add_u32 v18, v18, 23, 0x3c000000
	s_delay_alu instid0(VALU_DEP_2) | instskip(NEXT) | instid1(VALU_DEP_1)
	v_and_b32_e32 v17, 0x80000000, v17
	v_or3_b32 v18, v16, v17, v18
.LBB6_5645:                             ;   in Loop: Header=BB6_4515 Depth=2
	s_or_b32 exec_lo, exec_lo, s29
.LBB6_5646:                             ;   in Loop: Header=BB6_4515 Depth=2
	s_delay_alu instid0(SALU_CYCLE_1)
	s_or_b32 exec_lo, exec_lo, s11
.LBB6_5647:                             ;   in Loop: Header=BB6_4515 Depth=2
	s_delay_alu instid0(SALU_CYCLE_1) | instskip(NEXT) | instid1(VALU_DEP_1)
	s_or_b32 exec_lo, exec_lo, s10
	v_add_f32_e32 v16, v19, v18
                                        ; implicit-def: $vgpr112
	s_mov_b32 s10, exec_lo
	s_delay_alu instid0(VALU_DEP_1) | instskip(SKIP_1) | instid1(VALU_DEP_2)
	v_and_b32_e32 v54, 0x7f800000, v16
	v_lshrrev_b32_e32 v17, 24, v16
	v_cmpx_ne_u64_e32 0x7f800000, v[54:55]
	s_xor_b32 s11, exec_lo, s10
	s_cbranch_execz .LBB6_5665
; %bb.5648:                             ;   in Loop: Header=BB6_4515 Depth=2
	v_and_b32_e32 v54, 0x7fffffff, v16
	v_and_b32_e32 v62, 0x80, v17
                                        ; implicit-def: $vgpr112
	s_mov_b32 s10, exec_lo
	s_delay_alu instid0(VALU_DEP_2)
	v_cmpx_gt_u64_e32 0x43e00001, v[54:55]
	s_xor_b32 s29, exec_lo, s10
	s_cbranch_execz .LBB6_5662
; %bb.5649:                             ;   in Loop: Header=BB6_4515 Depth=2
	v_mov_b32_e32 v112, 0
	s_mov_b32 s40, exec_lo
	v_cmpx_ne_u32_e32 0, v16
	s_cbranch_execz .LBB6_5661
; %bb.5650:                             ;   in Loop: Header=BB6_4515 Depth=2
	v_bfe_u32 v112, v16, 23, 8
	v_and_b32_e32 v17, 0x7fffff, v16
	s_delay_alu instid0(VALU_DEP_2) | instskip(SKIP_2) | instid1(VALU_DEP_4)
	v_cmp_gt_u32_e64 s10, 0x7a, v112
	v_sub_nc_u32_e32 v16, 0x79, v112
	v_cmp_eq_u32_e32 vcc_lo, 0, v112
	v_or_b32_e32 v18, 0x800000, v17
	s_delay_alu instid0(VALU_DEP_1) | instskip(NEXT) | instid1(VALU_DEP_1)
	v_dual_cndmask_b32 v16, 0, v16, s10 :: v_dual_cndmask_b32 v54, v18, v17, vcc_lo
	v_cndmask_b32_e64 v63, v16, 0x78, vcc_lo
	s_delay_alu instid0(VALU_DEP_1) | instskip(NEXT) | instid1(VALU_DEP_1)
	v_dual_add_nc_u32 v16, 20, v63 :: v_dual_add_nc_u32 v18, 19, v63
	v_lshlrev_b64_e64 v[16:17], v16, -1
	s_delay_alu instid0(VALU_DEP_2) | instskip(NEXT) | instid1(VALU_DEP_2)
	v_lshlrev_b64_e64 v[18:19], v18, 1
	v_bfi_b32 v17, v17, 0, 0
	s_delay_alu instid0(VALU_DEP_3) | instskip(NEXT) | instid1(VALU_DEP_1)
	v_bfi_b32 v16, v16, 0, v54
	v_cmp_eq_u64_e64 s10, v[16:17], v[18:19]
	v_lshrrev_b64 v[16:17], v63, v[54:55]
	s_delay_alu instid0(VALU_DEP_1)
	v_mov_b64_e32 v[18:19], v[16:17]
	s_and_saveexec_b32 s41, s10
; %bb.5651:                             ;   in Loop: Header=BB6_4515 Depth=2
	v_bfe_u32 v54, v16, 20, 1
	s_delay_alu instid0(VALU_DEP_1) | instskip(NEXT) | instid1(VALU_DEP_1)
	v_add_nc_u64_e32 v[18:19], v[16:17], v[54:55]
	v_add_nc_u64_e32 v[18:19], -1, v[18:19]
; %bb.5652:                             ;   in Loop: Header=BB6_4515 Depth=2
	s_or_b32 exec_lo, exec_lo, s41
	v_add_nc_u32_e32 v17, 0xffffff81, v112
	v_lshrrev_b32_e32 v19, 23, v16
	s_mov_b32 s10, exec_lo
	s_delay_alu instid0(VALU_DEP_2) | instskip(NEXT) | instid1(VALU_DEP_1)
	v_cndmask_b32_e64 v17, v17, 0xffffff82, vcc_lo
	v_add3_u32 v112, v63, v17, v19
	v_and_b32_e32 v17, 0xfffff, v18
                                        ; implicit-def: $vgpr18
	s_delay_alu instid0(VALU_DEP_2) | instskip(NEXT) | instid1(VALU_DEP_2)
	v_add_nc_u32_e32 v19, 6, v112
	v_add_nc_u32_e32 v54, v17, v16
                                        ; implicit-def: $vgpr16_vgpr17
	s_delay_alu instid0(VALU_DEP_2)
	v_cmpx_ne_u32_e32 0, v19
	s_xor_b32 s10, exec_lo, s10
; %bb.5653:                             ;   in Loop: Header=BB6_4515 Depth=2
	s_delay_alu instid0(VALU_DEP_2) | instskip(SKIP_1) | instid1(VALU_DEP_1)
	v_cmp_lt_u64_e32 vcc_lo, 0xffffff, v[54:55]
	v_add_nc_u32_e32 v16, 7, v112
	v_cndmask_b32_e32 v18, v19, v16, vcc_lo
	v_cndmask_b32_e64 v16, 0, 1, vcc_lo
	s_delay_alu instid0(VALU_DEP_1)
	v_lshrrev_b64 v[16:17], v16, v[54:55]
; %bb.5654:                             ;   in Loop: Header=BB6_4515 Depth=2
	s_and_not1_saveexec_b32 s10, s10
; %bb.5655:                             ;   in Loop: Header=BB6_4515 Depth=2
	v_mov_b64_e32 v[16:17], v[54:55]
	v_bfe_u32 v18, v54, 23, 1
; %bb.5656:                             ;   in Loop: Header=BB6_4515 Depth=2
	s_or_b32 exec_lo, exec_lo, s10
	s_delay_alu instid0(VALU_DEP_2) | instskip(NEXT) | instid1(VALU_DEP_2)
	v_lshrrev_b64 v[16:17], 20, v[16:17]
	v_cmp_gt_i32_e32 vcc_lo, 16, v18
	v_cmp_ne_u32_e64 s10, 0, v18
                                        ; implicit-def: $vgpr112
	s_delay_alu instid0(VALU_DEP_3) | instskip(NEXT) | instid1(VALU_DEP_1)
	v_dual_cndmask_b32 v17, 0, v17 :: v_dual_cndmask_b32 v16, 7, v16
	v_cmp_ne_u64_e32 vcc_lo, 0, v[16:17]
	s_or_b32 s10, s10, vcc_lo
	s_delay_alu instid0(SALU_CYCLE_1) | instskip(NEXT) | instid1(SALU_CYCLE_1)
	s_and_saveexec_b32 s41, s10
	s_xor_b32 s10, exec_lo, s41
; %bb.5657:                             ;   in Loop: Header=BB6_4515 Depth=2
	v_min_i32_e32 v17, 15, v18
	s_delay_alu instid0(VALU_DEP_1) | instskip(NEXT) | instid1(VALU_DEP_1)
	v_lshl_or_b32 v17, v17, 3, v62
                                        ; implicit-def: $vgpr62
	v_and_or_b32 v112, v16, 7, v17
; %bb.5658:                             ;   in Loop: Header=BB6_4515 Depth=2
	s_and_not1_saveexec_b32 s10, s10
; %bb.5659:                             ;   in Loop: Header=BB6_4515 Depth=2
	v_mov_b32_e32 v112, v62
; %bb.5660:                             ;   in Loop: Header=BB6_4515 Depth=2
	s_or_b32 exec_lo, exec_lo, s10
.LBB6_5661:                             ;   in Loop: Header=BB6_4515 Depth=2
	s_delay_alu instid0(SALU_CYCLE_1)
	s_or_b32 exec_lo, exec_lo, s40
                                        ; implicit-def: $vgpr62
.LBB6_5662:                             ;   in Loop: Header=BB6_4515 Depth=2
	s_and_not1_saveexec_b32 s10, s29
; %bb.5663:                             ;   in Loop: Header=BB6_4515 Depth=2
	v_or_b32_e32 v112, 0x7e, v62
; %bb.5664:                             ;   in Loop: Header=BB6_4515 Depth=2
	s_or_b32 exec_lo, exec_lo, s10
                                        ; implicit-def: $vgpr17
.LBB6_5665:                             ;   in Loop: Header=BB6_4515 Depth=2
	s_and_not1_saveexec_b32 s10, s11
; %bb.5666:                             ;   in Loop: Header=BB6_4515 Depth=2
	v_or_b32_e32 v112, 0x7f, v17
; %bb.5667:                             ;   in Loop: Header=BB6_4515 Depth=2
	s_or_b32 exec_lo, exec_lo, s10
	v_and_b32_e32 v16, 0xff, v103
	v_dual_mov_b32 v18, 0 :: v_dual_mov_b32 v19, 0
	s_mov_b32 s10, exec_lo
	s_delay_alu instid0(VALU_DEP_2)
	v_cmpx_ne_u16_e32 0, v16
	s_cbranch_execz .LBB6_5675
; %bb.5668:                             ;   in Loop: Header=BB6_4515 Depth=2
	v_bfrev_b32_e32 v19, 1
	s_mov_b32 s11, exec_lo
	v_cmpx_ne_u16_e32 0x80, v16
	s_cbranch_execz .LBB6_5674
; %bb.5669:                             ;   in Loop: Header=BB6_4515 Depth=2
	v_and_b32_e32 v17, 0x7f, v103
	v_mov_b32_e32 v19, 0x7f800001
	s_mov_b32 s29, exec_lo
	s_delay_alu instid0(VALU_DEP_2)
	v_cmpx_ne_u32_e32 0x7f, v17
	s_cbranch_execz .LBB6_5673
; %bb.5670:                             ;   in Loop: Header=BB6_4515 Depth=2
	v_dual_lshrrev_b32 v19, 3, v17 :: v_dual_bitop2_b32 v54, 7, v16 bitop3:0x40
	v_cmp_gt_u32_e32 vcc_lo, 8, v17
	s_delay_alu instid0(VALU_DEP_2)
	v_mov_b64_e32 v[16:17], v[54:55]
	s_and_saveexec_b32 s40, vcc_lo
; %bb.5671:                             ;   in Loop: Header=BB6_4515 Depth=2
	v_clz_i32_u32_e32 v16, v54
	s_delay_alu instid0(VALU_DEP_1) | instskip(NEXT) | instid1(VALU_DEP_1)
	v_min_u32_e32 v19, 32, v16
	v_subrev_nc_u32_e32 v16, 28, v19
	s_delay_alu instid0(VALU_DEP_1) | instskip(NEXT) | instid1(VALU_DEP_1)
	v_lshlrev_b64_e32 v[16:17], v16, v[54:55]
	v_dual_sub_nc_u32 v19, 29, v19 :: v_dual_bitop2_b32 v16, 7, v16 bitop3:0x40
; %bb.5672:                             ;   in Loop: Header=BB6_4515 Depth=2
	s_or_b32 exec_lo, exec_lo, s40
	s_delay_alu instid0(VALU_DEP_1) | instskip(NEXT) | instid1(VALU_DEP_2)
	v_dual_lshlrev_b32 v17, 24, v103 :: v_dual_lshlrev_b32 v16, 20, v16
	v_lshl_add_u32 v19, v19, 23, 0x3c000000
	s_delay_alu instid0(VALU_DEP_2) | instskip(NEXT) | instid1(VALU_DEP_1)
	v_and_b32_e32 v17, 0x80000000, v17
	v_or3_b32 v19, v16, v17, v19
.LBB6_5673:                             ;   in Loop: Header=BB6_4515 Depth=2
	s_or_b32 exec_lo, exec_lo, s29
.LBB6_5674:                             ;   in Loop: Header=BB6_4515 Depth=2
	s_delay_alu instid0(SALU_CYCLE_1)
	s_or_b32 exec_lo, exec_lo, s11
.LBB6_5675:                             ;   in Loop: Header=BB6_4515 Depth=2
	s_delay_alu instid0(SALU_CYCLE_1) | instskip(SKIP_3) | instid1(VALU_DEP_1)
	s_or_b32 exec_lo, exec_lo, s10
	s_wait_loadcnt_dscnt 0x1818
	v_and_b32_e32 v16, 0xff, v61
	s_mov_b32 s10, exec_lo
	v_cmpx_ne_u16_e32 0, v16
	s_cbranch_execz .LBB6_5683
; %bb.5676:                             ;   in Loop: Header=BB6_4515 Depth=2
	v_bfrev_b32_e32 v18, 1
	s_mov_b32 s11, exec_lo
	v_cmpx_ne_u16_e32 0x80, v16
	s_cbranch_execz .LBB6_5682
; %bb.5677:                             ;   in Loop: Header=BB6_4515 Depth=2
	v_and_b32_e32 v17, 0x7f, v61
	v_mov_b32_e32 v18, 0x7f800001
	s_mov_b32 s29, exec_lo
	s_delay_alu instid0(VALU_DEP_2)
	v_cmpx_ne_u32_e32 0x7f, v17
	s_cbranch_execz .LBB6_5681
; %bb.5678:                             ;   in Loop: Header=BB6_4515 Depth=2
	v_dual_lshrrev_b32 v18, 3, v17 :: v_dual_bitop2_b32 v54, 7, v16 bitop3:0x40
	v_cmp_gt_u32_e32 vcc_lo, 8, v17
	s_delay_alu instid0(VALU_DEP_2)
	v_mov_b64_e32 v[16:17], v[54:55]
	s_and_saveexec_b32 s40, vcc_lo
; %bb.5679:                             ;   in Loop: Header=BB6_4515 Depth=2
	v_clz_i32_u32_e32 v16, v54
	s_delay_alu instid0(VALU_DEP_1) | instskip(NEXT) | instid1(VALU_DEP_1)
	v_min_u32_e32 v18, 32, v16
	v_subrev_nc_u32_e32 v16, 28, v18
	s_delay_alu instid0(VALU_DEP_1) | instskip(NEXT) | instid1(VALU_DEP_1)
	v_lshlrev_b64_e32 v[16:17], v16, v[54:55]
	v_dual_sub_nc_u32 v18, 29, v18 :: v_dual_bitop2_b32 v16, 7, v16 bitop3:0x40
; %bb.5680:                             ;   in Loop: Header=BB6_4515 Depth=2
	s_or_b32 exec_lo, exec_lo, s40
	s_delay_alu instid0(VALU_DEP_1) | instskip(NEXT) | instid1(VALU_DEP_2)
	v_dual_lshlrev_b32 v17, 24, v61 :: v_dual_lshlrev_b32 v16, 20, v16
	v_lshl_add_u32 v18, v18, 23, 0x3c000000
	s_delay_alu instid0(VALU_DEP_2) | instskip(NEXT) | instid1(VALU_DEP_1)
	v_and_b32_e32 v17, 0x80000000, v17
	v_or3_b32 v18, v16, v17, v18
.LBB6_5681:                             ;   in Loop: Header=BB6_4515 Depth=2
	s_or_b32 exec_lo, exec_lo, s29
.LBB6_5682:                             ;   in Loop: Header=BB6_4515 Depth=2
	s_delay_alu instid0(SALU_CYCLE_1)
	s_or_b32 exec_lo, exec_lo, s11
.LBB6_5683:                             ;   in Loop: Header=BB6_4515 Depth=2
	s_delay_alu instid0(SALU_CYCLE_1) | instskip(NEXT) | instid1(VALU_DEP_1)
	s_or_b32 exec_lo, exec_lo, s10
	v_add_f32_e32 v16, v19, v18
                                        ; implicit-def: $vgpr103
	s_mov_b32 s10, exec_lo
	s_delay_alu instid0(VALU_DEP_1) | instskip(SKIP_1) | instid1(VALU_DEP_2)
	v_and_b32_e32 v54, 0x7f800000, v16
	v_lshrrev_b32_e32 v17, 24, v16
	v_cmpx_ne_u64_e32 0x7f800000, v[54:55]
	s_xor_b32 s11, exec_lo, s10
	s_cbranch_execz .LBB6_5701
; %bb.5684:                             ;   in Loop: Header=BB6_4515 Depth=2
	v_and_b32_e32 v54, 0x7fffffff, v16
	v_and_b32_e32 v61, 0x80, v17
                                        ; implicit-def: $vgpr103
	s_mov_b32 s10, exec_lo
	s_delay_alu instid0(VALU_DEP_2)
	v_cmpx_gt_u64_e32 0x43e00001, v[54:55]
	s_xor_b32 s29, exec_lo, s10
	s_cbranch_execz .LBB6_5698
; %bb.5685:                             ;   in Loop: Header=BB6_4515 Depth=2
	v_mov_b32_e32 v103, 0
	s_mov_b32 s40, exec_lo
	v_cmpx_ne_u32_e32 0, v16
	s_cbranch_execz .LBB6_5697
; %bb.5686:                             ;   in Loop: Header=BB6_4515 Depth=2
	v_bfe_u32 v103, v16, 23, 8
	v_and_b32_e32 v17, 0x7fffff, v16
	s_delay_alu instid0(VALU_DEP_2) | instskip(SKIP_2) | instid1(VALU_DEP_4)
	v_cmp_gt_u32_e64 s10, 0x7a, v103
	v_sub_nc_u32_e32 v16, 0x79, v103
	v_cmp_eq_u32_e32 vcc_lo, 0, v103
	v_or_b32_e32 v18, 0x800000, v17
	s_delay_alu instid0(VALU_DEP_1) | instskip(NEXT) | instid1(VALU_DEP_1)
	v_dual_cndmask_b32 v16, 0, v16, s10 :: v_dual_cndmask_b32 v54, v18, v17, vcc_lo
	v_cndmask_b32_e64 v62, v16, 0x78, vcc_lo
	s_delay_alu instid0(VALU_DEP_1) | instskip(NEXT) | instid1(VALU_DEP_1)
	v_dual_add_nc_u32 v16, 20, v62 :: v_dual_add_nc_u32 v18, 19, v62
	v_lshlrev_b64_e64 v[16:17], v16, -1
	s_delay_alu instid0(VALU_DEP_2) | instskip(NEXT) | instid1(VALU_DEP_2)
	v_lshlrev_b64_e64 v[18:19], v18, 1
	v_bfi_b32 v17, v17, 0, 0
	s_delay_alu instid0(VALU_DEP_3) | instskip(NEXT) | instid1(VALU_DEP_1)
	v_bfi_b32 v16, v16, 0, v54
	v_cmp_eq_u64_e64 s10, v[16:17], v[18:19]
	v_lshrrev_b64 v[16:17], v62, v[54:55]
	s_delay_alu instid0(VALU_DEP_1)
	v_mov_b64_e32 v[18:19], v[16:17]
	s_and_saveexec_b32 s41, s10
; %bb.5687:                             ;   in Loop: Header=BB6_4515 Depth=2
	v_bfe_u32 v54, v16, 20, 1
	s_delay_alu instid0(VALU_DEP_1) | instskip(NEXT) | instid1(VALU_DEP_1)
	v_add_nc_u64_e32 v[18:19], v[16:17], v[54:55]
	v_add_nc_u64_e32 v[18:19], -1, v[18:19]
; %bb.5688:                             ;   in Loop: Header=BB6_4515 Depth=2
	s_or_b32 exec_lo, exec_lo, s41
	v_add_nc_u32_e32 v17, 0xffffff81, v103
	v_lshrrev_b32_e32 v19, 23, v16
	s_mov_b32 s10, exec_lo
	s_delay_alu instid0(VALU_DEP_2) | instskip(NEXT) | instid1(VALU_DEP_1)
	v_cndmask_b32_e64 v17, v17, 0xffffff82, vcc_lo
	v_add3_u32 v19, v62, v17, v19
	v_and_b32_e32 v17, 0xfffff, v18
                                        ; implicit-def: $vgpr18
	s_delay_alu instid0(VALU_DEP_1) | instskip(NEXT) | instid1(VALU_DEP_1)
	v_dual_add_nc_u32 v103, 6, v19 :: v_dual_add_nc_u32 v54, v17, v16
                                        ; implicit-def: $vgpr16_vgpr17
	v_cmpx_ne_u32_e32 0, v103
	s_xor_b32 s10, exec_lo, s10
; %bb.5689:                             ;   in Loop: Header=BB6_4515 Depth=2
	s_delay_alu instid0(VALU_DEP_2) | instskip(SKIP_1) | instid1(VALU_DEP_1)
	v_cmp_lt_u64_e32 vcc_lo, 0xffffff, v[54:55]
	v_add_nc_u32_e32 v16, 7, v19
	v_cndmask_b32_e32 v18, v103, v16, vcc_lo
	v_cndmask_b32_e64 v16, 0, 1, vcc_lo
	s_delay_alu instid0(VALU_DEP_1)
	v_lshrrev_b64 v[16:17], v16, v[54:55]
; %bb.5690:                             ;   in Loop: Header=BB6_4515 Depth=2
	s_and_not1_saveexec_b32 s10, s10
; %bb.5691:                             ;   in Loop: Header=BB6_4515 Depth=2
	v_mov_b64_e32 v[16:17], v[54:55]
	v_bfe_u32 v18, v54, 23, 1
; %bb.5692:                             ;   in Loop: Header=BB6_4515 Depth=2
	s_or_b32 exec_lo, exec_lo, s10
	s_delay_alu instid0(VALU_DEP_2) | instskip(NEXT) | instid1(VALU_DEP_2)
	v_lshrrev_b64 v[16:17], 20, v[16:17]
	v_cmp_gt_i32_e32 vcc_lo, 16, v18
	v_cmp_ne_u32_e64 s10, 0, v18
                                        ; implicit-def: $vgpr103
	s_delay_alu instid0(VALU_DEP_3) | instskip(NEXT) | instid1(VALU_DEP_1)
	v_dual_cndmask_b32 v17, 0, v17 :: v_dual_cndmask_b32 v16, 7, v16
	v_cmp_ne_u64_e32 vcc_lo, 0, v[16:17]
	s_or_b32 s10, s10, vcc_lo
	s_delay_alu instid0(SALU_CYCLE_1) | instskip(NEXT) | instid1(SALU_CYCLE_1)
	s_and_saveexec_b32 s41, s10
	s_xor_b32 s10, exec_lo, s41
; %bb.5693:                             ;   in Loop: Header=BB6_4515 Depth=2
	v_min_i32_e32 v17, 15, v18
	s_delay_alu instid0(VALU_DEP_1) | instskip(NEXT) | instid1(VALU_DEP_1)
	v_lshl_or_b32 v17, v17, 3, v61
                                        ; implicit-def: $vgpr61
	v_and_or_b32 v103, v16, 7, v17
; %bb.5694:                             ;   in Loop: Header=BB6_4515 Depth=2
	s_and_not1_saveexec_b32 s10, s10
; %bb.5695:                             ;   in Loop: Header=BB6_4515 Depth=2
	v_mov_b32_e32 v103, v61
; %bb.5696:                             ;   in Loop: Header=BB6_4515 Depth=2
	s_or_b32 exec_lo, exec_lo, s10
.LBB6_5697:                             ;   in Loop: Header=BB6_4515 Depth=2
	s_delay_alu instid0(SALU_CYCLE_1)
	s_or_b32 exec_lo, exec_lo, s40
                                        ; implicit-def: $vgpr61
.LBB6_5698:                             ;   in Loop: Header=BB6_4515 Depth=2
	s_and_not1_saveexec_b32 s10, s29
; %bb.5699:                             ;   in Loop: Header=BB6_4515 Depth=2
	v_or_b32_e32 v103, 0x7e, v61
; %bb.5700:                             ;   in Loop: Header=BB6_4515 Depth=2
	s_or_b32 exec_lo, exec_lo, s10
                                        ; implicit-def: $vgpr17
.LBB6_5701:                             ;   in Loop: Header=BB6_4515 Depth=2
	s_and_not1_saveexec_b32 s10, s11
; %bb.5702:                             ;   in Loop: Header=BB6_4515 Depth=2
	v_or_b32_e32 v103, 0x7f, v17
; %bb.5703:                             ;   in Loop: Header=BB6_4515 Depth=2
	s_or_b32 exec_lo, exec_lo, s10
	v_and_b32_e32 v16, 0xff, v102
	v_dual_mov_b32 v18, 0 :: v_dual_mov_b32 v19, 0
	s_mov_b32 s10, exec_lo
	s_delay_alu instid0(VALU_DEP_2)
	v_cmpx_ne_u16_e32 0, v16
	s_cbranch_execz .LBB6_5711
; %bb.5704:                             ;   in Loop: Header=BB6_4515 Depth=2
	v_bfrev_b32_e32 v19, 1
	s_mov_b32 s11, exec_lo
	v_cmpx_ne_u16_e32 0x80, v16
	s_cbranch_execz .LBB6_5710
; %bb.5705:                             ;   in Loop: Header=BB6_4515 Depth=2
	v_and_b32_e32 v17, 0x7f, v102
	v_mov_b32_e32 v19, 0x7f800001
	s_mov_b32 s29, exec_lo
	s_delay_alu instid0(VALU_DEP_2)
	v_cmpx_ne_u32_e32 0x7f, v17
	s_cbranch_execz .LBB6_5709
; %bb.5706:                             ;   in Loop: Header=BB6_4515 Depth=2
	v_dual_lshrrev_b32 v19, 3, v17 :: v_dual_bitop2_b32 v54, 7, v16 bitop3:0x40
	v_cmp_gt_u32_e32 vcc_lo, 8, v17
	s_delay_alu instid0(VALU_DEP_2)
	v_mov_b64_e32 v[16:17], v[54:55]
	s_and_saveexec_b32 s40, vcc_lo
; %bb.5707:                             ;   in Loop: Header=BB6_4515 Depth=2
	v_clz_i32_u32_e32 v16, v54
	s_delay_alu instid0(VALU_DEP_1) | instskip(NEXT) | instid1(VALU_DEP_1)
	v_min_u32_e32 v19, 32, v16
	v_subrev_nc_u32_e32 v16, 28, v19
	s_delay_alu instid0(VALU_DEP_1) | instskip(NEXT) | instid1(VALU_DEP_1)
	v_lshlrev_b64_e32 v[16:17], v16, v[54:55]
	v_dual_sub_nc_u32 v19, 29, v19 :: v_dual_bitop2_b32 v16, 7, v16 bitop3:0x40
; %bb.5708:                             ;   in Loop: Header=BB6_4515 Depth=2
	s_or_b32 exec_lo, exec_lo, s40
	s_delay_alu instid0(VALU_DEP_1) | instskip(NEXT) | instid1(VALU_DEP_2)
	v_dual_lshlrev_b32 v17, 24, v102 :: v_dual_lshlrev_b32 v16, 20, v16
	v_lshl_add_u32 v19, v19, 23, 0x3c000000
	s_delay_alu instid0(VALU_DEP_2) | instskip(NEXT) | instid1(VALU_DEP_1)
	v_and_b32_e32 v17, 0x80000000, v17
	v_or3_b32 v19, v16, v17, v19
.LBB6_5709:                             ;   in Loop: Header=BB6_4515 Depth=2
	s_or_b32 exec_lo, exec_lo, s29
.LBB6_5710:                             ;   in Loop: Header=BB6_4515 Depth=2
	s_delay_alu instid0(SALU_CYCLE_1)
	s_or_b32 exec_lo, exec_lo, s11
.LBB6_5711:                             ;   in Loop: Header=BB6_4515 Depth=2
	s_delay_alu instid0(SALU_CYCLE_1) | instskip(SKIP_3) | instid1(VALU_DEP_1)
	s_or_b32 exec_lo, exec_lo, s10
	s_wait_loadcnt_dscnt 0x1717
	v_and_b32_e32 v16, 0xff, v60
	s_mov_b32 s10, exec_lo
	v_cmpx_ne_u16_e32 0, v16
	s_cbranch_execz .LBB6_5719
; %bb.5712:                             ;   in Loop: Header=BB6_4515 Depth=2
	v_bfrev_b32_e32 v18, 1
	s_mov_b32 s11, exec_lo
	v_cmpx_ne_u16_e32 0x80, v16
	s_cbranch_execz .LBB6_5718
; %bb.5713:                             ;   in Loop: Header=BB6_4515 Depth=2
	v_and_b32_e32 v17, 0x7f, v60
	v_mov_b32_e32 v18, 0x7f800001
	s_mov_b32 s29, exec_lo
	s_delay_alu instid0(VALU_DEP_2)
	v_cmpx_ne_u32_e32 0x7f, v17
	s_cbranch_execz .LBB6_5717
; %bb.5714:                             ;   in Loop: Header=BB6_4515 Depth=2
	v_dual_lshrrev_b32 v18, 3, v17 :: v_dual_bitop2_b32 v54, 7, v16 bitop3:0x40
	v_cmp_gt_u32_e32 vcc_lo, 8, v17
	s_delay_alu instid0(VALU_DEP_2)
	v_mov_b64_e32 v[16:17], v[54:55]
	s_and_saveexec_b32 s40, vcc_lo
; %bb.5715:                             ;   in Loop: Header=BB6_4515 Depth=2
	v_clz_i32_u32_e32 v16, v54
	s_delay_alu instid0(VALU_DEP_1) | instskip(NEXT) | instid1(VALU_DEP_1)
	v_min_u32_e32 v18, 32, v16
	v_subrev_nc_u32_e32 v16, 28, v18
	s_delay_alu instid0(VALU_DEP_1) | instskip(NEXT) | instid1(VALU_DEP_1)
	v_lshlrev_b64_e32 v[16:17], v16, v[54:55]
	v_dual_sub_nc_u32 v18, 29, v18 :: v_dual_bitop2_b32 v16, 7, v16 bitop3:0x40
; %bb.5716:                             ;   in Loop: Header=BB6_4515 Depth=2
	s_or_b32 exec_lo, exec_lo, s40
	v_lshlrev_b32_e32 v17, 24, v60
	s_delay_alu instid0(VALU_DEP_2) | instskip(NEXT) | instid1(VALU_DEP_3)
	v_lshlrev_b32_e32 v16, 20, v16
	v_lshl_add_u32 v18, v18, 23, 0x3c000000
	s_delay_alu instid0(VALU_DEP_3) | instskip(NEXT) | instid1(VALU_DEP_1)
	v_and_b32_e32 v17, 0x80000000, v17
	v_or3_b32 v18, v16, v17, v18
.LBB6_5717:                             ;   in Loop: Header=BB6_4515 Depth=2
	s_or_b32 exec_lo, exec_lo, s29
.LBB6_5718:                             ;   in Loop: Header=BB6_4515 Depth=2
	s_delay_alu instid0(SALU_CYCLE_1)
	s_or_b32 exec_lo, exec_lo, s11
.LBB6_5719:                             ;   in Loop: Header=BB6_4515 Depth=2
	s_delay_alu instid0(SALU_CYCLE_1) | instskip(NEXT) | instid1(VALU_DEP_1)
	s_or_b32 exec_lo, exec_lo, s10
	v_add_f32_e32 v16, v19, v18
                                        ; implicit-def: $vgpr102
	s_mov_b32 s10, exec_lo
	s_delay_alu instid0(VALU_DEP_1) | instskip(SKIP_1) | instid1(VALU_DEP_2)
	v_and_b32_e32 v54, 0x7f800000, v16
	v_lshrrev_b32_e32 v17, 24, v16
	v_cmpx_ne_u64_e32 0x7f800000, v[54:55]
	s_xor_b32 s11, exec_lo, s10
	s_cbranch_execz .LBB6_5737
; %bb.5720:                             ;   in Loop: Header=BB6_4515 Depth=2
	v_and_b32_e32 v54, 0x7fffffff, v16
	v_and_b32_e32 v60, 0x80, v17
                                        ; implicit-def: $vgpr102
	s_mov_b32 s10, exec_lo
	s_delay_alu instid0(VALU_DEP_2)
	v_cmpx_gt_u64_e32 0x43e00001, v[54:55]
	s_xor_b32 s29, exec_lo, s10
	s_cbranch_execz .LBB6_5734
; %bb.5721:                             ;   in Loop: Header=BB6_4515 Depth=2
	v_mov_b32_e32 v102, 0
	s_mov_b32 s40, exec_lo
	v_cmpx_ne_u32_e32 0, v16
	s_cbranch_execz .LBB6_5733
; %bb.5722:                             ;   in Loop: Header=BB6_4515 Depth=2
	v_bfe_u32 v102, v16, 23, 8
	v_and_b32_e32 v17, 0x7fffff, v16
	s_delay_alu instid0(VALU_DEP_2) | instskip(SKIP_2) | instid1(VALU_DEP_4)
	v_cmp_gt_u32_e64 s10, 0x7a, v102
	v_sub_nc_u32_e32 v16, 0x79, v102
	v_cmp_eq_u32_e32 vcc_lo, 0, v102
	v_or_b32_e32 v18, 0x800000, v17
	s_delay_alu instid0(VALU_DEP_1) | instskip(NEXT) | instid1(VALU_DEP_1)
	v_dual_cndmask_b32 v16, 0, v16, s10 :: v_dual_cndmask_b32 v54, v18, v17, vcc_lo
	v_cndmask_b32_e64 v61, v16, 0x78, vcc_lo
	s_delay_alu instid0(VALU_DEP_1) | instskip(NEXT) | instid1(VALU_DEP_1)
	v_dual_add_nc_u32 v16, 20, v61 :: v_dual_add_nc_u32 v18, 19, v61
	v_lshlrev_b64_e64 v[16:17], v16, -1
	s_delay_alu instid0(VALU_DEP_2) | instskip(NEXT) | instid1(VALU_DEP_2)
	v_lshlrev_b64_e64 v[18:19], v18, 1
	v_bfi_b32 v17, v17, 0, 0
	s_delay_alu instid0(VALU_DEP_3) | instskip(NEXT) | instid1(VALU_DEP_1)
	v_bfi_b32 v16, v16, 0, v54
	v_cmp_eq_u64_e64 s10, v[16:17], v[18:19]
	v_lshrrev_b64 v[16:17], v61, v[54:55]
	s_delay_alu instid0(VALU_DEP_1)
	v_mov_b64_e32 v[18:19], v[16:17]
	s_and_saveexec_b32 s41, s10
; %bb.5723:                             ;   in Loop: Header=BB6_4515 Depth=2
	v_bfe_u32 v54, v16, 20, 1
	s_delay_alu instid0(VALU_DEP_1) | instskip(NEXT) | instid1(VALU_DEP_1)
	v_add_nc_u64_e32 v[18:19], v[16:17], v[54:55]
	v_add_nc_u64_e32 v[18:19], -1, v[18:19]
; %bb.5724:                             ;   in Loop: Header=BB6_4515 Depth=2
	s_or_b32 exec_lo, exec_lo, s41
	v_add_nc_u32_e32 v17, 0xffffff81, v102
	v_lshrrev_b32_e32 v19, 23, v16
	s_mov_b32 s10, exec_lo
	s_delay_alu instid0(VALU_DEP_2) | instskip(NEXT) | instid1(VALU_DEP_1)
	v_cndmask_b32_e64 v17, v17, 0xffffff82, vcc_lo
	v_add3_u32 v19, v61, v17, v19
	v_and_b32_e32 v17, 0xfffff, v18
                                        ; implicit-def: $vgpr18
	s_delay_alu instid0(VALU_DEP_1) | instskip(NEXT) | instid1(VALU_DEP_1)
	v_dual_add_nc_u32 v102, 6, v19 :: v_dual_add_nc_u32 v54, v17, v16
                                        ; implicit-def: $vgpr16_vgpr17
	v_cmpx_ne_u32_e32 0, v102
	s_xor_b32 s10, exec_lo, s10
; %bb.5725:                             ;   in Loop: Header=BB6_4515 Depth=2
	s_delay_alu instid0(VALU_DEP_2) | instskip(SKIP_1) | instid1(VALU_DEP_1)
	v_cmp_lt_u64_e32 vcc_lo, 0xffffff, v[54:55]
	v_add_nc_u32_e32 v16, 7, v19
	v_cndmask_b32_e32 v18, v102, v16, vcc_lo
	v_cndmask_b32_e64 v16, 0, 1, vcc_lo
	s_delay_alu instid0(VALU_DEP_1)
	v_lshrrev_b64 v[16:17], v16, v[54:55]
; %bb.5726:                             ;   in Loop: Header=BB6_4515 Depth=2
	s_and_not1_saveexec_b32 s10, s10
; %bb.5727:                             ;   in Loop: Header=BB6_4515 Depth=2
	v_mov_b64_e32 v[16:17], v[54:55]
	v_bfe_u32 v18, v54, 23, 1
; %bb.5728:                             ;   in Loop: Header=BB6_4515 Depth=2
	s_or_b32 exec_lo, exec_lo, s10
	s_delay_alu instid0(VALU_DEP_2) | instskip(NEXT) | instid1(VALU_DEP_2)
	v_lshrrev_b64 v[16:17], 20, v[16:17]
	v_cmp_gt_i32_e32 vcc_lo, 16, v18
	v_cmp_ne_u32_e64 s10, 0, v18
                                        ; implicit-def: $vgpr102
	s_delay_alu instid0(VALU_DEP_3) | instskip(NEXT) | instid1(VALU_DEP_1)
	v_dual_cndmask_b32 v17, 0, v17 :: v_dual_cndmask_b32 v16, 7, v16
	v_cmp_ne_u64_e32 vcc_lo, 0, v[16:17]
	s_or_b32 s10, s10, vcc_lo
	s_delay_alu instid0(SALU_CYCLE_1) | instskip(NEXT) | instid1(SALU_CYCLE_1)
	s_and_saveexec_b32 s41, s10
	s_xor_b32 s10, exec_lo, s41
; %bb.5729:                             ;   in Loop: Header=BB6_4515 Depth=2
	v_min_i32_e32 v17, 15, v18
	s_delay_alu instid0(VALU_DEP_1) | instskip(NEXT) | instid1(VALU_DEP_1)
	v_lshl_or_b32 v17, v17, 3, v60
                                        ; implicit-def: $vgpr60
	v_and_or_b32 v102, v16, 7, v17
; %bb.5730:                             ;   in Loop: Header=BB6_4515 Depth=2
	s_and_not1_saveexec_b32 s10, s10
; %bb.5731:                             ;   in Loop: Header=BB6_4515 Depth=2
	v_mov_b32_e32 v102, v60
; %bb.5732:                             ;   in Loop: Header=BB6_4515 Depth=2
	s_or_b32 exec_lo, exec_lo, s10
.LBB6_5733:                             ;   in Loop: Header=BB6_4515 Depth=2
	s_delay_alu instid0(SALU_CYCLE_1)
	s_or_b32 exec_lo, exec_lo, s40
                                        ; implicit-def: $vgpr60
.LBB6_5734:                             ;   in Loop: Header=BB6_4515 Depth=2
	s_and_not1_saveexec_b32 s10, s29
; %bb.5735:                             ;   in Loop: Header=BB6_4515 Depth=2
	v_or_b32_e32 v102, 0x7e, v60
; %bb.5736:                             ;   in Loop: Header=BB6_4515 Depth=2
	s_or_b32 exec_lo, exec_lo, s10
                                        ; implicit-def: $vgpr17
.LBB6_5737:                             ;   in Loop: Header=BB6_4515 Depth=2
	s_and_not1_saveexec_b32 s10, s11
; %bb.5738:                             ;   in Loop: Header=BB6_4515 Depth=2
	v_or_b32_e32 v102, 0x7f, v17
; %bb.5739:                             ;   in Loop: Header=BB6_4515 Depth=2
	s_or_b32 exec_lo, exec_lo, s10
	v_and_b32_e32 v16, 0xff, v99
	v_dual_mov_b32 v18, 0 :: v_dual_mov_b32 v19, 0
	s_mov_b32 s10, exec_lo
	s_delay_alu instid0(VALU_DEP_2)
	v_cmpx_ne_u16_e32 0, v16
	s_cbranch_execz .LBB6_5747
; %bb.5740:                             ;   in Loop: Header=BB6_4515 Depth=2
	v_bfrev_b32_e32 v19, 1
	s_mov_b32 s11, exec_lo
	v_cmpx_ne_u16_e32 0x80, v16
	s_cbranch_execz .LBB6_5746
; %bb.5741:                             ;   in Loop: Header=BB6_4515 Depth=2
	v_and_b32_e32 v17, 0x7f, v99
	v_mov_b32_e32 v19, 0x7f800001
	s_mov_b32 s29, exec_lo
	s_delay_alu instid0(VALU_DEP_2)
	v_cmpx_ne_u32_e32 0x7f, v17
	s_cbranch_execz .LBB6_5745
; %bb.5742:                             ;   in Loop: Header=BB6_4515 Depth=2
	v_dual_lshrrev_b32 v19, 3, v17 :: v_dual_bitop2_b32 v54, 7, v16 bitop3:0x40
	v_cmp_gt_u32_e32 vcc_lo, 8, v17
	s_delay_alu instid0(VALU_DEP_2)
	v_mov_b64_e32 v[16:17], v[54:55]
	s_and_saveexec_b32 s40, vcc_lo
; %bb.5743:                             ;   in Loop: Header=BB6_4515 Depth=2
	v_clz_i32_u32_e32 v16, v54
	s_delay_alu instid0(VALU_DEP_1) | instskip(NEXT) | instid1(VALU_DEP_1)
	v_min_u32_e32 v19, 32, v16
	v_subrev_nc_u32_e32 v16, 28, v19
	s_delay_alu instid0(VALU_DEP_1) | instskip(NEXT) | instid1(VALU_DEP_1)
	v_lshlrev_b64_e32 v[16:17], v16, v[54:55]
	v_dual_sub_nc_u32 v19, 29, v19 :: v_dual_bitop2_b32 v16, 7, v16 bitop3:0x40
; %bb.5744:                             ;   in Loop: Header=BB6_4515 Depth=2
	s_or_b32 exec_lo, exec_lo, s40
	s_delay_alu instid0(VALU_DEP_1) | instskip(NEXT) | instid1(VALU_DEP_2)
	v_dual_lshlrev_b32 v17, 24, v99 :: v_dual_lshlrev_b32 v16, 20, v16
	v_lshl_add_u32 v19, v19, 23, 0x3c000000
	s_delay_alu instid0(VALU_DEP_2) | instskip(NEXT) | instid1(VALU_DEP_1)
	v_and_b32_e32 v17, 0x80000000, v17
	v_or3_b32 v19, v16, v17, v19
.LBB6_5745:                             ;   in Loop: Header=BB6_4515 Depth=2
	s_or_b32 exec_lo, exec_lo, s29
.LBB6_5746:                             ;   in Loop: Header=BB6_4515 Depth=2
	s_delay_alu instid0(SALU_CYCLE_1)
	s_or_b32 exec_lo, exec_lo, s11
.LBB6_5747:                             ;   in Loop: Header=BB6_4515 Depth=2
	s_delay_alu instid0(SALU_CYCLE_1) | instskip(SKIP_3) | instid1(VALU_DEP_1)
	s_or_b32 exec_lo, exec_lo, s10
	s_wait_loadcnt_dscnt 0x1616
	v_and_b32_e32 v16, 0xff, v59
	s_mov_b32 s10, exec_lo
	v_cmpx_ne_u16_e32 0, v16
	s_cbranch_execz .LBB6_5755
; %bb.5748:                             ;   in Loop: Header=BB6_4515 Depth=2
	v_bfrev_b32_e32 v18, 1
	s_mov_b32 s11, exec_lo
	v_cmpx_ne_u16_e32 0x80, v16
	s_cbranch_execz .LBB6_5754
; %bb.5749:                             ;   in Loop: Header=BB6_4515 Depth=2
	v_and_b32_e32 v17, 0x7f, v59
	v_mov_b32_e32 v18, 0x7f800001
	s_mov_b32 s29, exec_lo
	s_delay_alu instid0(VALU_DEP_2)
	v_cmpx_ne_u32_e32 0x7f, v17
	s_cbranch_execz .LBB6_5753
; %bb.5750:                             ;   in Loop: Header=BB6_4515 Depth=2
	v_dual_lshrrev_b32 v18, 3, v17 :: v_dual_bitop2_b32 v54, 7, v16 bitop3:0x40
	v_cmp_gt_u32_e32 vcc_lo, 8, v17
	s_delay_alu instid0(VALU_DEP_2)
	v_mov_b64_e32 v[16:17], v[54:55]
	s_and_saveexec_b32 s40, vcc_lo
; %bb.5751:                             ;   in Loop: Header=BB6_4515 Depth=2
	v_clz_i32_u32_e32 v16, v54
	s_delay_alu instid0(VALU_DEP_1) | instskip(NEXT) | instid1(VALU_DEP_1)
	v_min_u32_e32 v18, 32, v16
	v_subrev_nc_u32_e32 v16, 28, v18
	s_delay_alu instid0(VALU_DEP_1) | instskip(NEXT) | instid1(VALU_DEP_1)
	v_lshlrev_b64_e32 v[16:17], v16, v[54:55]
	v_dual_sub_nc_u32 v18, 29, v18 :: v_dual_bitop2_b32 v16, 7, v16 bitop3:0x40
; %bb.5752:                             ;   in Loop: Header=BB6_4515 Depth=2
	s_or_b32 exec_lo, exec_lo, s40
	s_delay_alu instid0(VALU_DEP_1) | instskip(NEXT) | instid1(VALU_DEP_2)
	v_dual_lshlrev_b32 v17, 24, v59 :: v_dual_lshlrev_b32 v16, 20, v16
	v_lshl_add_u32 v18, v18, 23, 0x3c000000
	s_delay_alu instid0(VALU_DEP_2) | instskip(NEXT) | instid1(VALU_DEP_1)
	v_and_b32_e32 v17, 0x80000000, v17
	v_or3_b32 v18, v16, v17, v18
.LBB6_5753:                             ;   in Loop: Header=BB6_4515 Depth=2
	s_or_b32 exec_lo, exec_lo, s29
.LBB6_5754:                             ;   in Loop: Header=BB6_4515 Depth=2
	s_delay_alu instid0(SALU_CYCLE_1)
	s_or_b32 exec_lo, exec_lo, s11
.LBB6_5755:                             ;   in Loop: Header=BB6_4515 Depth=2
	s_delay_alu instid0(SALU_CYCLE_1) | instskip(NEXT) | instid1(VALU_DEP_1)
	s_or_b32 exec_lo, exec_lo, s10
	v_add_f32_e32 v16, v19, v18
                                        ; implicit-def: $vgpr99
	s_mov_b32 s10, exec_lo
	s_delay_alu instid0(VALU_DEP_1) | instskip(SKIP_1) | instid1(VALU_DEP_2)
	v_and_b32_e32 v54, 0x7f800000, v16
	v_lshrrev_b32_e32 v17, 24, v16
	v_cmpx_ne_u64_e32 0x7f800000, v[54:55]
	s_xor_b32 s11, exec_lo, s10
	s_cbranch_execz .LBB6_5773
; %bb.5756:                             ;   in Loop: Header=BB6_4515 Depth=2
	v_and_b32_e32 v54, 0x7fffffff, v16
	v_and_b32_e32 v59, 0x80, v17
                                        ; implicit-def: $vgpr99
	s_mov_b32 s10, exec_lo
	s_delay_alu instid0(VALU_DEP_2)
	v_cmpx_gt_u64_e32 0x43e00001, v[54:55]
	s_xor_b32 s29, exec_lo, s10
	s_cbranch_execz .LBB6_5770
; %bb.5757:                             ;   in Loop: Header=BB6_4515 Depth=2
	v_mov_b32_e32 v99, 0
	s_mov_b32 s40, exec_lo
	v_cmpx_ne_u32_e32 0, v16
	s_cbranch_execz .LBB6_5769
; %bb.5758:                             ;   in Loop: Header=BB6_4515 Depth=2
	v_bfe_u32 v99, v16, 23, 8
	v_and_b32_e32 v17, 0x7fffff, v16
	s_delay_alu instid0(VALU_DEP_2) | instskip(SKIP_2) | instid1(VALU_DEP_4)
	v_cmp_gt_u32_e64 s10, 0x7a, v99
	v_sub_nc_u32_e32 v16, 0x79, v99
	v_cmp_eq_u32_e32 vcc_lo, 0, v99
	v_or_b32_e32 v18, 0x800000, v17
	s_delay_alu instid0(VALU_DEP_1) | instskip(NEXT) | instid1(VALU_DEP_1)
	v_dual_cndmask_b32 v16, 0, v16, s10 :: v_dual_cndmask_b32 v54, v18, v17, vcc_lo
	v_cndmask_b32_e64 v60, v16, 0x78, vcc_lo
	s_delay_alu instid0(VALU_DEP_1) | instskip(NEXT) | instid1(VALU_DEP_1)
	v_dual_add_nc_u32 v16, 20, v60 :: v_dual_add_nc_u32 v18, 19, v60
	v_lshlrev_b64_e64 v[16:17], v16, -1
	s_delay_alu instid0(VALU_DEP_2) | instskip(NEXT) | instid1(VALU_DEP_2)
	v_lshlrev_b64_e64 v[18:19], v18, 1
	v_bfi_b32 v17, v17, 0, 0
	s_delay_alu instid0(VALU_DEP_3) | instskip(NEXT) | instid1(VALU_DEP_1)
	v_bfi_b32 v16, v16, 0, v54
	v_cmp_eq_u64_e64 s10, v[16:17], v[18:19]
	v_lshrrev_b64 v[16:17], v60, v[54:55]
	s_delay_alu instid0(VALU_DEP_1)
	v_mov_b64_e32 v[18:19], v[16:17]
	s_and_saveexec_b32 s41, s10
; %bb.5759:                             ;   in Loop: Header=BB6_4515 Depth=2
	v_bfe_u32 v54, v16, 20, 1
	s_delay_alu instid0(VALU_DEP_1) | instskip(NEXT) | instid1(VALU_DEP_1)
	v_add_nc_u64_e32 v[18:19], v[16:17], v[54:55]
	v_add_nc_u64_e32 v[18:19], -1, v[18:19]
; %bb.5760:                             ;   in Loop: Header=BB6_4515 Depth=2
	s_or_b32 exec_lo, exec_lo, s41
	v_add_nc_u32_e32 v17, 0xffffff81, v99
	v_lshrrev_b32_e32 v19, 23, v16
	s_mov_b32 s10, exec_lo
	s_delay_alu instid0(VALU_DEP_2) | instskip(NEXT) | instid1(VALU_DEP_1)
	v_cndmask_b32_e64 v17, v17, 0xffffff82, vcc_lo
	v_add3_u32 v19, v60, v17, v19
	v_and_b32_e32 v17, 0xfffff, v18
                                        ; implicit-def: $vgpr18
	s_delay_alu instid0(VALU_DEP_1) | instskip(NEXT) | instid1(VALU_DEP_1)
	v_dual_add_nc_u32 v99, 6, v19 :: v_dual_add_nc_u32 v54, v17, v16
                                        ; implicit-def: $vgpr16_vgpr17
	v_cmpx_ne_u32_e32 0, v99
	s_xor_b32 s10, exec_lo, s10
; %bb.5761:                             ;   in Loop: Header=BB6_4515 Depth=2
	s_delay_alu instid0(VALU_DEP_2) | instskip(SKIP_1) | instid1(VALU_DEP_1)
	v_cmp_lt_u64_e32 vcc_lo, 0xffffff, v[54:55]
	v_add_nc_u32_e32 v16, 7, v19
	v_cndmask_b32_e32 v18, v99, v16, vcc_lo
	v_cndmask_b32_e64 v16, 0, 1, vcc_lo
	s_delay_alu instid0(VALU_DEP_1)
	v_lshrrev_b64 v[16:17], v16, v[54:55]
; %bb.5762:                             ;   in Loop: Header=BB6_4515 Depth=2
	s_and_not1_saveexec_b32 s10, s10
; %bb.5763:                             ;   in Loop: Header=BB6_4515 Depth=2
	v_mov_b64_e32 v[16:17], v[54:55]
	v_bfe_u32 v18, v54, 23, 1
; %bb.5764:                             ;   in Loop: Header=BB6_4515 Depth=2
	s_or_b32 exec_lo, exec_lo, s10
	s_delay_alu instid0(VALU_DEP_2) | instskip(NEXT) | instid1(VALU_DEP_2)
	v_lshrrev_b64 v[16:17], 20, v[16:17]
	v_cmp_gt_i32_e32 vcc_lo, 16, v18
	v_cmp_ne_u32_e64 s10, 0, v18
                                        ; implicit-def: $vgpr99
	s_delay_alu instid0(VALU_DEP_3) | instskip(NEXT) | instid1(VALU_DEP_1)
	v_dual_cndmask_b32 v17, 0, v17 :: v_dual_cndmask_b32 v16, 7, v16
	v_cmp_ne_u64_e32 vcc_lo, 0, v[16:17]
	s_or_b32 s10, s10, vcc_lo
	s_delay_alu instid0(SALU_CYCLE_1) | instskip(NEXT) | instid1(SALU_CYCLE_1)
	s_and_saveexec_b32 s41, s10
	s_xor_b32 s10, exec_lo, s41
; %bb.5765:                             ;   in Loop: Header=BB6_4515 Depth=2
	v_min_i32_e32 v17, 15, v18
	s_delay_alu instid0(VALU_DEP_1) | instskip(NEXT) | instid1(VALU_DEP_1)
	v_lshl_or_b32 v17, v17, 3, v59
                                        ; implicit-def: $vgpr59
	v_and_or_b32 v99, v16, 7, v17
; %bb.5766:                             ;   in Loop: Header=BB6_4515 Depth=2
	s_and_not1_saveexec_b32 s10, s10
; %bb.5767:                             ;   in Loop: Header=BB6_4515 Depth=2
	v_mov_b32_e32 v99, v59
; %bb.5768:                             ;   in Loop: Header=BB6_4515 Depth=2
	s_or_b32 exec_lo, exec_lo, s10
.LBB6_5769:                             ;   in Loop: Header=BB6_4515 Depth=2
	s_delay_alu instid0(SALU_CYCLE_1)
	s_or_b32 exec_lo, exec_lo, s40
                                        ; implicit-def: $vgpr59
.LBB6_5770:                             ;   in Loop: Header=BB6_4515 Depth=2
	s_and_not1_saveexec_b32 s10, s29
; %bb.5771:                             ;   in Loop: Header=BB6_4515 Depth=2
	v_or_b32_e32 v99, 0x7e, v59
; %bb.5772:                             ;   in Loop: Header=BB6_4515 Depth=2
	s_or_b32 exec_lo, exec_lo, s10
                                        ; implicit-def: $vgpr17
.LBB6_5773:                             ;   in Loop: Header=BB6_4515 Depth=2
	s_and_not1_saveexec_b32 s10, s11
; %bb.5774:                             ;   in Loop: Header=BB6_4515 Depth=2
	v_or_b32_e32 v99, 0x7f, v17
; %bb.5775:                             ;   in Loop: Header=BB6_4515 Depth=2
	s_or_b32 exec_lo, exec_lo, s10
	v_and_b32_e32 v16, 0xff, v98
	v_dual_mov_b32 v18, 0 :: v_dual_mov_b32 v19, 0
	s_mov_b32 s10, exec_lo
	s_delay_alu instid0(VALU_DEP_2)
	v_cmpx_ne_u16_e32 0, v16
	s_cbranch_execz .LBB6_5783
; %bb.5776:                             ;   in Loop: Header=BB6_4515 Depth=2
	v_bfrev_b32_e32 v19, 1
	s_mov_b32 s11, exec_lo
	v_cmpx_ne_u16_e32 0x80, v16
	s_cbranch_execz .LBB6_5782
; %bb.5777:                             ;   in Loop: Header=BB6_4515 Depth=2
	v_and_b32_e32 v17, 0x7f, v98
	v_mov_b32_e32 v19, 0x7f800001
	s_mov_b32 s29, exec_lo
	s_delay_alu instid0(VALU_DEP_2)
	v_cmpx_ne_u32_e32 0x7f, v17
	s_cbranch_execz .LBB6_5781
; %bb.5778:                             ;   in Loop: Header=BB6_4515 Depth=2
	v_dual_lshrrev_b32 v19, 3, v17 :: v_dual_bitop2_b32 v54, 7, v16 bitop3:0x40
	v_cmp_gt_u32_e32 vcc_lo, 8, v17
	s_delay_alu instid0(VALU_DEP_2)
	v_mov_b64_e32 v[16:17], v[54:55]
	s_and_saveexec_b32 s40, vcc_lo
; %bb.5779:                             ;   in Loop: Header=BB6_4515 Depth=2
	v_clz_i32_u32_e32 v16, v54
	s_delay_alu instid0(VALU_DEP_1) | instskip(NEXT) | instid1(VALU_DEP_1)
	v_min_u32_e32 v19, 32, v16
	v_subrev_nc_u32_e32 v16, 28, v19
	s_delay_alu instid0(VALU_DEP_1) | instskip(NEXT) | instid1(VALU_DEP_1)
	v_lshlrev_b64_e32 v[16:17], v16, v[54:55]
	v_dual_sub_nc_u32 v19, 29, v19 :: v_dual_bitop2_b32 v16, 7, v16 bitop3:0x40
; %bb.5780:                             ;   in Loop: Header=BB6_4515 Depth=2
	s_or_b32 exec_lo, exec_lo, s40
	s_delay_alu instid0(VALU_DEP_1) | instskip(NEXT) | instid1(VALU_DEP_2)
	v_dual_lshlrev_b32 v17, 24, v98 :: v_dual_lshlrev_b32 v16, 20, v16
	v_lshl_add_u32 v19, v19, 23, 0x3c000000
	s_delay_alu instid0(VALU_DEP_2) | instskip(NEXT) | instid1(VALU_DEP_1)
	v_and_b32_e32 v17, 0x80000000, v17
	v_or3_b32 v19, v16, v17, v19
.LBB6_5781:                             ;   in Loop: Header=BB6_4515 Depth=2
	s_or_b32 exec_lo, exec_lo, s29
.LBB6_5782:                             ;   in Loop: Header=BB6_4515 Depth=2
	s_delay_alu instid0(SALU_CYCLE_1)
	s_or_b32 exec_lo, exec_lo, s11
.LBB6_5783:                             ;   in Loop: Header=BB6_4515 Depth=2
	s_delay_alu instid0(SALU_CYCLE_1) | instskip(SKIP_3) | instid1(VALU_DEP_1)
	s_or_b32 exec_lo, exec_lo, s10
	s_wait_loadcnt_dscnt 0x1515
	v_and_b32_e32 v16, 0xff, v58
	s_mov_b32 s10, exec_lo
	v_cmpx_ne_u16_e32 0, v16
	s_cbranch_execz .LBB6_5791
; %bb.5784:                             ;   in Loop: Header=BB6_4515 Depth=2
	v_bfrev_b32_e32 v18, 1
	s_mov_b32 s11, exec_lo
	v_cmpx_ne_u16_e32 0x80, v16
	s_cbranch_execz .LBB6_5790
; %bb.5785:                             ;   in Loop: Header=BB6_4515 Depth=2
	v_and_b32_e32 v17, 0x7f, v58
	v_mov_b32_e32 v18, 0x7f800001
	s_mov_b32 s29, exec_lo
	s_delay_alu instid0(VALU_DEP_2)
	v_cmpx_ne_u32_e32 0x7f, v17
	s_cbranch_execz .LBB6_5789
; %bb.5786:                             ;   in Loop: Header=BB6_4515 Depth=2
	v_dual_lshrrev_b32 v18, 3, v17 :: v_dual_bitop2_b32 v54, 7, v16 bitop3:0x40
	v_cmp_gt_u32_e32 vcc_lo, 8, v17
	s_delay_alu instid0(VALU_DEP_2)
	v_mov_b64_e32 v[16:17], v[54:55]
	s_and_saveexec_b32 s40, vcc_lo
; %bb.5787:                             ;   in Loop: Header=BB6_4515 Depth=2
	v_clz_i32_u32_e32 v16, v54
	s_delay_alu instid0(VALU_DEP_1) | instskip(NEXT) | instid1(VALU_DEP_1)
	v_min_u32_e32 v18, 32, v16
	v_subrev_nc_u32_e32 v16, 28, v18
	s_delay_alu instid0(VALU_DEP_1) | instskip(NEXT) | instid1(VALU_DEP_1)
	v_lshlrev_b64_e32 v[16:17], v16, v[54:55]
	v_dual_sub_nc_u32 v18, 29, v18 :: v_dual_bitop2_b32 v16, 7, v16 bitop3:0x40
; %bb.5788:                             ;   in Loop: Header=BB6_4515 Depth=2
	s_or_b32 exec_lo, exec_lo, s40
	s_delay_alu instid0(VALU_DEP_1) | instskip(NEXT) | instid1(VALU_DEP_2)
	v_dual_lshlrev_b32 v17, 24, v58 :: v_dual_lshlrev_b32 v16, 20, v16
	v_lshl_add_u32 v18, v18, 23, 0x3c000000
	s_delay_alu instid0(VALU_DEP_2) | instskip(NEXT) | instid1(VALU_DEP_1)
	v_and_b32_e32 v17, 0x80000000, v17
	v_or3_b32 v18, v16, v17, v18
.LBB6_5789:                             ;   in Loop: Header=BB6_4515 Depth=2
	s_or_b32 exec_lo, exec_lo, s29
.LBB6_5790:                             ;   in Loop: Header=BB6_4515 Depth=2
	s_delay_alu instid0(SALU_CYCLE_1)
	s_or_b32 exec_lo, exec_lo, s11
.LBB6_5791:                             ;   in Loop: Header=BB6_4515 Depth=2
	s_delay_alu instid0(SALU_CYCLE_1) | instskip(NEXT) | instid1(VALU_DEP_1)
	s_or_b32 exec_lo, exec_lo, s10
	v_add_f32_e32 v16, v19, v18
                                        ; implicit-def: $vgpr98
	s_mov_b32 s10, exec_lo
	s_delay_alu instid0(VALU_DEP_1) | instskip(SKIP_1) | instid1(VALU_DEP_2)
	v_and_b32_e32 v54, 0x7f800000, v16
	v_lshrrev_b32_e32 v17, 24, v16
	v_cmpx_ne_u64_e32 0x7f800000, v[54:55]
	s_xor_b32 s11, exec_lo, s10
	s_cbranch_execz .LBB6_5809
; %bb.5792:                             ;   in Loop: Header=BB6_4515 Depth=2
	v_and_b32_e32 v54, 0x7fffffff, v16
	v_and_b32_e32 v58, 0x80, v17
                                        ; implicit-def: $vgpr98
	s_mov_b32 s10, exec_lo
	s_delay_alu instid0(VALU_DEP_2)
	v_cmpx_gt_u64_e32 0x43e00001, v[54:55]
	s_xor_b32 s29, exec_lo, s10
	s_cbranch_execz .LBB6_5806
; %bb.5793:                             ;   in Loop: Header=BB6_4515 Depth=2
	v_mov_b32_e32 v98, 0
	s_mov_b32 s40, exec_lo
	v_cmpx_ne_u32_e32 0, v16
	s_cbranch_execz .LBB6_5805
; %bb.5794:                             ;   in Loop: Header=BB6_4515 Depth=2
	v_bfe_u32 v98, v16, 23, 8
	v_and_b32_e32 v17, 0x7fffff, v16
	s_delay_alu instid0(VALU_DEP_2) | instskip(SKIP_2) | instid1(VALU_DEP_4)
	v_cmp_gt_u32_e64 s10, 0x7a, v98
	v_sub_nc_u32_e32 v16, 0x79, v98
	v_cmp_eq_u32_e32 vcc_lo, 0, v98
	v_or_b32_e32 v18, 0x800000, v17
	s_delay_alu instid0(VALU_DEP_1) | instskip(NEXT) | instid1(VALU_DEP_1)
	v_dual_cndmask_b32 v16, 0, v16, s10 :: v_dual_cndmask_b32 v54, v18, v17, vcc_lo
	v_cndmask_b32_e64 v59, v16, 0x78, vcc_lo
	s_delay_alu instid0(VALU_DEP_1) | instskip(NEXT) | instid1(VALU_DEP_1)
	v_dual_add_nc_u32 v16, 20, v59 :: v_dual_add_nc_u32 v18, 19, v59
	v_lshlrev_b64_e64 v[16:17], v16, -1
	s_delay_alu instid0(VALU_DEP_2) | instskip(NEXT) | instid1(VALU_DEP_2)
	v_lshlrev_b64_e64 v[18:19], v18, 1
	v_bfi_b32 v17, v17, 0, 0
	s_delay_alu instid0(VALU_DEP_3) | instskip(NEXT) | instid1(VALU_DEP_1)
	v_bfi_b32 v16, v16, 0, v54
	v_cmp_eq_u64_e64 s10, v[16:17], v[18:19]
	v_lshrrev_b64 v[16:17], v59, v[54:55]
	s_delay_alu instid0(VALU_DEP_1)
	v_mov_b64_e32 v[18:19], v[16:17]
	s_and_saveexec_b32 s41, s10
; %bb.5795:                             ;   in Loop: Header=BB6_4515 Depth=2
	v_bfe_u32 v54, v16, 20, 1
	s_delay_alu instid0(VALU_DEP_1) | instskip(NEXT) | instid1(VALU_DEP_1)
	v_add_nc_u64_e32 v[18:19], v[16:17], v[54:55]
	v_add_nc_u64_e32 v[18:19], -1, v[18:19]
; %bb.5796:                             ;   in Loop: Header=BB6_4515 Depth=2
	s_or_b32 exec_lo, exec_lo, s41
	v_add_nc_u32_e32 v17, 0xffffff81, v98
	v_lshrrev_b32_e32 v19, 23, v16
	s_mov_b32 s10, exec_lo
	s_delay_alu instid0(VALU_DEP_2) | instskip(NEXT) | instid1(VALU_DEP_1)
	v_cndmask_b32_e64 v17, v17, 0xffffff82, vcc_lo
	v_add3_u32 v19, v59, v17, v19
	v_and_b32_e32 v17, 0xfffff, v18
                                        ; implicit-def: $vgpr18
	s_delay_alu instid0(VALU_DEP_1) | instskip(NEXT) | instid1(VALU_DEP_1)
	v_dual_add_nc_u32 v98, 6, v19 :: v_dual_add_nc_u32 v54, v17, v16
                                        ; implicit-def: $vgpr16_vgpr17
	v_cmpx_ne_u32_e32 0, v98
	s_xor_b32 s10, exec_lo, s10
; %bb.5797:                             ;   in Loop: Header=BB6_4515 Depth=2
	s_delay_alu instid0(VALU_DEP_2) | instskip(SKIP_1) | instid1(VALU_DEP_1)
	v_cmp_lt_u64_e32 vcc_lo, 0xffffff, v[54:55]
	v_add_nc_u32_e32 v16, 7, v19
	v_cndmask_b32_e32 v18, v98, v16, vcc_lo
	v_cndmask_b32_e64 v16, 0, 1, vcc_lo
	s_delay_alu instid0(VALU_DEP_1)
	v_lshrrev_b64 v[16:17], v16, v[54:55]
; %bb.5798:                             ;   in Loop: Header=BB6_4515 Depth=2
	s_and_not1_saveexec_b32 s10, s10
; %bb.5799:                             ;   in Loop: Header=BB6_4515 Depth=2
	v_mov_b64_e32 v[16:17], v[54:55]
	v_bfe_u32 v18, v54, 23, 1
; %bb.5800:                             ;   in Loop: Header=BB6_4515 Depth=2
	s_or_b32 exec_lo, exec_lo, s10
	s_delay_alu instid0(VALU_DEP_2) | instskip(NEXT) | instid1(VALU_DEP_2)
	v_lshrrev_b64 v[16:17], 20, v[16:17]
	v_cmp_gt_i32_e32 vcc_lo, 16, v18
	v_cmp_ne_u32_e64 s10, 0, v18
                                        ; implicit-def: $vgpr98
	s_delay_alu instid0(VALU_DEP_3) | instskip(NEXT) | instid1(VALU_DEP_1)
	v_dual_cndmask_b32 v17, 0, v17 :: v_dual_cndmask_b32 v16, 7, v16
	v_cmp_ne_u64_e32 vcc_lo, 0, v[16:17]
	s_or_b32 s10, s10, vcc_lo
	s_delay_alu instid0(SALU_CYCLE_1) | instskip(NEXT) | instid1(SALU_CYCLE_1)
	s_and_saveexec_b32 s41, s10
	s_xor_b32 s10, exec_lo, s41
; %bb.5801:                             ;   in Loop: Header=BB6_4515 Depth=2
	v_min_i32_e32 v17, 15, v18
	s_delay_alu instid0(VALU_DEP_1) | instskip(NEXT) | instid1(VALU_DEP_1)
	v_lshl_or_b32 v17, v17, 3, v58
                                        ; implicit-def: $vgpr58
	v_and_or_b32 v98, v16, 7, v17
; %bb.5802:                             ;   in Loop: Header=BB6_4515 Depth=2
	s_and_not1_saveexec_b32 s10, s10
; %bb.5803:                             ;   in Loop: Header=BB6_4515 Depth=2
	v_mov_b32_e32 v98, v58
; %bb.5804:                             ;   in Loop: Header=BB6_4515 Depth=2
	s_or_b32 exec_lo, exec_lo, s10
.LBB6_5805:                             ;   in Loop: Header=BB6_4515 Depth=2
	s_delay_alu instid0(SALU_CYCLE_1)
	s_or_b32 exec_lo, exec_lo, s40
                                        ; implicit-def: $vgpr58
.LBB6_5806:                             ;   in Loop: Header=BB6_4515 Depth=2
	s_and_not1_saveexec_b32 s10, s29
; %bb.5807:                             ;   in Loop: Header=BB6_4515 Depth=2
	v_or_b32_e32 v98, 0x7e, v58
; %bb.5808:                             ;   in Loop: Header=BB6_4515 Depth=2
	s_or_b32 exec_lo, exec_lo, s10
                                        ; implicit-def: $vgpr17
.LBB6_5809:                             ;   in Loop: Header=BB6_4515 Depth=2
	s_and_not1_saveexec_b32 s10, s11
; %bb.5810:                             ;   in Loop: Header=BB6_4515 Depth=2
	v_or_b32_e32 v98, 0x7f, v17
; %bb.5811:                             ;   in Loop: Header=BB6_4515 Depth=2
	s_or_b32 exec_lo, exec_lo, s10
	v_and_b32_e32 v16, 0xff, v97
	v_dual_mov_b32 v18, 0 :: v_dual_mov_b32 v19, 0
	s_mov_b32 s10, exec_lo
	s_delay_alu instid0(VALU_DEP_2)
	v_cmpx_ne_u16_e32 0, v16
	s_cbranch_execz .LBB6_5819
; %bb.5812:                             ;   in Loop: Header=BB6_4515 Depth=2
	v_bfrev_b32_e32 v19, 1
	s_mov_b32 s11, exec_lo
	v_cmpx_ne_u16_e32 0x80, v16
	s_cbranch_execz .LBB6_5818
; %bb.5813:                             ;   in Loop: Header=BB6_4515 Depth=2
	v_and_b32_e32 v17, 0x7f, v97
	v_mov_b32_e32 v19, 0x7f800001
	s_mov_b32 s29, exec_lo
	s_delay_alu instid0(VALU_DEP_2)
	v_cmpx_ne_u32_e32 0x7f, v17
	s_cbranch_execz .LBB6_5817
; %bb.5814:                             ;   in Loop: Header=BB6_4515 Depth=2
	v_dual_lshrrev_b32 v19, 3, v17 :: v_dual_bitop2_b32 v54, 7, v16 bitop3:0x40
	v_cmp_gt_u32_e32 vcc_lo, 8, v17
	s_delay_alu instid0(VALU_DEP_2)
	v_mov_b64_e32 v[16:17], v[54:55]
	s_and_saveexec_b32 s40, vcc_lo
; %bb.5815:                             ;   in Loop: Header=BB6_4515 Depth=2
	v_clz_i32_u32_e32 v16, v54
	s_delay_alu instid0(VALU_DEP_1) | instskip(NEXT) | instid1(VALU_DEP_1)
	v_min_u32_e32 v19, 32, v16
	v_subrev_nc_u32_e32 v16, 28, v19
	s_delay_alu instid0(VALU_DEP_1) | instskip(NEXT) | instid1(VALU_DEP_1)
	v_lshlrev_b64_e32 v[16:17], v16, v[54:55]
	v_dual_sub_nc_u32 v19, 29, v19 :: v_dual_bitop2_b32 v16, 7, v16 bitop3:0x40
; %bb.5816:                             ;   in Loop: Header=BB6_4515 Depth=2
	s_or_b32 exec_lo, exec_lo, s40
	s_delay_alu instid0(VALU_DEP_1) | instskip(NEXT) | instid1(VALU_DEP_2)
	v_dual_lshlrev_b32 v17, 24, v97 :: v_dual_lshlrev_b32 v16, 20, v16
	v_lshl_add_u32 v19, v19, 23, 0x3c000000
	s_delay_alu instid0(VALU_DEP_2) | instskip(NEXT) | instid1(VALU_DEP_1)
	v_and_b32_e32 v17, 0x80000000, v17
	v_or3_b32 v19, v16, v17, v19
.LBB6_5817:                             ;   in Loop: Header=BB6_4515 Depth=2
	s_or_b32 exec_lo, exec_lo, s29
.LBB6_5818:                             ;   in Loop: Header=BB6_4515 Depth=2
	s_delay_alu instid0(SALU_CYCLE_1)
	s_or_b32 exec_lo, exec_lo, s11
.LBB6_5819:                             ;   in Loop: Header=BB6_4515 Depth=2
	s_delay_alu instid0(SALU_CYCLE_1) | instskip(SKIP_3) | instid1(VALU_DEP_1)
	s_or_b32 exec_lo, exec_lo, s10
	s_wait_loadcnt_dscnt 0x1414
	v_and_b32_e32 v16, 0xff, v57
	s_mov_b32 s10, exec_lo
	v_cmpx_ne_u16_e32 0, v16
	s_cbranch_execz .LBB6_5827
; %bb.5820:                             ;   in Loop: Header=BB6_4515 Depth=2
	v_bfrev_b32_e32 v18, 1
	s_mov_b32 s11, exec_lo
	v_cmpx_ne_u16_e32 0x80, v16
	s_cbranch_execz .LBB6_5826
; %bb.5821:                             ;   in Loop: Header=BB6_4515 Depth=2
	v_and_b32_e32 v17, 0x7f, v57
	v_mov_b32_e32 v18, 0x7f800001
	s_mov_b32 s29, exec_lo
	s_delay_alu instid0(VALU_DEP_2)
	v_cmpx_ne_u32_e32 0x7f, v17
	s_cbranch_execz .LBB6_5825
; %bb.5822:                             ;   in Loop: Header=BB6_4515 Depth=2
	v_dual_lshrrev_b32 v18, 3, v17 :: v_dual_bitop2_b32 v54, 7, v16 bitop3:0x40
	v_cmp_gt_u32_e32 vcc_lo, 8, v17
	s_delay_alu instid0(VALU_DEP_2)
	v_mov_b64_e32 v[16:17], v[54:55]
	s_and_saveexec_b32 s40, vcc_lo
; %bb.5823:                             ;   in Loop: Header=BB6_4515 Depth=2
	v_clz_i32_u32_e32 v16, v54
	s_delay_alu instid0(VALU_DEP_1) | instskip(NEXT) | instid1(VALU_DEP_1)
	v_min_u32_e32 v18, 32, v16
	v_subrev_nc_u32_e32 v16, 28, v18
	s_delay_alu instid0(VALU_DEP_1) | instskip(NEXT) | instid1(VALU_DEP_1)
	v_lshlrev_b64_e32 v[16:17], v16, v[54:55]
	v_dual_sub_nc_u32 v18, 29, v18 :: v_dual_bitop2_b32 v16, 7, v16 bitop3:0x40
; %bb.5824:                             ;   in Loop: Header=BB6_4515 Depth=2
	s_or_b32 exec_lo, exec_lo, s40
	s_delay_alu instid0(VALU_DEP_1) | instskip(NEXT) | instid1(VALU_DEP_2)
	v_dual_lshlrev_b32 v17, 24, v57 :: v_dual_lshlrev_b32 v16, 20, v16
	v_lshl_add_u32 v18, v18, 23, 0x3c000000
	s_delay_alu instid0(VALU_DEP_2) | instskip(NEXT) | instid1(VALU_DEP_1)
	v_and_b32_e32 v17, 0x80000000, v17
	v_or3_b32 v18, v16, v17, v18
.LBB6_5825:                             ;   in Loop: Header=BB6_4515 Depth=2
	s_or_b32 exec_lo, exec_lo, s29
.LBB6_5826:                             ;   in Loop: Header=BB6_4515 Depth=2
	s_delay_alu instid0(SALU_CYCLE_1)
	s_or_b32 exec_lo, exec_lo, s11
.LBB6_5827:                             ;   in Loop: Header=BB6_4515 Depth=2
	s_delay_alu instid0(SALU_CYCLE_1) | instskip(NEXT) | instid1(VALU_DEP_1)
	s_or_b32 exec_lo, exec_lo, s10
	v_add_f32_e32 v16, v19, v18
                                        ; implicit-def: $vgpr97
	s_mov_b32 s10, exec_lo
	s_delay_alu instid0(VALU_DEP_1) | instskip(SKIP_1) | instid1(VALU_DEP_2)
	v_and_b32_e32 v54, 0x7f800000, v16
	v_lshrrev_b32_e32 v17, 24, v16
	v_cmpx_ne_u64_e32 0x7f800000, v[54:55]
	s_xor_b32 s11, exec_lo, s10
	s_cbranch_execz .LBB6_5845
; %bb.5828:                             ;   in Loop: Header=BB6_4515 Depth=2
	v_and_b32_e32 v54, 0x7fffffff, v16
	v_and_b32_e32 v57, 0x80, v17
                                        ; implicit-def: $vgpr97
	s_mov_b32 s10, exec_lo
	s_delay_alu instid0(VALU_DEP_2)
	v_cmpx_gt_u64_e32 0x43e00001, v[54:55]
	s_xor_b32 s29, exec_lo, s10
	s_cbranch_execz .LBB6_5842
; %bb.5829:                             ;   in Loop: Header=BB6_4515 Depth=2
	v_mov_b32_e32 v97, 0
	s_mov_b32 s40, exec_lo
	v_cmpx_ne_u32_e32 0, v16
	s_cbranch_execz .LBB6_5841
; %bb.5830:                             ;   in Loop: Header=BB6_4515 Depth=2
	v_bfe_u32 v97, v16, 23, 8
	v_and_b32_e32 v18, 0x7fffff, v16
	s_delay_alu instid0(VALU_DEP_2) | instskip(NEXT) | instid1(VALU_DEP_2)
	v_cmp_gt_u32_e32 vcc_lo, 0x7a, v97
	v_or_b32_e32 v19, 0x800000, v18
	v_sub_nc_u32_e32 v17, 0x79, v97
	s_delay_alu instid0(VALU_DEP_1) | instskip(SKIP_1) | instid1(VALU_DEP_2)
	v_cndmask_b32_e32 v17, 0, v17, vcc_lo
	v_cmp_eq_u32_e32 vcc_lo, 0, v97
	v_cndmask_b32_e64 v58, v17, 0x78, vcc_lo
	v_cndmask_b32_e32 v54, v19, v18, vcc_lo
	s_delay_alu instid0(VALU_DEP_2) | instskip(NEXT) | instid1(VALU_DEP_1)
	v_dual_add_nc_u32 v16, 20, v58 :: v_dual_add_nc_u32 v59, 19, v58
	v_lshlrev_b64_e64 v[16:17], v16, -1
	s_delay_alu instid0(VALU_DEP_2) | instskip(NEXT) | instid1(VALU_DEP_2)
	v_lshlrev_b64_e64 v[18:19], v59, 1
	v_bfi_b32 v61, v17, 0, 0
	s_delay_alu instid0(VALU_DEP_3) | instskip(SKIP_1) | instid1(VALU_DEP_2)
	v_bfi_b32 v60, v16, 0, v54
	v_lshrrev_b64 v[16:17], v58, v[54:55]
	v_cmp_eq_u64_e64 s10, v[60:61], v[18:19]
	s_delay_alu instid0(VALU_DEP_2)
	v_mov_b64_e32 v[18:19], v[16:17]
	s_and_saveexec_b32 s41, s10
; %bb.5831:                             ;   in Loop: Header=BB6_4515 Depth=2
	v_bfe_u32 v54, v16, 20, 1
	s_delay_alu instid0(VALU_DEP_1) | instskip(NEXT) | instid1(VALU_DEP_1)
	v_add_nc_u64_e32 v[18:19], v[16:17], v[54:55]
	v_add_nc_u64_e32 v[18:19], -1, v[18:19]
; %bb.5832:                             ;   in Loop: Header=BB6_4515 Depth=2
	s_or_b32 exec_lo, exec_lo, s41
	v_add_nc_u32_e32 v17, 0xffffff81, v97
	v_lshrrev_b32_e32 v19, 23, v16
	s_mov_b32 s10, exec_lo
	s_delay_alu instid0(VALU_DEP_2) | instskip(NEXT) | instid1(VALU_DEP_1)
	v_cndmask_b32_e64 v17, v17, 0xffffff82, vcc_lo
	v_add3_u32 v19, v58, v17, v19
	v_and_b32_e32 v17, 0xfffff, v18
                                        ; implicit-def: $vgpr18
	s_delay_alu instid0(VALU_DEP_1) | instskip(NEXT) | instid1(VALU_DEP_1)
	v_dual_add_nc_u32 v97, 6, v19 :: v_dual_add_nc_u32 v54, v17, v16
                                        ; implicit-def: $vgpr16_vgpr17
	v_cmpx_ne_u32_e32 0, v97
	s_xor_b32 s10, exec_lo, s10
; %bb.5833:                             ;   in Loop: Header=BB6_4515 Depth=2
	s_delay_alu instid0(VALU_DEP_2) | instskip(SKIP_1) | instid1(VALU_DEP_1)
	v_cmp_lt_u64_e32 vcc_lo, 0xffffff, v[54:55]
	v_add_nc_u32_e32 v16, 7, v19
	v_cndmask_b32_e32 v18, v97, v16, vcc_lo
	v_cndmask_b32_e64 v16, 0, 1, vcc_lo
	s_delay_alu instid0(VALU_DEP_1)
	v_lshrrev_b64 v[16:17], v16, v[54:55]
; %bb.5834:                             ;   in Loop: Header=BB6_4515 Depth=2
	s_and_not1_saveexec_b32 s10, s10
; %bb.5835:                             ;   in Loop: Header=BB6_4515 Depth=2
	v_mov_b64_e32 v[16:17], v[54:55]
	v_bfe_u32 v18, v54, 23, 1
; %bb.5836:                             ;   in Loop: Header=BB6_4515 Depth=2
	s_or_b32 exec_lo, exec_lo, s10
	s_delay_alu instid0(VALU_DEP_2) | instskip(NEXT) | instid1(VALU_DEP_2)
	v_lshrrev_b64 v[16:17], 20, v[16:17]
	v_cmp_gt_i32_e32 vcc_lo, 16, v18
	v_cmp_ne_u32_e64 s10, 0, v18
                                        ; implicit-def: $vgpr97
	s_delay_alu instid0(VALU_DEP_3) | instskip(NEXT) | instid1(VALU_DEP_1)
	v_dual_cndmask_b32 v17, 0, v17 :: v_dual_cndmask_b32 v16, 7, v16
	v_cmp_ne_u64_e32 vcc_lo, 0, v[16:17]
	s_or_b32 s10, s10, vcc_lo
	s_delay_alu instid0(SALU_CYCLE_1) | instskip(NEXT) | instid1(SALU_CYCLE_1)
	s_and_saveexec_b32 s41, s10
	s_xor_b32 s10, exec_lo, s41
; %bb.5837:                             ;   in Loop: Header=BB6_4515 Depth=2
	v_min_i32_e32 v17, 15, v18
	s_delay_alu instid0(VALU_DEP_1) | instskip(NEXT) | instid1(VALU_DEP_1)
	v_lshl_or_b32 v17, v17, 3, v57
                                        ; implicit-def: $vgpr57
	v_and_or_b32 v97, v16, 7, v17
; %bb.5838:                             ;   in Loop: Header=BB6_4515 Depth=2
	s_and_not1_saveexec_b32 s10, s10
; %bb.5839:                             ;   in Loop: Header=BB6_4515 Depth=2
	v_mov_b32_e32 v97, v57
; %bb.5840:                             ;   in Loop: Header=BB6_4515 Depth=2
	s_or_b32 exec_lo, exec_lo, s10
.LBB6_5841:                             ;   in Loop: Header=BB6_4515 Depth=2
	s_delay_alu instid0(SALU_CYCLE_1)
	s_or_b32 exec_lo, exec_lo, s40
                                        ; implicit-def: $vgpr57
.LBB6_5842:                             ;   in Loop: Header=BB6_4515 Depth=2
	s_and_not1_saveexec_b32 s10, s29
; %bb.5843:                             ;   in Loop: Header=BB6_4515 Depth=2
	v_or_b32_e32 v97, 0x7e, v57
; %bb.5844:                             ;   in Loop: Header=BB6_4515 Depth=2
	s_or_b32 exec_lo, exec_lo, s10
                                        ; implicit-def: $vgpr17
.LBB6_5845:                             ;   in Loop: Header=BB6_4515 Depth=2
	s_and_not1_saveexec_b32 s10, s11
; %bb.5846:                             ;   in Loop: Header=BB6_4515 Depth=2
	v_or_b32_e32 v97, 0x7f, v17
; %bb.5847:                             ;   in Loop: Header=BB6_4515 Depth=2
	s_or_b32 exec_lo, exec_lo, s10
	v_and_b32_e32 v16, 0xff, v66
	v_dual_mov_b32 v18, 0 :: v_dual_mov_b32 v19, 0
	s_mov_b32 s10, exec_lo
	s_delay_alu instid0(VALU_DEP_2)
	v_cmpx_ne_u16_e32 0, v16
	s_cbranch_execz .LBB6_5855
; %bb.5848:                             ;   in Loop: Header=BB6_4515 Depth=2
	v_bfrev_b32_e32 v19, 1
	s_mov_b32 s11, exec_lo
	v_cmpx_ne_u16_e32 0x80, v16
	s_cbranch_execz .LBB6_5854
; %bb.5849:                             ;   in Loop: Header=BB6_4515 Depth=2
	v_and_b32_e32 v17, 0x7f, v66
	v_mov_b32_e32 v19, 0x7f800001
	s_mov_b32 s29, exec_lo
	s_delay_alu instid0(VALU_DEP_2)
	v_cmpx_ne_u32_e32 0x7f, v17
	s_cbranch_execz .LBB6_5853
; %bb.5850:                             ;   in Loop: Header=BB6_4515 Depth=2
	v_dual_lshrrev_b32 v19, 3, v17 :: v_dual_bitop2_b32 v54, 7, v16 bitop3:0x40
	v_cmp_gt_u32_e32 vcc_lo, 8, v17
	s_delay_alu instid0(VALU_DEP_2)
	v_mov_b64_e32 v[16:17], v[54:55]
	s_and_saveexec_b32 s40, vcc_lo
; %bb.5851:                             ;   in Loop: Header=BB6_4515 Depth=2
	v_clz_i32_u32_e32 v16, v54
	s_delay_alu instid0(VALU_DEP_1) | instskip(NEXT) | instid1(VALU_DEP_1)
	v_min_u32_e32 v19, 32, v16
	v_subrev_nc_u32_e32 v16, 28, v19
	s_delay_alu instid0(VALU_DEP_1) | instskip(NEXT) | instid1(VALU_DEP_1)
	v_lshlrev_b64_e32 v[16:17], v16, v[54:55]
	v_dual_sub_nc_u32 v19, 29, v19 :: v_dual_bitop2_b32 v16, 7, v16 bitop3:0x40
; %bb.5852:                             ;   in Loop: Header=BB6_4515 Depth=2
	s_or_b32 exec_lo, exec_lo, s40
	s_delay_alu instid0(VALU_DEP_1) | instskip(NEXT) | instid1(VALU_DEP_2)
	v_dual_lshlrev_b32 v17, 24, v66 :: v_dual_lshlrev_b32 v16, 20, v16
	v_lshl_add_u32 v19, v19, 23, 0x3c000000
	s_delay_alu instid0(VALU_DEP_2) | instskip(NEXT) | instid1(VALU_DEP_1)
	v_and_b32_e32 v17, 0x80000000, v17
	v_or3_b32 v19, v16, v17, v19
.LBB6_5853:                             ;   in Loop: Header=BB6_4515 Depth=2
	s_or_b32 exec_lo, exec_lo, s29
.LBB6_5854:                             ;   in Loop: Header=BB6_4515 Depth=2
	s_delay_alu instid0(SALU_CYCLE_1)
	s_or_b32 exec_lo, exec_lo, s11
.LBB6_5855:                             ;   in Loop: Header=BB6_4515 Depth=2
	s_delay_alu instid0(SALU_CYCLE_1) | instskip(SKIP_3) | instid1(VALU_DEP_1)
	s_or_b32 exec_lo, exec_lo, s10
	s_wait_loadcnt_dscnt 0x1313
	v_and_b32_e32 v16, 0xff, v56
	s_mov_b32 s10, exec_lo
	v_cmpx_ne_u16_e32 0, v16
	s_cbranch_execz .LBB6_5863
; %bb.5856:                             ;   in Loop: Header=BB6_4515 Depth=2
	v_bfrev_b32_e32 v18, 1
	s_mov_b32 s11, exec_lo
	v_cmpx_ne_u16_e32 0x80, v16
	s_cbranch_execz .LBB6_5862
; %bb.5857:                             ;   in Loop: Header=BB6_4515 Depth=2
	v_and_b32_e32 v17, 0x7f, v56
	v_mov_b32_e32 v18, 0x7f800001
	s_mov_b32 s29, exec_lo
	s_delay_alu instid0(VALU_DEP_2)
	v_cmpx_ne_u32_e32 0x7f, v17
	s_cbranch_execz .LBB6_5861
; %bb.5858:                             ;   in Loop: Header=BB6_4515 Depth=2
	v_dual_lshrrev_b32 v18, 3, v17 :: v_dual_bitop2_b32 v54, 7, v16 bitop3:0x40
	v_cmp_gt_u32_e32 vcc_lo, 8, v17
	s_delay_alu instid0(VALU_DEP_2)
	v_mov_b64_e32 v[16:17], v[54:55]
	s_and_saveexec_b32 s40, vcc_lo
; %bb.5859:                             ;   in Loop: Header=BB6_4515 Depth=2
	v_clz_i32_u32_e32 v16, v54
	s_delay_alu instid0(VALU_DEP_1) | instskip(NEXT) | instid1(VALU_DEP_1)
	v_min_u32_e32 v18, 32, v16
	v_subrev_nc_u32_e32 v16, 28, v18
	s_delay_alu instid0(VALU_DEP_1) | instskip(NEXT) | instid1(VALU_DEP_1)
	v_lshlrev_b64_e32 v[16:17], v16, v[54:55]
	v_dual_sub_nc_u32 v18, 29, v18 :: v_dual_bitop2_b32 v16, 7, v16 bitop3:0x40
; %bb.5860:                             ;   in Loop: Header=BB6_4515 Depth=2
	s_or_b32 exec_lo, exec_lo, s40
	v_lshlrev_b32_e32 v17, 24, v56
	s_delay_alu instid0(VALU_DEP_2) | instskip(NEXT) | instid1(VALU_DEP_3)
	v_lshlrev_b32_e32 v16, 20, v16
	v_lshl_add_u32 v18, v18, 23, 0x3c000000
	s_delay_alu instid0(VALU_DEP_3) | instskip(NEXT) | instid1(VALU_DEP_1)
	v_and_b32_e32 v17, 0x80000000, v17
	v_or3_b32 v18, v16, v17, v18
.LBB6_5861:                             ;   in Loop: Header=BB6_4515 Depth=2
	s_or_b32 exec_lo, exec_lo, s29
.LBB6_5862:                             ;   in Loop: Header=BB6_4515 Depth=2
	s_delay_alu instid0(SALU_CYCLE_1)
	s_or_b32 exec_lo, exec_lo, s11
.LBB6_5863:                             ;   in Loop: Header=BB6_4515 Depth=2
	s_delay_alu instid0(SALU_CYCLE_1) | instskip(NEXT) | instid1(VALU_DEP_1)
	s_or_b32 exec_lo, exec_lo, s10
	v_add_f32_e32 v16, v19, v18
                                        ; implicit-def: $vgpr66
	s_mov_b32 s10, exec_lo
	s_delay_alu instid0(VALU_DEP_1) | instskip(SKIP_1) | instid1(VALU_DEP_2)
	v_and_b32_e32 v54, 0x7f800000, v16
	v_lshrrev_b32_e32 v17, 24, v16
	v_cmpx_ne_u64_e32 0x7f800000, v[54:55]
	s_xor_b32 s11, exec_lo, s10
	s_cbranch_execz .LBB6_5881
; %bb.5864:                             ;   in Loop: Header=BB6_4515 Depth=2
	v_and_b32_e32 v54, 0x7fffffff, v16
	v_and_b32_e32 v56, 0x80, v17
                                        ; implicit-def: $vgpr66
	s_mov_b32 s10, exec_lo
	s_delay_alu instid0(VALU_DEP_2)
	v_cmpx_gt_u64_e32 0x43e00001, v[54:55]
	s_xor_b32 s29, exec_lo, s10
	s_cbranch_execz .LBB6_5878
; %bb.5865:                             ;   in Loop: Header=BB6_4515 Depth=2
	v_mov_b32_e32 v66, 0
	s_mov_b32 s40, exec_lo
	v_cmpx_ne_u32_e32 0, v16
	s_cbranch_execz .LBB6_5877
; %bb.5866:                             ;   in Loop: Header=BB6_4515 Depth=2
	v_bfe_u32 v66, v16, 23, 8
	v_and_b32_e32 v18, 0x7fffff, v16
	s_delay_alu instid0(VALU_DEP_2) | instskip(SKIP_1) | instid1(VALU_DEP_3)
	v_sub_nc_u32_e32 v17, 0x79, v66
	v_cmp_gt_u32_e32 vcc_lo, 0x7a, v66
	v_or_b32_e32 v19, 0x800000, v18
	s_delay_alu instid0(VALU_DEP_3) | instskip(SKIP_1) | instid1(VALU_DEP_3)
	v_cndmask_b32_e32 v17, 0, v17, vcc_lo
	v_cmp_eq_u32_e32 vcc_lo, 0, v66
	v_cndmask_b32_e32 v54, v19, v18, vcc_lo
	s_delay_alu instid0(VALU_DEP_3) | instskip(NEXT) | instid1(VALU_DEP_1)
	v_cndmask_b32_e64 v57, v17, 0x78, vcc_lo
	v_dual_add_nc_u32 v16, 20, v57 :: v_dual_add_nc_u32 v58, 19, v57
	s_delay_alu instid0(VALU_DEP_1) | instskip(NEXT) | instid1(VALU_DEP_2)
	v_lshlrev_b64_e64 v[16:17], v16, -1
	v_lshlrev_b64_e64 v[18:19], v58, 1
	s_delay_alu instid0(VALU_DEP_2) | instskip(NEXT) | instid1(VALU_DEP_3)
	v_bfi_b32 v59, v17, 0, 0
	v_bfi_b32 v58, v16, 0, v54
	v_lshrrev_b64 v[16:17], v57, v[54:55]
	s_delay_alu instid0(VALU_DEP_2) | instskip(NEXT) | instid1(VALU_DEP_2)
	v_cmp_eq_u64_e64 s10, v[58:59], v[18:19]
	v_mov_b64_e32 v[18:19], v[16:17]
	s_and_saveexec_b32 s41, s10
; %bb.5867:                             ;   in Loop: Header=BB6_4515 Depth=2
	v_bfe_u32 v54, v16, 20, 1
	s_delay_alu instid0(VALU_DEP_1) | instskip(NEXT) | instid1(VALU_DEP_1)
	v_add_nc_u64_e32 v[18:19], v[16:17], v[54:55]
	v_add_nc_u64_e32 v[18:19], -1, v[18:19]
; %bb.5868:                             ;   in Loop: Header=BB6_4515 Depth=2
	s_or_b32 exec_lo, exec_lo, s41
	v_add_nc_u32_e32 v17, 0xffffff81, v66
	v_lshrrev_b32_e32 v19, 23, v16
	s_mov_b32 s10, exec_lo
	s_delay_alu instid0(VALU_DEP_2) | instskip(NEXT) | instid1(VALU_DEP_1)
	v_cndmask_b32_e64 v17, v17, 0xffffff82, vcc_lo
	v_add3_u32 v19, v57, v17, v19
	v_and_b32_e32 v17, 0xfffff, v18
                                        ; implicit-def: $vgpr18
	s_delay_alu instid0(VALU_DEP_1) | instskip(NEXT) | instid1(VALU_DEP_1)
	v_dual_add_nc_u32 v66, 6, v19 :: v_dual_add_nc_u32 v54, v17, v16
                                        ; implicit-def: $vgpr16_vgpr17
	v_cmpx_ne_u32_e32 0, v66
	s_xor_b32 s10, exec_lo, s10
; %bb.5869:                             ;   in Loop: Header=BB6_4515 Depth=2
	s_delay_alu instid0(VALU_DEP_2) | instskip(SKIP_1) | instid1(VALU_DEP_1)
	v_cmp_lt_u64_e32 vcc_lo, 0xffffff, v[54:55]
	v_add_nc_u32_e32 v16, 7, v19
	v_cndmask_b32_e32 v18, v66, v16, vcc_lo
	v_cndmask_b32_e64 v16, 0, 1, vcc_lo
	s_delay_alu instid0(VALU_DEP_1)
	v_lshrrev_b64 v[16:17], v16, v[54:55]
; %bb.5870:                             ;   in Loop: Header=BB6_4515 Depth=2
	s_and_not1_saveexec_b32 s10, s10
; %bb.5871:                             ;   in Loop: Header=BB6_4515 Depth=2
	v_mov_b64_e32 v[16:17], v[54:55]
	v_bfe_u32 v18, v54, 23, 1
; %bb.5872:                             ;   in Loop: Header=BB6_4515 Depth=2
	s_or_b32 exec_lo, exec_lo, s10
	s_delay_alu instid0(VALU_DEP_2) | instskip(NEXT) | instid1(VALU_DEP_2)
	v_lshrrev_b64 v[16:17], 20, v[16:17]
	v_cmp_gt_i32_e32 vcc_lo, 16, v18
	v_cmp_ne_u32_e64 s10, 0, v18
                                        ; implicit-def: $vgpr66
	s_delay_alu instid0(VALU_DEP_3) | instskip(NEXT) | instid1(VALU_DEP_1)
	v_dual_cndmask_b32 v17, 0, v17 :: v_dual_cndmask_b32 v16, 7, v16
	v_cmp_ne_u64_e32 vcc_lo, 0, v[16:17]
	s_or_b32 s10, s10, vcc_lo
	s_delay_alu instid0(SALU_CYCLE_1) | instskip(NEXT) | instid1(SALU_CYCLE_1)
	s_and_saveexec_b32 s41, s10
	s_xor_b32 s10, exec_lo, s41
; %bb.5873:                             ;   in Loop: Header=BB6_4515 Depth=2
	v_min_i32_e32 v17, 15, v18
	s_delay_alu instid0(VALU_DEP_1) | instskip(NEXT) | instid1(VALU_DEP_1)
	v_lshl_or_b32 v17, v17, 3, v56
                                        ; implicit-def: $vgpr56
	v_and_or_b32 v66, v16, 7, v17
; %bb.5874:                             ;   in Loop: Header=BB6_4515 Depth=2
	s_and_not1_saveexec_b32 s10, s10
; %bb.5875:                             ;   in Loop: Header=BB6_4515 Depth=2
	v_mov_b32_e32 v66, v56
; %bb.5876:                             ;   in Loop: Header=BB6_4515 Depth=2
	s_or_b32 exec_lo, exec_lo, s10
.LBB6_5877:                             ;   in Loop: Header=BB6_4515 Depth=2
	s_delay_alu instid0(SALU_CYCLE_1)
	s_or_b32 exec_lo, exec_lo, s40
                                        ; implicit-def: $vgpr56
.LBB6_5878:                             ;   in Loop: Header=BB6_4515 Depth=2
	s_and_not1_saveexec_b32 s10, s29
; %bb.5879:                             ;   in Loop: Header=BB6_4515 Depth=2
	v_or_b32_e32 v66, 0x7e, v56
; %bb.5880:                             ;   in Loop: Header=BB6_4515 Depth=2
	s_or_b32 exec_lo, exec_lo, s10
                                        ; implicit-def: $vgpr17
.LBB6_5881:                             ;   in Loop: Header=BB6_4515 Depth=2
	s_and_not1_saveexec_b32 s10, s11
; %bb.5882:                             ;   in Loop: Header=BB6_4515 Depth=2
	v_or_b32_e32 v66, 0x7f, v17
; %bb.5883:                             ;   in Loop: Header=BB6_4515 Depth=2
	s_or_b32 exec_lo, exec_lo, s10
	v_and_b32_e32 v16, 0xff, v52
	v_dual_mov_b32 v18, 0 :: v_dual_mov_b32 v19, 0
	s_mov_b32 s10, exec_lo
	s_delay_alu instid0(VALU_DEP_2)
	v_cmpx_ne_u16_e32 0, v16
	s_cbranch_execz .LBB6_5891
; %bb.5884:                             ;   in Loop: Header=BB6_4515 Depth=2
	v_bfrev_b32_e32 v19, 1
	s_mov_b32 s11, exec_lo
	v_cmpx_ne_u16_e32 0x80, v16
	s_cbranch_execz .LBB6_5890
; %bb.5885:                             ;   in Loop: Header=BB6_4515 Depth=2
	v_and_b32_e32 v17, 0x7f, v52
	v_mov_b32_e32 v19, 0x7f800001
	s_mov_b32 s29, exec_lo
	s_delay_alu instid0(VALU_DEP_2)
	v_cmpx_ne_u32_e32 0x7f, v17
	s_cbranch_execz .LBB6_5889
; %bb.5886:                             ;   in Loop: Header=BB6_4515 Depth=2
	v_dual_lshrrev_b32 v19, 3, v17 :: v_dual_bitop2_b32 v54, 7, v16 bitop3:0x40
	v_cmp_gt_u32_e32 vcc_lo, 8, v17
	s_delay_alu instid0(VALU_DEP_2)
	v_mov_b64_e32 v[16:17], v[54:55]
	s_and_saveexec_b32 s40, vcc_lo
; %bb.5887:                             ;   in Loop: Header=BB6_4515 Depth=2
	v_clz_i32_u32_e32 v16, v54
	s_delay_alu instid0(VALU_DEP_1) | instskip(NEXT) | instid1(VALU_DEP_1)
	v_min_u32_e32 v19, 32, v16
	v_subrev_nc_u32_e32 v16, 28, v19
	s_delay_alu instid0(VALU_DEP_1) | instskip(NEXT) | instid1(VALU_DEP_1)
	v_lshlrev_b64_e32 v[16:17], v16, v[54:55]
	v_dual_sub_nc_u32 v19, 29, v19 :: v_dual_bitop2_b32 v16, 7, v16 bitop3:0x40
; %bb.5888:                             ;   in Loop: Header=BB6_4515 Depth=2
	s_or_b32 exec_lo, exec_lo, s40
	v_lshlrev_b32_e32 v17, 24, v52
	s_delay_alu instid0(VALU_DEP_2) | instskip(NEXT) | instid1(VALU_DEP_3)
	v_lshlrev_b32_e32 v16, 20, v16
	v_lshl_add_u32 v19, v19, 23, 0x3c000000
	s_delay_alu instid0(VALU_DEP_3) | instskip(NEXT) | instid1(VALU_DEP_1)
	v_and_b32_e32 v17, 0x80000000, v17
	v_or3_b32 v19, v16, v17, v19
.LBB6_5889:                             ;   in Loop: Header=BB6_4515 Depth=2
	s_or_b32 exec_lo, exec_lo, s29
.LBB6_5890:                             ;   in Loop: Header=BB6_4515 Depth=2
	s_delay_alu instid0(SALU_CYCLE_1)
	s_or_b32 exec_lo, exec_lo, s11
.LBB6_5891:                             ;   in Loop: Header=BB6_4515 Depth=2
	s_delay_alu instid0(SALU_CYCLE_1) | instskip(SKIP_3) | instid1(VALU_DEP_1)
	s_or_b32 exec_lo, exec_lo, s10
	s_wait_loadcnt_dscnt 0x1212
	v_and_b32_e32 v16, 0xff, v47
	s_mov_b32 s10, exec_lo
	v_cmpx_ne_u16_e32 0, v16
	s_cbranch_execz .LBB6_5899
; %bb.5892:                             ;   in Loop: Header=BB6_4515 Depth=2
	v_bfrev_b32_e32 v18, 1
	s_mov_b32 s11, exec_lo
	v_cmpx_ne_u16_e32 0x80, v16
	s_cbranch_execz .LBB6_5898
; %bb.5893:                             ;   in Loop: Header=BB6_4515 Depth=2
	v_and_b32_e32 v17, 0x7f, v47
	v_mov_b32_e32 v18, 0x7f800001
	s_mov_b32 s29, exec_lo
	s_delay_alu instid0(VALU_DEP_2)
	v_cmpx_ne_u32_e32 0x7f, v17
	s_cbranch_execz .LBB6_5897
; %bb.5894:                             ;   in Loop: Header=BB6_4515 Depth=2
	v_dual_lshrrev_b32 v18, 3, v17 :: v_dual_bitop2_b32 v54, 7, v16 bitop3:0x40
	v_cmp_gt_u32_e32 vcc_lo, 8, v17
	s_delay_alu instid0(VALU_DEP_2)
	v_mov_b64_e32 v[16:17], v[54:55]
	s_and_saveexec_b32 s40, vcc_lo
; %bb.5895:                             ;   in Loop: Header=BB6_4515 Depth=2
	v_clz_i32_u32_e32 v16, v54
	s_delay_alu instid0(VALU_DEP_1) | instskip(NEXT) | instid1(VALU_DEP_1)
	v_min_u32_e32 v18, 32, v16
	v_subrev_nc_u32_e32 v16, 28, v18
	s_delay_alu instid0(VALU_DEP_1) | instskip(NEXT) | instid1(VALU_DEP_1)
	v_lshlrev_b64_e32 v[16:17], v16, v[54:55]
	v_dual_sub_nc_u32 v18, 29, v18 :: v_dual_bitop2_b32 v16, 7, v16 bitop3:0x40
; %bb.5896:                             ;   in Loop: Header=BB6_4515 Depth=2
	s_or_b32 exec_lo, exec_lo, s40
	s_delay_alu instid0(VALU_DEP_1) | instskip(NEXT) | instid1(VALU_DEP_2)
	v_dual_lshlrev_b32 v17, 24, v47 :: v_dual_lshlrev_b32 v16, 20, v16
	v_lshl_add_u32 v18, v18, 23, 0x3c000000
	s_delay_alu instid0(VALU_DEP_2) | instskip(NEXT) | instid1(VALU_DEP_1)
	v_and_b32_e32 v17, 0x80000000, v17
	v_or3_b32 v18, v16, v17, v18
.LBB6_5897:                             ;   in Loop: Header=BB6_4515 Depth=2
	s_or_b32 exec_lo, exec_lo, s29
.LBB6_5898:                             ;   in Loop: Header=BB6_4515 Depth=2
	s_delay_alu instid0(SALU_CYCLE_1)
	s_or_b32 exec_lo, exec_lo, s11
.LBB6_5899:                             ;   in Loop: Header=BB6_4515 Depth=2
	s_delay_alu instid0(SALU_CYCLE_1) | instskip(NEXT) | instid1(VALU_DEP_1)
	s_or_b32 exec_lo, exec_lo, s10
	v_add_f32_e32 v16, v19, v18
                                        ; implicit-def: $vgpr52
	s_mov_b32 s10, exec_lo
	s_delay_alu instid0(VALU_DEP_1) | instskip(SKIP_1) | instid1(VALU_DEP_2)
	v_and_b32_e32 v54, 0x7f800000, v16
	v_lshrrev_b32_e32 v17, 24, v16
	v_cmpx_ne_u64_e32 0x7f800000, v[54:55]
	s_xor_b32 s11, exec_lo, s10
	s_cbranch_execz .LBB6_5917
; %bb.5900:                             ;   in Loop: Header=BB6_4515 Depth=2
	v_and_b32_e32 v54, 0x7fffffff, v16
	v_and_b32_e32 v47, 0x80, v17
                                        ; implicit-def: $vgpr52
	s_mov_b32 s10, exec_lo
	s_delay_alu instid0(VALU_DEP_2)
	v_cmpx_gt_u64_e32 0x43e00001, v[54:55]
	s_xor_b32 s29, exec_lo, s10
	s_cbranch_execz .LBB6_5914
; %bb.5901:                             ;   in Loop: Header=BB6_4515 Depth=2
	v_mov_b32_e32 v52, 0
	s_mov_b32 s40, exec_lo
	v_cmpx_ne_u32_e32 0, v16
	s_cbranch_execz .LBB6_5913
; %bb.5902:                             ;   in Loop: Header=BB6_4515 Depth=2
	v_bfe_u32 v52, v16, 23, 8
	v_and_b32_e32 v18, 0x7fffff, v16
	s_delay_alu instid0(VALU_DEP_2) | instskip(NEXT) | instid1(VALU_DEP_2)
	v_cmp_gt_u32_e32 vcc_lo, 0x7a, v52
	v_or_b32_e32 v19, 0x800000, v18
	v_sub_nc_u32_e32 v17, 0x79, v52
	s_delay_alu instid0(VALU_DEP_1) | instskip(SKIP_1) | instid1(VALU_DEP_2)
	v_cndmask_b32_e32 v17, 0, v17, vcc_lo
	v_cmp_eq_u32_e32 vcc_lo, 0, v52
	v_cndmask_b32_e64 v56, v17, 0x78, vcc_lo
	s_delay_alu instid0(VALU_DEP_1) | instskip(SKIP_1) | instid1(VALU_DEP_2)
	v_dual_cndmask_b32 v54, v19, v18, vcc_lo :: v_dual_add_nc_u32 v16, 20, v56
	v_add_nc_u32_e32 v57, 19, v56
	v_lshlrev_b64_e64 v[16:17], v16, -1
	s_delay_alu instid0(VALU_DEP_2) | instskip(NEXT) | instid1(VALU_DEP_2)
	v_lshlrev_b64_e64 v[18:19], v57, 1
	v_bfi_b32 v59, v17, 0, 0
	s_delay_alu instid0(VALU_DEP_3) | instskip(SKIP_1) | instid1(VALU_DEP_2)
	v_bfi_b32 v58, v16, 0, v54
	v_lshrrev_b64 v[16:17], v56, v[54:55]
	v_cmp_eq_u64_e64 s10, v[58:59], v[18:19]
	s_delay_alu instid0(VALU_DEP_2)
	v_mov_b64_e32 v[18:19], v[16:17]
	s_and_saveexec_b32 s41, s10
; %bb.5903:                             ;   in Loop: Header=BB6_4515 Depth=2
	v_bfe_u32 v54, v16, 20, 1
	s_delay_alu instid0(VALU_DEP_1) | instskip(NEXT) | instid1(VALU_DEP_1)
	v_add_nc_u64_e32 v[18:19], v[16:17], v[54:55]
	v_add_nc_u64_e32 v[18:19], -1, v[18:19]
; %bb.5904:                             ;   in Loop: Header=BB6_4515 Depth=2
	s_or_b32 exec_lo, exec_lo, s41
	v_add_nc_u32_e32 v17, 0xffffff81, v52
	v_lshrrev_b32_e32 v19, 23, v16
	s_mov_b32 s10, exec_lo
	s_delay_alu instid0(VALU_DEP_2) | instskip(NEXT) | instid1(VALU_DEP_1)
	v_cndmask_b32_e64 v17, v17, 0xffffff82, vcc_lo
	v_add3_u32 v19, v56, v17, v19
	v_and_b32_e32 v17, 0xfffff, v18
                                        ; implicit-def: $vgpr18
	s_delay_alu instid0(VALU_DEP_1) | instskip(NEXT) | instid1(VALU_DEP_1)
	v_dual_add_nc_u32 v52, 6, v19 :: v_dual_add_nc_u32 v54, v17, v16
                                        ; implicit-def: $vgpr16_vgpr17
	v_cmpx_ne_u32_e32 0, v52
	s_xor_b32 s10, exec_lo, s10
; %bb.5905:                             ;   in Loop: Header=BB6_4515 Depth=2
	s_delay_alu instid0(VALU_DEP_2) | instskip(SKIP_1) | instid1(VALU_DEP_1)
	v_cmp_lt_u64_e32 vcc_lo, 0xffffff, v[54:55]
	v_add_nc_u32_e32 v16, 7, v19
	v_cndmask_b32_e32 v18, v52, v16, vcc_lo
	v_cndmask_b32_e64 v16, 0, 1, vcc_lo
	s_delay_alu instid0(VALU_DEP_1)
	v_lshrrev_b64 v[16:17], v16, v[54:55]
; %bb.5906:                             ;   in Loop: Header=BB6_4515 Depth=2
	s_and_not1_saveexec_b32 s10, s10
; %bb.5907:                             ;   in Loop: Header=BB6_4515 Depth=2
	v_mov_b64_e32 v[16:17], v[54:55]
	v_bfe_u32 v18, v54, 23, 1
; %bb.5908:                             ;   in Loop: Header=BB6_4515 Depth=2
	s_or_b32 exec_lo, exec_lo, s10
	s_delay_alu instid0(VALU_DEP_2) | instskip(NEXT) | instid1(VALU_DEP_2)
	v_lshrrev_b64 v[16:17], 20, v[16:17]
	v_cmp_gt_i32_e32 vcc_lo, 16, v18
	v_cmp_ne_u32_e64 s10, 0, v18
                                        ; implicit-def: $vgpr52
	s_delay_alu instid0(VALU_DEP_3) | instskip(NEXT) | instid1(VALU_DEP_1)
	v_dual_cndmask_b32 v17, 0, v17 :: v_dual_cndmask_b32 v16, 7, v16
	v_cmp_ne_u64_e32 vcc_lo, 0, v[16:17]
	s_or_b32 s10, s10, vcc_lo
	s_delay_alu instid0(SALU_CYCLE_1) | instskip(NEXT) | instid1(SALU_CYCLE_1)
	s_and_saveexec_b32 s41, s10
	s_xor_b32 s10, exec_lo, s41
; %bb.5909:                             ;   in Loop: Header=BB6_4515 Depth=2
	v_min_i32_e32 v17, 15, v18
	s_delay_alu instid0(VALU_DEP_1) | instskip(NEXT) | instid1(VALU_DEP_1)
	v_lshl_or_b32 v17, v17, 3, v47
                                        ; implicit-def: $vgpr47
	v_and_or_b32 v52, v16, 7, v17
; %bb.5910:                             ;   in Loop: Header=BB6_4515 Depth=2
	s_and_not1_saveexec_b32 s10, s10
; %bb.5911:                             ;   in Loop: Header=BB6_4515 Depth=2
	v_mov_b32_e32 v52, v47
; %bb.5912:                             ;   in Loop: Header=BB6_4515 Depth=2
	s_or_b32 exec_lo, exec_lo, s10
.LBB6_5913:                             ;   in Loop: Header=BB6_4515 Depth=2
	s_delay_alu instid0(SALU_CYCLE_1)
	s_or_b32 exec_lo, exec_lo, s40
                                        ; implicit-def: $vgpr47
.LBB6_5914:                             ;   in Loop: Header=BB6_4515 Depth=2
	s_and_not1_saveexec_b32 s10, s29
; %bb.5915:                             ;   in Loop: Header=BB6_4515 Depth=2
	v_or_b32_e32 v52, 0x7e, v47
; %bb.5916:                             ;   in Loop: Header=BB6_4515 Depth=2
	s_or_b32 exec_lo, exec_lo, s10
                                        ; implicit-def: $vgpr17
.LBB6_5917:                             ;   in Loop: Header=BB6_4515 Depth=2
	s_and_not1_saveexec_b32 s10, s11
; %bb.5918:                             ;   in Loop: Header=BB6_4515 Depth=2
	v_or_b32_e32 v52, 0x7f, v17
; %bb.5919:                             ;   in Loop: Header=BB6_4515 Depth=2
	s_or_b32 exec_lo, exec_lo, s10
	v_and_b32_e32 v16, 0xff, v51
	v_dual_mov_b32 v18, 0 :: v_dual_mov_b32 v19, 0
	s_mov_b32 s10, exec_lo
	s_delay_alu instid0(VALU_DEP_2)
	v_cmpx_ne_u16_e32 0, v16
	s_cbranch_execz .LBB6_5927
; %bb.5920:                             ;   in Loop: Header=BB6_4515 Depth=2
	v_bfrev_b32_e32 v19, 1
	s_mov_b32 s11, exec_lo
	v_cmpx_ne_u16_e32 0x80, v16
	s_cbranch_execz .LBB6_5926
; %bb.5921:                             ;   in Loop: Header=BB6_4515 Depth=2
	v_and_b32_e32 v17, 0x7f, v51
	v_mov_b32_e32 v19, 0x7f800001
	s_mov_b32 s29, exec_lo
	s_delay_alu instid0(VALU_DEP_2)
	v_cmpx_ne_u32_e32 0x7f, v17
	s_cbranch_execz .LBB6_5925
; %bb.5922:                             ;   in Loop: Header=BB6_4515 Depth=2
	v_dual_lshrrev_b32 v19, 3, v17 :: v_dual_bitop2_b32 v54, 7, v16 bitop3:0x40
	v_cmp_gt_u32_e32 vcc_lo, 8, v17
	s_delay_alu instid0(VALU_DEP_2)
	v_mov_b64_e32 v[16:17], v[54:55]
	s_and_saveexec_b32 s40, vcc_lo
; %bb.5923:                             ;   in Loop: Header=BB6_4515 Depth=2
	v_clz_i32_u32_e32 v16, v54
	s_delay_alu instid0(VALU_DEP_1) | instskip(NEXT) | instid1(VALU_DEP_1)
	v_min_u32_e32 v19, 32, v16
	v_subrev_nc_u32_e32 v16, 28, v19
	s_delay_alu instid0(VALU_DEP_1) | instskip(NEXT) | instid1(VALU_DEP_1)
	v_lshlrev_b64_e32 v[16:17], v16, v[54:55]
	v_dual_sub_nc_u32 v19, 29, v19 :: v_dual_bitop2_b32 v16, 7, v16 bitop3:0x40
; %bb.5924:                             ;   in Loop: Header=BB6_4515 Depth=2
	s_or_b32 exec_lo, exec_lo, s40
	s_delay_alu instid0(VALU_DEP_1) | instskip(NEXT) | instid1(VALU_DEP_2)
	v_dual_lshlrev_b32 v17, 24, v51 :: v_dual_lshlrev_b32 v16, 20, v16
	v_lshl_add_u32 v19, v19, 23, 0x3c000000
	s_delay_alu instid0(VALU_DEP_2) | instskip(NEXT) | instid1(VALU_DEP_1)
	v_and_b32_e32 v17, 0x80000000, v17
	v_or3_b32 v19, v16, v17, v19
.LBB6_5925:                             ;   in Loop: Header=BB6_4515 Depth=2
	s_or_b32 exec_lo, exec_lo, s29
.LBB6_5926:                             ;   in Loop: Header=BB6_4515 Depth=2
	s_delay_alu instid0(SALU_CYCLE_1)
	s_or_b32 exec_lo, exec_lo, s11
.LBB6_5927:                             ;   in Loop: Header=BB6_4515 Depth=2
	s_delay_alu instid0(SALU_CYCLE_1) | instskip(SKIP_3) | instid1(VALU_DEP_1)
	s_or_b32 exec_lo, exec_lo, s10
	s_wait_loadcnt_dscnt 0x1111
	v_and_b32_e32 v16, 0xff, v46
	s_mov_b32 s10, exec_lo
	v_cmpx_ne_u16_e32 0, v16
	s_cbranch_execz .LBB6_5935
; %bb.5928:                             ;   in Loop: Header=BB6_4515 Depth=2
	v_bfrev_b32_e32 v18, 1
	s_mov_b32 s11, exec_lo
	v_cmpx_ne_u16_e32 0x80, v16
	s_cbranch_execz .LBB6_5934
; %bb.5929:                             ;   in Loop: Header=BB6_4515 Depth=2
	v_and_b32_e32 v17, 0x7f, v46
	v_mov_b32_e32 v18, 0x7f800001
	s_mov_b32 s29, exec_lo
	s_delay_alu instid0(VALU_DEP_2)
	v_cmpx_ne_u32_e32 0x7f, v17
	s_cbranch_execz .LBB6_5933
; %bb.5930:                             ;   in Loop: Header=BB6_4515 Depth=2
	v_dual_lshrrev_b32 v18, 3, v17 :: v_dual_bitop2_b32 v54, 7, v16 bitop3:0x40
	v_cmp_gt_u32_e32 vcc_lo, 8, v17
	s_delay_alu instid0(VALU_DEP_2)
	v_mov_b64_e32 v[16:17], v[54:55]
	s_and_saveexec_b32 s40, vcc_lo
; %bb.5931:                             ;   in Loop: Header=BB6_4515 Depth=2
	v_clz_i32_u32_e32 v16, v54
	s_delay_alu instid0(VALU_DEP_1) | instskip(NEXT) | instid1(VALU_DEP_1)
	v_min_u32_e32 v18, 32, v16
	v_subrev_nc_u32_e32 v16, 28, v18
	s_delay_alu instid0(VALU_DEP_1) | instskip(NEXT) | instid1(VALU_DEP_1)
	v_lshlrev_b64_e32 v[16:17], v16, v[54:55]
	v_dual_sub_nc_u32 v18, 29, v18 :: v_dual_bitop2_b32 v16, 7, v16 bitop3:0x40
; %bb.5932:                             ;   in Loop: Header=BB6_4515 Depth=2
	s_or_b32 exec_lo, exec_lo, s40
	s_delay_alu instid0(VALU_DEP_1) | instskip(NEXT) | instid1(VALU_DEP_2)
	v_dual_lshlrev_b32 v17, 24, v46 :: v_dual_lshlrev_b32 v16, 20, v16
	v_lshl_add_u32 v18, v18, 23, 0x3c000000
	s_delay_alu instid0(VALU_DEP_2) | instskip(NEXT) | instid1(VALU_DEP_1)
	v_and_b32_e32 v17, 0x80000000, v17
	v_or3_b32 v18, v16, v17, v18
.LBB6_5933:                             ;   in Loop: Header=BB6_4515 Depth=2
	s_or_b32 exec_lo, exec_lo, s29
.LBB6_5934:                             ;   in Loop: Header=BB6_4515 Depth=2
	s_delay_alu instid0(SALU_CYCLE_1)
	s_or_b32 exec_lo, exec_lo, s11
.LBB6_5935:                             ;   in Loop: Header=BB6_4515 Depth=2
	s_delay_alu instid0(SALU_CYCLE_1) | instskip(NEXT) | instid1(VALU_DEP_1)
	s_or_b32 exec_lo, exec_lo, s10
	v_add_f32_e32 v16, v19, v18
                                        ; implicit-def: $vgpr51
	s_mov_b32 s10, exec_lo
	s_delay_alu instid0(VALU_DEP_1) | instskip(SKIP_1) | instid1(VALU_DEP_2)
	v_and_b32_e32 v54, 0x7f800000, v16
	v_lshrrev_b32_e32 v17, 24, v16
	v_cmpx_ne_u64_e32 0x7f800000, v[54:55]
	s_xor_b32 s11, exec_lo, s10
	s_cbranch_execz .LBB6_5953
; %bb.5936:                             ;   in Loop: Header=BB6_4515 Depth=2
	v_and_b32_e32 v54, 0x7fffffff, v16
	v_and_b32_e32 v46, 0x80, v17
                                        ; implicit-def: $vgpr51
	s_mov_b32 s10, exec_lo
	s_delay_alu instid0(VALU_DEP_2)
	v_cmpx_gt_u64_e32 0x43e00001, v[54:55]
	s_xor_b32 s29, exec_lo, s10
	s_cbranch_execz .LBB6_5950
; %bb.5937:                             ;   in Loop: Header=BB6_4515 Depth=2
	v_mov_b32_e32 v51, 0
	s_mov_b32 s40, exec_lo
	v_cmpx_ne_u32_e32 0, v16
	s_cbranch_execz .LBB6_5949
; %bb.5938:                             ;   in Loop: Header=BB6_4515 Depth=2
	v_bfe_u32 v51, v16, 23, 8
	v_and_b32_e32 v18, 0x7fffff, v16
	s_delay_alu instid0(VALU_DEP_2) | instskip(NEXT) | instid1(VALU_DEP_2)
	v_cmp_gt_u32_e32 vcc_lo, 0x7a, v51
	v_or_b32_e32 v19, 0x800000, v18
	v_sub_nc_u32_e32 v17, 0x79, v51
	s_delay_alu instid0(VALU_DEP_1) | instskip(SKIP_1) | instid1(VALU_DEP_2)
	v_cndmask_b32_e32 v17, 0, v17, vcc_lo
	v_cmp_eq_u32_e32 vcc_lo, 0, v51
	v_cndmask_b32_e64 v47, v17, 0x78, vcc_lo
	s_delay_alu instid0(VALU_DEP_1) | instskip(SKIP_1) | instid1(VALU_DEP_2)
	v_dual_cndmask_b32 v54, v19, v18, vcc_lo :: v_dual_add_nc_u32 v16, 20, v47
	v_add_nc_u32_e32 v56, 19, v47
	v_lshlrev_b64_e64 v[16:17], v16, -1
	s_delay_alu instid0(VALU_DEP_2) | instskip(NEXT) | instid1(VALU_DEP_2)
	v_lshlrev_b64_e64 v[18:19], v56, 1
	v_bfi_b32 v57, v17, 0, 0
	s_delay_alu instid0(VALU_DEP_3) | instskip(SKIP_1) | instid1(VALU_DEP_2)
	v_bfi_b32 v56, v16, 0, v54
	v_lshrrev_b64 v[16:17], v47, v[54:55]
	v_cmp_eq_u64_e64 s10, v[56:57], v[18:19]
	s_delay_alu instid0(VALU_DEP_2)
	v_mov_b64_e32 v[18:19], v[16:17]
	s_and_saveexec_b32 s41, s10
; %bb.5939:                             ;   in Loop: Header=BB6_4515 Depth=2
	v_bfe_u32 v54, v16, 20, 1
	s_delay_alu instid0(VALU_DEP_1) | instskip(NEXT) | instid1(VALU_DEP_1)
	v_add_nc_u64_e32 v[18:19], v[16:17], v[54:55]
	v_add_nc_u64_e32 v[18:19], -1, v[18:19]
; %bb.5940:                             ;   in Loop: Header=BB6_4515 Depth=2
	s_or_b32 exec_lo, exec_lo, s41
	v_add_nc_u32_e32 v17, 0xffffff81, v51
	v_lshrrev_b32_e32 v19, 23, v16
	s_mov_b32 s10, exec_lo
	s_delay_alu instid0(VALU_DEP_2) | instskip(NEXT) | instid1(VALU_DEP_1)
	v_cndmask_b32_e64 v17, v17, 0xffffff82, vcc_lo
	v_add3_u32 v19, v47, v17, v19
	v_and_b32_e32 v17, 0xfffff, v18
                                        ; implicit-def: $vgpr18
	s_delay_alu instid0(VALU_DEP_1) | instskip(NEXT) | instid1(VALU_DEP_1)
	v_dual_add_nc_u32 v51, 6, v19 :: v_dual_add_nc_u32 v54, v17, v16
                                        ; implicit-def: $vgpr16_vgpr17
	v_cmpx_ne_u32_e32 0, v51
	s_xor_b32 s10, exec_lo, s10
; %bb.5941:                             ;   in Loop: Header=BB6_4515 Depth=2
	s_delay_alu instid0(VALU_DEP_2) | instskip(SKIP_1) | instid1(VALU_DEP_1)
	v_cmp_lt_u64_e32 vcc_lo, 0xffffff, v[54:55]
	v_add_nc_u32_e32 v16, 7, v19
	v_cndmask_b32_e32 v18, v51, v16, vcc_lo
	v_cndmask_b32_e64 v16, 0, 1, vcc_lo
	s_delay_alu instid0(VALU_DEP_1)
	v_lshrrev_b64 v[16:17], v16, v[54:55]
; %bb.5942:                             ;   in Loop: Header=BB6_4515 Depth=2
	s_and_not1_saveexec_b32 s10, s10
; %bb.5943:                             ;   in Loop: Header=BB6_4515 Depth=2
	v_mov_b64_e32 v[16:17], v[54:55]
	v_bfe_u32 v18, v54, 23, 1
; %bb.5944:                             ;   in Loop: Header=BB6_4515 Depth=2
	s_or_b32 exec_lo, exec_lo, s10
	s_delay_alu instid0(VALU_DEP_2) | instskip(NEXT) | instid1(VALU_DEP_2)
	v_lshrrev_b64 v[16:17], 20, v[16:17]
	v_cmp_gt_i32_e32 vcc_lo, 16, v18
	v_cmp_ne_u32_e64 s10, 0, v18
                                        ; implicit-def: $vgpr51
	s_delay_alu instid0(VALU_DEP_3) | instskip(NEXT) | instid1(VALU_DEP_1)
	v_dual_cndmask_b32 v17, 0, v17 :: v_dual_cndmask_b32 v16, 7, v16
	v_cmp_ne_u64_e32 vcc_lo, 0, v[16:17]
	s_or_b32 s10, s10, vcc_lo
	s_delay_alu instid0(SALU_CYCLE_1) | instskip(NEXT) | instid1(SALU_CYCLE_1)
	s_and_saveexec_b32 s41, s10
	s_xor_b32 s10, exec_lo, s41
; %bb.5945:                             ;   in Loop: Header=BB6_4515 Depth=2
	v_min_i32_e32 v17, 15, v18
	s_delay_alu instid0(VALU_DEP_1) | instskip(NEXT) | instid1(VALU_DEP_1)
	v_lshl_or_b32 v17, v17, 3, v46
                                        ; implicit-def: $vgpr46
	v_and_or_b32 v51, v16, 7, v17
; %bb.5946:                             ;   in Loop: Header=BB6_4515 Depth=2
	s_and_not1_saveexec_b32 s10, s10
; %bb.5947:                             ;   in Loop: Header=BB6_4515 Depth=2
	v_mov_b32_e32 v51, v46
; %bb.5948:                             ;   in Loop: Header=BB6_4515 Depth=2
	s_or_b32 exec_lo, exec_lo, s10
.LBB6_5949:                             ;   in Loop: Header=BB6_4515 Depth=2
	s_delay_alu instid0(SALU_CYCLE_1)
	s_or_b32 exec_lo, exec_lo, s40
                                        ; implicit-def: $vgpr46
.LBB6_5950:                             ;   in Loop: Header=BB6_4515 Depth=2
	s_and_not1_saveexec_b32 s10, s29
; %bb.5951:                             ;   in Loop: Header=BB6_4515 Depth=2
	v_or_b32_e32 v51, 0x7e, v46
; %bb.5952:                             ;   in Loop: Header=BB6_4515 Depth=2
	s_or_b32 exec_lo, exec_lo, s10
                                        ; implicit-def: $vgpr17
.LBB6_5953:                             ;   in Loop: Header=BB6_4515 Depth=2
	s_and_not1_saveexec_b32 s10, s11
; %bb.5954:                             ;   in Loop: Header=BB6_4515 Depth=2
	v_or_b32_e32 v51, 0x7f, v17
; %bb.5955:                             ;   in Loop: Header=BB6_4515 Depth=2
	s_or_b32 exec_lo, exec_lo, s10
	v_and_b32_e32 v16, 0xff, v50
	v_dual_mov_b32 v18, 0 :: v_dual_mov_b32 v19, 0
	s_mov_b32 s10, exec_lo
	s_delay_alu instid0(VALU_DEP_2)
	v_cmpx_ne_u16_e32 0, v16
	s_cbranch_execz .LBB6_5963
; %bb.5956:                             ;   in Loop: Header=BB6_4515 Depth=2
	v_bfrev_b32_e32 v19, 1
	s_mov_b32 s11, exec_lo
	v_cmpx_ne_u16_e32 0x80, v16
	s_cbranch_execz .LBB6_5962
; %bb.5957:                             ;   in Loop: Header=BB6_4515 Depth=2
	v_and_b32_e32 v17, 0x7f, v50
	v_mov_b32_e32 v19, 0x7f800001
	s_mov_b32 s29, exec_lo
	s_delay_alu instid0(VALU_DEP_2)
	v_cmpx_ne_u32_e32 0x7f, v17
	s_cbranch_execz .LBB6_5961
; %bb.5958:                             ;   in Loop: Header=BB6_4515 Depth=2
	v_dual_lshrrev_b32 v19, 3, v17 :: v_dual_bitop2_b32 v54, 7, v16 bitop3:0x40
	v_cmp_gt_u32_e32 vcc_lo, 8, v17
	s_delay_alu instid0(VALU_DEP_2)
	v_mov_b64_e32 v[16:17], v[54:55]
	s_and_saveexec_b32 s40, vcc_lo
; %bb.5959:                             ;   in Loop: Header=BB6_4515 Depth=2
	v_clz_i32_u32_e32 v16, v54
	s_delay_alu instid0(VALU_DEP_1) | instskip(NEXT) | instid1(VALU_DEP_1)
	v_min_u32_e32 v19, 32, v16
	v_subrev_nc_u32_e32 v16, 28, v19
	s_delay_alu instid0(VALU_DEP_1) | instskip(NEXT) | instid1(VALU_DEP_1)
	v_lshlrev_b64_e32 v[16:17], v16, v[54:55]
	v_dual_sub_nc_u32 v19, 29, v19 :: v_dual_bitop2_b32 v16, 7, v16 bitop3:0x40
; %bb.5960:                             ;   in Loop: Header=BB6_4515 Depth=2
	s_or_b32 exec_lo, exec_lo, s40
	s_delay_alu instid0(VALU_DEP_1) | instskip(NEXT) | instid1(VALU_DEP_2)
	v_dual_lshlrev_b32 v17, 24, v50 :: v_dual_lshlrev_b32 v16, 20, v16
	v_lshl_add_u32 v19, v19, 23, 0x3c000000
	s_delay_alu instid0(VALU_DEP_2) | instskip(NEXT) | instid1(VALU_DEP_1)
	v_and_b32_e32 v17, 0x80000000, v17
	v_or3_b32 v19, v16, v17, v19
.LBB6_5961:                             ;   in Loop: Header=BB6_4515 Depth=2
	s_or_b32 exec_lo, exec_lo, s29
.LBB6_5962:                             ;   in Loop: Header=BB6_4515 Depth=2
	s_delay_alu instid0(SALU_CYCLE_1)
	s_or_b32 exec_lo, exec_lo, s11
.LBB6_5963:                             ;   in Loop: Header=BB6_4515 Depth=2
	s_delay_alu instid0(SALU_CYCLE_1) | instskip(SKIP_3) | instid1(VALU_DEP_1)
	s_or_b32 exec_lo, exec_lo, s10
	s_wait_loadcnt_dscnt 0x1010
	v_and_b32_e32 v16, 0xff, v44
	s_mov_b32 s10, exec_lo
	v_cmpx_ne_u16_e32 0, v16
	s_cbranch_execz .LBB6_5971
; %bb.5964:                             ;   in Loop: Header=BB6_4515 Depth=2
	v_bfrev_b32_e32 v18, 1
	s_mov_b32 s11, exec_lo
	v_cmpx_ne_u16_e32 0x80, v16
	s_cbranch_execz .LBB6_5970
; %bb.5965:                             ;   in Loop: Header=BB6_4515 Depth=2
	v_and_b32_e32 v17, 0x7f, v44
	v_mov_b32_e32 v18, 0x7f800001
	s_mov_b32 s29, exec_lo
	s_delay_alu instid0(VALU_DEP_2)
	v_cmpx_ne_u32_e32 0x7f, v17
	s_cbranch_execz .LBB6_5969
; %bb.5966:                             ;   in Loop: Header=BB6_4515 Depth=2
	v_dual_lshrrev_b32 v18, 3, v17 :: v_dual_bitop2_b32 v54, 7, v16 bitop3:0x40
	v_cmp_gt_u32_e32 vcc_lo, 8, v17
	s_delay_alu instid0(VALU_DEP_2)
	v_mov_b64_e32 v[16:17], v[54:55]
	s_and_saveexec_b32 s40, vcc_lo
; %bb.5967:                             ;   in Loop: Header=BB6_4515 Depth=2
	v_clz_i32_u32_e32 v16, v54
	s_delay_alu instid0(VALU_DEP_1) | instskip(NEXT) | instid1(VALU_DEP_1)
	v_min_u32_e32 v18, 32, v16
	v_subrev_nc_u32_e32 v16, 28, v18
	s_delay_alu instid0(VALU_DEP_1) | instskip(NEXT) | instid1(VALU_DEP_1)
	v_lshlrev_b64_e32 v[16:17], v16, v[54:55]
	v_dual_sub_nc_u32 v18, 29, v18 :: v_dual_bitop2_b32 v16, 7, v16 bitop3:0x40
; %bb.5968:                             ;   in Loop: Header=BB6_4515 Depth=2
	s_or_b32 exec_lo, exec_lo, s40
	v_lshlrev_b32_e32 v17, 24, v44
	s_delay_alu instid0(VALU_DEP_2) | instskip(NEXT) | instid1(VALU_DEP_3)
	v_lshlrev_b32_e32 v16, 20, v16
	v_lshl_add_u32 v18, v18, 23, 0x3c000000
	s_delay_alu instid0(VALU_DEP_3) | instskip(NEXT) | instid1(VALU_DEP_1)
	v_and_b32_e32 v17, 0x80000000, v17
	v_or3_b32 v18, v16, v17, v18
.LBB6_5969:                             ;   in Loop: Header=BB6_4515 Depth=2
	s_or_b32 exec_lo, exec_lo, s29
.LBB6_5970:                             ;   in Loop: Header=BB6_4515 Depth=2
	s_delay_alu instid0(SALU_CYCLE_1)
	s_or_b32 exec_lo, exec_lo, s11
.LBB6_5971:                             ;   in Loop: Header=BB6_4515 Depth=2
	s_delay_alu instid0(SALU_CYCLE_1) | instskip(NEXT) | instid1(VALU_DEP_1)
	s_or_b32 exec_lo, exec_lo, s10
	v_add_f32_e32 v16, v19, v18
                                        ; implicit-def: $vgpr50
	s_mov_b32 s10, exec_lo
	s_delay_alu instid0(VALU_DEP_1) | instskip(SKIP_1) | instid1(VALU_DEP_2)
	v_and_b32_e32 v54, 0x7f800000, v16
	v_lshrrev_b32_e32 v17, 24, v16
	v_cmpx_ne_u64_e32 0x7f800000, v[54:55]
	s_xor_b32 s11, exec_lo, s10
	s_cbranch_execz .LBB6_5989
; %bb.5972:                             ;   in Loop: Header=BB6_4515 Depth=2
	v_and_b32_e32 v54, 0x7fffffff, v16
	v_and_b32_e32 v44, 0x80, v17
                                        ; implicit-def: $vgpr50
	s_mov_b32 s10, exec_lo
	s_delay_alu instid0(VALU_DEP_2)
	v_cmpx_gt_u64_e32 0x43e00001, v[54:55]
	s_xor_b32 s29, exec_lo, s10
	s_cbranch_execz .LBB6_5986
; %bb.5973:                             ;   in Loop: Header=BB6_4515 Depth=2
	v_mov_b32_e32 v50, 0
	s_mov_b32 s40, exec_lo
	v_cmpx_ne_u32_e32 0, v16
	s_cbranch_execz .LBB6_5985
; %bb.5974:                             ;   in Loop: Header=BB6_4515 Depth=2
	v_bfe_u32 v50, v16, 23, 8
	v_and_b32_e32 v18, 0x7fffff, v16
	s_delay_alu instid0(VALU_DEP_2) | instskip(SKIP_1) | instid1(VALU_DEP_3)
	v_sub_nc_u32_e32 v17, 0x79, v50
	v_cmp_gt_u32_e32 vcc_lo, 0x7a, v50
	v_or_b32_e32 v19, 0x800000, v18
	s_delay_alu instid0(VALU_DEP_3) | instskip(SKIP_1) | instid1(VALU_DEP_2)
	v_cndmask_b32_e32 v17, 0, v17, vcc_lo
	v_cmp_eq_u32_e32 vcc_lo, 0, v50
	v_cndmask_b32_e64 v46, v17, 0x78, vcc_lo
	s_delay_alu instid0(VALU_DEP_4) | instskip(NEXT) | instid1(VALU_DEP_2)
	v_cndmask_b32_e32 v54, v19, v18, vcc_lo
	v_dual_add_nc_u32 v16, 20, v46 :: v_dual_add_nc_u32 v47, 19, v46
	s_delay_alu instid0(VALU_DEP_1) | instskip(NEXT) | instid1(VALU_DEP_2)
	v_lshlrev_b64_e64 v[16:17], v16, -1
	v_lshlrev_b64_e64 v[18:19], v47, 1
	s_delay_alu instid0(VALU_DEP_2) | instskip(NEXT) | instid1(VALU_DEP_3)
	v_bfi_b32 v57, v17, 0, 0
	v_bfi_b32 v56, v16, 0, v54
	v_lshrrev_b64 v[16:17], v46, v[54:55]
	s_delay_alu instid0(VALU_DEP_2) | instskip(NEXT) | instid1(VALU_DEP_2)
	v_cmp_eq_u64_e64 s10, v[56:57], v[18:19]
	v_mov_b64_e32 v[18:19], v[16:17]
	s_and_saveexec_b32 s41, s10
; %bb.5975:                             ;   in Loop: Header=BB6_4515 Depth=2
	v_bfe_u32 v54, v16, 20, 1
	s_delay_alu instid0(VALU_DEP_1) | instskip(NEXT) | instid1(VALU_DEP_1)
	v_add_nc_u64_e32 v[18:19], v[16:17], v[54:55]
	v_add_nc_u64_e32 v[18:19], -1, v[18:19]
; %bb.5976:                             ;   in Loop: Header=BB6_4515 Depth=2
	s_or_b32 exec_lo, exec_lo, s41
	v_add_nc_u32_e32 v17, 0xffffff81, v50
	v_lshrrev_b32_e32 v19, 23, v16
	s_mov_b32 s10, exec_lo
	s_delay_alu instid0(VALU_DEP_2) | instskip(NEXT) | instid1(VALU_DEP_1)
	v_cndmask_b32_e64 v17, v17, 0xffffff82, vcc_lo
	v_add3_u32 v19, v46, v17, v19
	v_and_b32_e32 v17, 0xfffff, v18
                                        ; implicit-def: $vgpr18
	s_delay_alu instid0(VALU_DEP_1) | instskip(NEXT) | instid1(VALU_DEP_1)
	v_dual_add_nc_u32 v50, 6, v19 :: v_dual_add_nc_u32 v54, v17, v16
                                        ; implicit-def: $vgpr16_vgpr17
	v_cmpx_ne_u32_e32 0, v50
	s_xor_b32 s10, exec_lo, s10
; %bb.5977:                             ;   in Loop: Header=BB6_4515 Depth=2
	s_delay_alu instid0(VALU_DEP_2) | instskip(SKIP_1) | instid1(VALU_DEP_1)
	v_cmp_lt_u64_e32 vcc_lo, 0xffffff, v[54:55]
	v_add_nc_u32_e32 v16, 7, v19
	v_cndmask_b32_e32 v18, v50, v16, vcc_lo
	v_cndmask_b32_e64 v16, 0, 1, vcc_lo
	s_delay_alu instid0(VALU_DEP_1)
	v_lshrrev_b64 v[16:17], v16, v[54:55]
; %bb.5978:                             ;   in Loop: Header=BB6_4515 Depth=2
	s_and_not1_saveexec_b32 s10, s10
; %bb.5979:                             ;   in Loop: Header=BB6_4515 Depth=2
	v_mov_b64_e32 v[16:17], v[54:55]
	v_bfe_u32 v18, v54, 23, 1
; %bb.5980:                             ;   in Loop: Header=BB6_4515 Depth=2
	s_or_b32 exec_lo, exec_lo, s10
	s_delay_alu instid0(VALU_DEP_2) | instskip(NEXT) | instid1(VALU_DEP_2)
	v_lshrrev_b64 v[16:17], 20, v[16:17]
	v_cmp_gt_i32_e32 vcc_lo, 16, v18
	v_cmp_ne_u32_e64 s10, 0, v18
                                        ; implicit-def: $vgpr50
	s_delay_alu instid0(VALU_DEP_3) | instskip(NEXT) | instid1(VALU_DEP_1)
	v_dual_cndmask_b32 v17, 0, v17 :: v_dual_cndmask_b32 v16, 7, v16
	v_cmp_ne_u64_e32 vcc_lo, 0, v[16:17]
	s_or_b32 s10, s10, vcc_lo
	s_delay_alu instid0(SALU_CYCLE_1) | instskip(NEXT) | instid1(SALU_CYCLE_1)
	s_and_saveexec_b32 s41, s10
	s_xor_b32 s10, exec_lo, s41
; %bb.5981:                             ;   in Loop: Header=BB6_4515 Depth=2
	v_min_i32_e32 v17, 15, v18
	s_delay_alu instid0(VALU_DEP_1) | instskip(NEXT) | instid1(VALU_DEP_1)
	v_lshl_or_b32 v17, v17, 3, v44
                                        ; implicit-def: $vgpr44
	v_and_or_b32 v50, v16, 7, v17
; %bb.5982:                             ;   in Loop: Header=BB6_4515 Depth=2
	s_and_not1_saveexec_b32 s10, s10
; %bb.5983:                             ;   in Loop: Header=BB6_4515 Depth=2
	v_mov_b32_e32 v50, v44
; %bb.5984:                             ;   in Loop: Header=BB6_4515 Depth=2
	s_or_b32 exec_lo, exec_lo, s10
.LBB6_5985:                             ;   in Loop: Header=BB6_4515 Depth=2
	s_delay_alu instid0(SALU_CYCLE_1)
	s_or_b32 exec_lo, exec_lo, s40
                                        ; implicit-def: $vgpr44
.LBB6_5986:                             ;   in Loop: Header=BB6_4515 Depth=2
	s_and_not1_saveexec_b32 s10, s29
; %bb.5987:                             ;   in Loop: Header=BB6_4515 Depth=2
	v_or_b32_e32 v50, 0x7e, v44
; %bb.5988:                             ;   in Loop: Header=BB6_4515 Depth=2
	s_or_b32 exec_lo, exec_lo, s10
                                        ; implicit-def: $vgpr17
.LBB6_5989:                             ;   in Loop: Header=BB6_4515 Depth=2
	s_and_not1_saveexec_b32 s10, s11
; %bb.5990:                             ;   in Loop: Header=BB6_4515 Depth=2
	v_or_b32_e32 v50, 0x7f, v17
; %bb.5991:                             ;   in Loop: Header=BB6_4515 Depth=2
	s_or_b32 exec_lo, exec_lo, s10
	v_and_b32_e32 v16, 0xff, v38
	v_dual_mov_b32 v18, 0 :: v_dual_mov_b32 v19, 0
	s_mov_b32 s10, exec_lo
	s_delay_alu instid0(VALU_DEP_2)
	v_cmpx_ne_u16_e32 0, v16
	s_cbranch_execz .LBB6_5999
; %bb.5992:                             ;   in Loop: Header=BB6_4515 Depth=2
	v_bfrev_b32_e32 v19, 1
	s_mov_b32 s11, exec_lo
	v_cmpx_ne_u16_e32 0x80, v16
	s_cbranch_execz .LBB6_5998
; %bb.5993:                             ;   in Loop: Header=BB6_4515 Depth=2
	v_and_b32_e32 v17, 0x7f, v38
	v_mov_b32_e32 v19, 0x7f800001
	s_mov_b32 s29, exec_lo
	s_delay_alu instid0(VALU_DEP_2)
	v_cmpx_ne_u32_e32 0x7f, v17
	s_cbranch_execz .LBB6_5997
; %bb.5994:                             ;   in Loop: Header=BB6_4515 Depth=2
	v_dual_lshrrev_b32 v19, 3, v17 :: v_dual_bitop2_b32 v54, 7, v16 bitop3:0x40
	v_cmp_gt_u32_e32 vcc_lo, 8, v17
	s_delay_alu instid0(VALU_DEP_2)
	v_mov_b64_e32 v[16:17], v[54:55]
	s_and_saveexec_b32 s40, vcc_lo
; %bb.5995:                             ;   in Loop: Header=BB6_4515 Depth=2
	v_clz_i32_u32_e32 v16, v54
	s_delay_alu instid0(VALU_DEP_1) | instskip(NEXT) | instid1(VALU_DEP_1)
	v_min_u32_e32 v19, 32, v16
	v_subrev_nc_u32_e32 v16, 28, v19
	s_delay_alu instid0(VALU_DEP_1) | instskip(NEXT) | instid1(VALU_DEP_1)
	v_lshlrev_b64_e32 v[16:17], v16, v[54:55]
	v_dual_sub_nc_u32 v19, 29, v19 :: v_dual_bitop2_b32 v16, 7, v16 bitop3:0x40
; %bb.5996:                             ;   in Loop: Header=BB6_4515 Depth=2
	s_or_b32 exec_lo, exec_lo, s40
	s_delay_alu instid0(VALU_DEP_1) | instskip(NEXT) | instid1(VALU_DEP_2)
	v_dual_lshlrev_b32 v17, 24, v38 :: v_dual_lshlrev_b32 v16, 20, v16
	v_lshl_add_u32 v19, v19, 23, 0x3c000000
	s_delay_alu instid0(VALU_DEP_2) | instskip(NEXT) | instid1(VALU_DEP_1)
	v_and_b32_e32 v17, 0x80000000, v17
	v_or3_b32 v19, v16, v17, v19
.LBB6_5997:                             ;   in Loop: Header=BB6_4515 Depth=2
	s_or_b32 exec_lo, exec_lo, s29
.LBB6_5998:                             ;   in Loop: Header=BB6_4515 Depth=2
	s_delay_alu instid0(SALU_CYCLE_1)
	s_or_b32 exec_lo, exec_lo, s11
.LBB6_5999:                             ;   in Loop: Header=BB6_4515 Depth=2
	s_delay_alu instid0(SALU_CYCLE_1) | instskip(SKIP_3) | instid1(VALU_DEP_1)
	s_or_b32 exec_lo, exec_lo, s10
	s_wait_loadcnt_dscnt 0xf0f
	v_and_b32_e32 v16, 0xff, v43
	s_mov_b32 s10, exec_lo
	v_cmpx_ne_u16_e32 0, v16
	s_cbranch_execz .LBB6_6007
; %bb.6000:                             ;   in Loop: Header=BB6_4515 Depth=2
	v_bfrev_b32_e32 v18, 1
	s_mov_b32 s11, exec_lo
	v_cmpx_ne_u16_e32 0x80, v16
	s_cbranch_execz .LBB6_6006
; %bb.6001:                             ;   in Loop: Header=BB6_4515 Depth=2
	v_and_b32_e32 v17, 0x7f, v43
	v_mov_b32_e32 v18, 0x7f800001
	s_mov_b32 s29, exec_lo
	s_delay_alu instid0(VALU_DEP_2)
	v_cmpx_ne_u32_e32 0x7f, v17
	s_cbranch_execz .LBB6_6005
; %bb.6002:                             ;   in Loop: Header=BB6_4515 Depth=2
	v_dual_lshrrev_b32 v18, 3, v17 :: v_dual_bitop2_b32 v54, 7, v16 bitop3:0x40
	v_cmp_gt_u32_e32 vcc_lo, 8, v17
	s_delay_alu instid0(VALU_DEP_2)
	v_mov_b64_e32 v[16:17], v[54:55]
	s_and_saveexec_b32 s40, vcc_lo
; %bb.6003:                             ;   in Loop: Header=BB6_4515 Depth=2
	v_clz_i32_u32_e32 v16, v54
	s_delay_alu instid0(VALU_DEP_1) | instskip(NEXT) | instid1(VALU_DEP_1)
	v_min_u32_e32 v18, 32, v16
	v_subrev_nc_u32_e32 v16, 28, v18
	s_delay_alu instid0(VALU_DEP_1) | instskip(NEXT) | instid1(VALU_DEP_1)
	v_lshlrev_b64_e32 v[16:17], v16, v[54:55]
	v_dual_sub_nc_u32 v18, 29, v18 :: v_dual_bitop2_b32 v16, 7, v16 bitop3:0x40
; %bb.6004:                             ;   in Loop: Header=BB6_4515 Depth=2
	s_or_b32 exec_lo, exec_lo, s40
	s_delay_alu instid0(VALU_DEP_1) | instskip(NEXT) | instid1(VALU_DEP_2)
	v_dual_lshlrev_b32 v17, 24, v43 :: v_dual_lshlrev_b32 v16, 20, v16
	v_lshl_add_u32 v18, v18, 23, 0x3c000000
	s_delay_alu instid0(VALU_DEP_2) | instskip(NEXT) | instid1(VALU_DEP_1)
	v_and_b32_e32 v17, 0x80000000, v17
	v_or3_b32 v18, v16, v17, v18
.LBB6_6005:                             ;   in Loop: Header=BB6_4515 Depth=2
	s_or_b32 exec_lo, exec_lo, s29
.LBB6_6006:                             ;   in Loop: Header=BB6_4515 Depth=2
	s_delay_alu instid0(SALU_CYCLE_1)
	s_or_b32 exec_lo, exec_lo, s11
.LBB6_6007:                             ;   in Loop: Header=BB6_4515 Depth=2
	s_delay_alu instid0(SALU_CYCLE_1) | instskip(NEXT) | instid1(VALU_DEP_1)
	s_or_b32 exec_lo, exec_lo, s10
	v_add_f32_e32 v16, v19, v18
                                        ; implicit-def: $vgpr38
	s_mov_b32 s10, exec_lo
	s_delay_alu instid0(VALU_DEP_1) | instskip(SKIP_1) | instid1(VALU_DEP_2)
	v_and_b32_e32 v54, 0x7f800000, v16
	v_lshrrev_b32_e32 v17, 24, v16
	v_cmpx_ne_u64_e32 0x7f800000, v[54:55]
	s_xor_b32 s11, exec_lo, s10
	s_cbranch_execz .LBB6_6025
; %bb.6008:                             ;   in Loop: Header=BB6_4515 Depth=2
	v_and_b32_e32 v54, 0x7fffffff, v16
	v_and_b32_e32 v43, 0x80, v17
                                        ; implicit-def: $vgpr38
	s_mov_b32 s10, exec_lo
	s_delay_alu instid0(VALU_DEP_2)
	v_cmpx_gt_u64_e32 0x43e00001, v[54:55]
	s_xor_b32 s29, exec_lo, s10
	s_cbranch_execz .LBB6_6022
; %bb.6009:                             ;   in Loop: Header=BB6_4515 Depth=2
	v_mov_b32_e32 v38, 0
	s_mov_b32 s40, exec_lo
	v_cmpx_ne_u32_e32 0, v16
	s_cbranch_execz .LBB6_6021
; %bb.6010:                             ;   in Loop: Header=BB6_4515 Depth=2
	v_bfe_u32 v38, v16, 23, 8
	v_and_b32_e32 v18, 0x7fffff, v16
	s_delay_alu instid0(VALU_DEP_2) | instskip(SKIP_1) | instid1(VALU_DEP_3)
	v_sub_nc_u32_e32 v17, 0x79, v38
	v_cmp_gt_u32_e32 vcc_lo, 0x7a, v38
	v_or_b32_e32 v19, 0x800000, v18
	s_delay_alu instid0(VALU_DEP_3) | instskip(SKIP_1) | instid1(VALU_DEP_2)
	v_cndmask_b32_e32 v17, 0, v17, vcc_lo
	v_cmp_eq_u32_e32 vcc_lo, 0, v38
	v_cndmask_b32_e64 v44, v17, 0x78, vcc_lo
	s_delay_alu instid0(VALU_DEP_1) | instskip(SKIP_1) | instid1(VALU_DEP_2)
	v_dual_cndmask_b32 v54, v19, v18, vcc_lo :: v_dual_add_nc_u32 v46, 19, v44
	v_add_nc_u32_e32 v16, 20, v44
	v_lshlrev_b64_e64 v[18:19], v46, 1
	s_delay_alu instid0(VALU_DEP_2) | instskip(NEXT) | instid1(VALU_DEP_1)
	v_lshlrev_b64_e64 v[16:17], v16, -1
	v_bfi_b32 v47, v17, 0, 0
	s_delay_alu instid0(VALU_DEP_2) | instskip(SKIP_1) | instid1(VALU_DEP_2)
	v_bfi_b32 v46, v16, 0, v54
	v_lshrrev_b64 v[16:17], v44, v[54:55]
	v_cmp_eq_u64_e64 s10, v[46:47], v[18:19]
	s_delay_alu instid0(VALU_DEP_2)
	v_mov_b64_e32 v[18:19], v[16:17]
	s_and_saveexec_b32 s41, s10
; %bb.6011:                             ;   in Loop: Header=BB6_4515 Depth=2
	v_bfe_u32 v54, v16, 20, 1
	s_delay_alu instid0(VALU_DEP_1) | instskip(NEXT) | instid1(VALU_DEP_1)
	v_add_nc_u64_e32 v[18:19], v[16:17], v[54:55]
	v_add_nc_u64_e32 v[18:19], -1, v[18:19]
; %bb.6012:                             ;   in Loop: Header=BB6_4515 Depth=2
	s_or_b32 exec_lo, exec_lo, s41
	v_add_nc_u32_e32 v17, 0xffffff81, v38
	v_lshrrev_b32_e32 v19, 23, v16
	s_mov_b32 s10, exec_lo
	s_delay_alu instid0(VALU_DEP_2) | instskip(NEXT) | instid1(VALU_DEP_1)
	v_cndmask_b32_e64 v17, v17, 0xffffff82, vcc_lo
	v_add3_u32 v19, v44, v17, v19
	v_and_b32_e32 v17, 0xfffff, v18
                                        ; implicit-def: $vgpr18
	s_delay_alu instid0(VALU_DEP_1) | instskip(NEXT) | instid1(VALU_DEP_1)
	v_dual_add_nc_u32 v38, 6, v19 :: v_dual_add_nc_u32 v54, v17, v16
                                        ; implicit-def: $vgpr16_vgpr17
	v_cmpx_ne_u32_e32 0, v38
	s_xor_b32 s10, exec_lo, s10
; %bb.6013:                             ;   in Loop: Header=BB6_4515 Depth=2
	s_delay_alu instid0(VALU_DEP_2) | instskip(SKIP_1) | instid1(VALU_DEP_1)
	v_cmp_lt_u64_e32 vcc_lo, 0xffffff, v[54:55]
	v_add_nc_u32_e32 v16, 7, v19
	v_cndmask_b32_e32 v18, v38, v16, vcc_lo
	v_cndmask_b32_e64 v16, 0, 1, vcc_lo
	s_delay_alu instid0(VALU_DEP_1)
	v_lshrrev_b64 v[16:17], v16, v[54:55]
; %bb.6014:                             ;   in Loop: Header=BB6_4515 Depth=2
	s_and_not1_saveexec_b32 s10, s10
; %bb.6015:                             ;   in Loop: Header=BB6_4515 Depth=2
	v_mov_b64_e32 v[16:17], v[54:55]
	v_bfe_u32 v18, v54, 23, 1
; %bb.6016:                             ;   in Loop: Header=BB6_4515 Depth=2
	s_or_b32 exec_lo, exec_lo, s10
	s_delay_alu instid0(VALU_DEP_2) | instskip(NEXT) | instid1(VALU_DEP_2)
	v_lshrrev_b64 v[16:17], 20, v[16:17]
	v_cmp_gt_i32_e32 vcc_lo, 16, v18
	v_cmp_ne_u32_e64 s10, 0, v18
                                        ; implicit-def: $vgpr38
	s_delay_alu instid0(VALU_DEP_3) | instskip(NEXT) | instid1(VALU_DEP_1)
	v_dual_cndmask_b32 v17, 0, v17 :: v_dual_cndmask_b32 v16, 7, v16
	v_cmp_ne_u64_e32 vcc_lo, 0, v[16:17]
	s_or_b32 s10, s10, vcc_lo
	s_delay_alu instid0(SALU_CYCLE_1) | instskip(NEXT) | instid1(SALU_CYCLE_1)
	s_and_saveexec_b32 s41, s10
	s_xor_b32 s10, exec_lo, s41
; %bb.6017:                             ;   in Loop: Header=BB6_4515 Depth=2
	v_min_i32_e32 v17, 15, v18
	s_delay_alu instid0(VALU_DEP_1) | instskip(NEXT) | instid1(VALU_DEP_1)
	v_lshl_or_b32 v17, v17, 3, v43
                                        ; implicit-def: $vgpr43
	v_and_or_b32 v38, v16, 7, v17
; %bb.6018:                             ;   in Loop: Header=BB6_4515 Depth=2
	s_and_not1_saveexec_b32 s10, s10
; %bb.6019:                             ;   in Loop: Header=BB6_4515 Depth=2
	v_mov_b32_e32 v38, v43
; %bb.6020:                             ;   in Loop: Header=BB6_4515 Depth=2
	s_or_b32 exec_lo, exec_lo, s10
.LBB6_6021:                             ;   in Loop: Header=BB6_4515 Depth=2
	s_delay_alu instid0(SALU_CYCLE_1)
	s_or_b32 exec_lo, exec_lo, s40
                                        ; implicit-def: $vgpr43
.LBB6_6022:                             ;   in Loop: Header=BB6_4515 Depth=2
	s_and_not1_saveexec_b32 s10, s29
; %bb.6023:                             ;   in Loop: Header=BB6_4515 Depth=2
	v_or_b32_e32 v38, 0x7e, v43
; %bb.6024:                             ;   in Loop: Header=BB6_4515 Depth=2
	s_or_b32 exec_lo, exec_lo, s10
                                        ; implicit-def: $vgpr17
.LBB6_6025:                             ;   in Loop: Header=BB6_4515 Depth=2
	s_and_not1_saveexec_b32 s10, s11
; %bb.6026:                             ;   in Loop: Header=BB6_4515 Depth=2
	v_or_b32_e32 v38, 0x7f, v17
; %bb.6027:                             ;   in Loop: Header=BB6_4515 Depth=2
	s_or_b32 exec_lo, exec_lo, s10
	v_and_b32_e32 v16, 0xff, v37
	v_dual_mov_b32 v18, 0 :: v_dual_mov_b32 v19, 0
	s_mov_b32 s10, exec_lo
	s_delay_alu instid0(VALU_DEP_2)
	v_cmpx_ne_u16_e32 0, v16
	s_cbranch_execz .LBB6_6035
; %bb.6028:                             ;   in Loop: Header=BB6_4515 Depth=2
	v_bfrev_b32_e32 v19, 1
	s_mov_b32 s11, exec_lo
	v_cmpx_ne_u16_e32 0x80, v16
	s_cbranch_execz .LBB6_6034
; %bb.6029:                             ;   in Loop: Header=BB6_4515 Depth=2
	v_and_b32_e32 v17, 0x7f, v37
	v_mov_b32_e32 v19, 0x7f800001
	s_mov_b32 s29, exec_lo
	s_delay_alu instid0(VALU_DEP_2)
	v_cmpx_ne_u32_e32 0x7f, v17
	s_cbranch_execz .LBB6_6033
; %bb.6030:                             ;   in Loop: Header=BB6_4515 Depth=2
	v_dual_lshrrev_b32 v19, 3, v17 :: v_dual_bitop2_b32 v54, 7, v16 bitop3:0x40
	v_cmp_gt_u32_e32 vcc_lo, 8, v17
	s_delay_alu instid0(VALU_DEP_2)
	v_mov_b64_e32 v[16:17], v[54:55]
	s_and_saveexec_b32 s40, vcc_lo
; %bb.6031:                             ;   in Loop: Header=BB6_4515 Depth=2
	v_clz_i32_u32_e32 v16, v54
	s_delay_alu instid0(VALU_DEP_1) | instskip(NEXT) | instid1(VALU_DEP_1)
	v_min_u32_e32 v19, 32, v16
	v_subrev_nc_u32_e32 v16, 28, v19
	s_delay_alu instid0(VALU_DEP_1) | instskip(NEXT) | instid1(VALU_DEP_1)
	v_lshlrev_b64_e32 v[16:17], v16, v[54:55]
	v_dual_sub_nc_u32 v19, 29, v19 :: v_dual_bitop2_b32 v16, 7, v16 bitop3:0x40
; %bb.6032:                             ;   in Loop: Header=BB6_4515 Depth=2
	s_or_b32 exec_lo, exec_lo, s40
	s_delay_alu instid0(VALU_DEP_1) | instskip(NEXT) | instid1(VALU_DEP_2)
	v_dual_lshlrev_b32 v17, 24, v37 :: v_dual_lshlrev_b32 v16, 20, v16
	v_lshl_add_u32 v19, v19, 23, 0x3c000000
	s_delay_alu instid0(VALU_DEP_2) | instskip(NEXT) | instid1(VALU_DEP_1)
	v_and_b32_e32 v17, 0x80000000, v17
	v_or3_b32 v19, v16, v17, v19
.LBB6_6033:                             ;   in Loop: Header=BB6_4515 Depth=2
	s_or_b32 exec_lo, exec_lo, s29
.LBB6_6034:                             ;   in Loop: Header=BB6_4515 Depth=2
	s_delay_alu instid0(SALU_CYCLE_1)
	s_or_b32 exec_lo, exec_lo, s11
.LBB6_6035:                             ;   in Loop: Header=BB6_4515 Depth=2
	s_delay_alu instid0(SALU_CYCLE_1) | instskip(SKIP_3) | instid1(VALU_DEP_1)
	s_or_b32 exec_lo, exec_lo, s10
	s_wait_loadcnt_dscnt 0xe0e
	v_and_b32_e32 v16, 0xff, v42
	s_mov_b32 s10, exec_lo
	v_cmpx_ne_u16_e32 0, v16
	s_cbranch_execz .LBB6_6043
; %bb.6036:                             ;   in Loop: Header=BB6_4515 Depth=2
	v_bfrev_b32_e32 v18, 1
	s_mov_b32 s11, exec_lo
	v_cmpx_ne_u16_e32 0x80, v16
	s_cbranch_execz .LBB6_6042
; %bb.6037:                             ;   in Loop: Header=BB6_4515 Depth=2
	v_and_b32_e32 v17, 0x7f, v42
	v_mov_b32_e32 v18, 0x7f800001
	s_mov_b32 s29, exec_lo
	s_delay_alu instid0(VALU_DEP_2)
	v_cmpx_ne_u32_e32 0x7f, v17
	s_cbranch_execz .LBB6_6041
; %bb.6038:                             ;   in Loop: Header=BB6_4515 Depth=2
	v_dual_lshrrev_b32 v18, 3, v17 :: v_dual_bitop2_b32 v54, 7, v16 bitop3:0x40
	v_cmp_gt_u32_e32 vcc_lo, 8, v17
	s_delay_alu instid0(VALU_DEP_2)
	v_mov_b64_e32 v[16:17], v[54:55]
	s_and_saveexec_b32 s40, vcc_lo
; %bb.6039:                             ;   in Loop: Header=BB6_4515 Depth=2
	v_clz_i32_u32_e32 v16, v54
	s_delay_alu instid0(VALU_DEP_1) | instskip(NEXT) | instid1(VALU_DEP_1)
	v_min_u32_e32 v18, 32, v16
	v_subrev_nc_u32_e32 v16, 28, v18
	s_delay_alu instid0(VALU_DEP_1) | instskip(NEXT) | instid1(VALU_DEP_1)
	v_lshlrev_b64_e32 v[16:17], v16, v[54:55]
	v_dual_sub_nc_u32 v18, 29, v18 :: v_dual_bitop2_b32 v16, 7, v16 bitop3:0x40
; %bb.6040:                             ;   in Loop: Header=BB6_4515 Depth=2
	s_or_b32 exec_lo, exec_lo, s40
	s_delay_alu instid0(VALU_DEP_1) | instskip(NEXT) | instid1(VALU_DEP_2)
	v_dual_lshlrev_b32 v17, 24, v42 :: v_dual_lshlrev_b32 v16, 20, v16
	v_lshl_add_u32 v18, v18, 23, 0x3c000000
	s_delay_alu instid0(VALU_DEP_2) | instskip(NEXT) | instid1(VALU_DEP_1)
	v_and_b32_e32 v17, 0x80000000, v17
	v_or3_b32 v18, v16, v17, v18
.LBB6_6041:                             ;   in Loop: Header=BB6_4515 Depth=2
	s_or_b32 exec_lo, exec_lo, s29
.LBB6_6042:                             ;   in Loop: Header=BB6_4515 Depth=2
	s_delay_alu instid0(SALU_CYCLE_1)
	s_or_b32 exec_lo, exec_lo, s11
.LBB6_6043:                             ;   in Loop: Header=BB6_4515 Depth=2
	s_delay_alu instid0(SALU_CYCLE_1) | instskip(NEXT) | instid1(VALU_DEP_1)
	s_or_b32 exec_lo, exec_lo, s10
	v_add_f32_e32 v16, v19, v18
                                        ; implicit-def: $vgpr37
	s_mov_b32 s10, exec_lo
	s_delay_alu instid0(VALU_DEP_1) | instskip(SKIP_1) | instid1(VALU_DEP_2)
	v_and_b32_e32 v54, 0x7f800000, v16
	v_lshrrev_b32_e32 v17, 24, v16
	v_cmpx_ne_u64_e32 0x7f800000, v[54:55]
	s_xor_b32 s11, exec_lo, s10
	s_cbranch_execz .LBB6_6061
; %bb.6044:                             ;   in Loop: Header=BB6_4515 Depth=2
	v_and_b32_e32 v54, 0x7fffffff, v16
	v_and_b32_e32 v42, 0x80, v17
                                        ; implicit-def: $vgpr37
	s_mov_b32 s10, exec_lo
	s_delay_alu instid0(VALU_DEP_2)
	v_cmpx_gt_u64_e32 0x43e00001, v[54:55]
	s_xor_b32 s29, exec_lo, s10
	s_cbranch_execz .LBB6_6058
; %bb.6045:                             ;   in Loop: Header=BB6_4515 Depth=2
	v_mov_b32_e32 v37, 0
	s_mov_b32 s40, exec_lo
	v_cmpx_ne_u32_e32 0, v16
	s_cbranch_execz .LBB6_6057
; %bb.6046:                             ;   in Loop: Header=BB6_4515 Depth=2
	v_bfe_u32 v37, v16, 23, 8
	v_and_b32_e32 v18, 0x7fffff, v16
	s_delay_alu instid0(VALU_DEP_2) | instskip(NEXT) | instid1(VALU_DEP_2)
	v_cmp_gt_u32_e32 vcc_lo, 0x7a, v37
	v_or_b32_e32 v19, 0x800000, v18
	v_sub_nc_u32_e32 v17, 0x79, v37
	s_delay_alu instid0(VALU_DEP_1) | instskip(SKIP_1) | instid1(VALU_DEP_2)
	v_cndmask_b32_e32 v17, 0, v17, vcc_lo
	v_cmp_eq_u32_e32 vcc_lo, 0, v37
	v_cndmask_b32_e64 v43, v17, 0x78, vcc_lo
	s_delay_alu instid0(VALU_DEP_1) | instskip(SKIP_1) | instid1(VALU_DEP_2)
	v_dual_cndmask_b32 v54, v19, v18, vcc_lo :: v_dual_add_nc_u32 v16, 20, v43
	v_add_nc_u32_e32 v44, 19, v43
	v_lshlrev_b64_e64 v[16:17], v16, -1
	s_delay_alu instid0(VALU_DEP_2) | instskip(NEXT) | instid1(VALU_DEP_2)
	v_lshlrev_b64_e64 v[18:19], v44, 1
	v_bfi_b32 v47, v17, 0, 0
	s_delay_alu instid0(VALU_DEP_3) | instskip(SKIP_1) | instid1(VALU_DEP_2)
	v_bfi_b32 v46, v16, 0, v54
	v_lshrrev_b64 v[16:17], v43, v[54:55]
	v_cmp_eq_u64_e64 s10, v[46:47], v[18:19]
	s_delay_alu instid0(VALU_DEP_2)
	v_mov_b64_e32 v[18:19], v[16:17]
	s_and_saveexec_b32 s41, s10
; %bb.6047:                             ;   in Loop: Header=BB6_4515 Depth=2
	v_bfe_u32 v54, v16, 20, 1
	s_delay_alu instid0(VALU_DEP_1) | instskip(NEXT) | instid1(VALU_DEP_1)
	v_add_nc_u64_e32 v[18:19], v[16:17], v[54:55]
	v_add_nc_u64_e32 v[18:19], -1, v[18:19]
; %bb.6048:                             ;   in Loop: Header=BB6_4515 Depth=2
	s_or_b32 exec_lo, exec_lo, s41
	v_add_nc_u32_e32 v17, 0xffffff81, v37
	v_lshrrev_b32_e32 v19, 23, v16
	s_mov_b32 s10, exec_lo
	s_delay_alu instid0(VALU_DEP_2) | instskip(NEXT) | instid1(VALU_DEP_1)
	v_cndmask_b32_e64 v17, v17, 0xffffff82, vcc_lo
	v_add3_u32 v19, v43, v17, v19
	v_and_b32_e32 v17, 0xfffff, v18
                                        ; implicit-def: $vgpr18
	s_delay_alu instid0(VALU_DEP_1) | instskip(NEXT) | instid1(VALU_DEP_1)
	v_dual_add_nc_u32 v37, 6, v19 :: v_dual_add_nc_u32 v54, v17, v16
                                        ; implicit-def: $vgpr16_vgpr17
	v_cmpx_ne_u32_e32 0, v37
	s_xor_b32 s10, exec_lo, s10
; %bb.6049:                             ;   in Loop: Header=BB6_4515 Depth=2
	s_delay_alu instid0(VALU_DEP_2) | instskip(SKIP_1) | instid1(VALU_DEP_1)
	v_cmp_lt_u64_e32 vcc_lo, 0xffffff, v[54:55]
	v_add_nc_u32_e32 v16, 7, v19
	v_cndmask_b32_e32 v18, v37, v16, vcc_lo
	v_cndmask_b32_e64 v16, 0, 1, vcc_lo
	s_delay_alu instid0(VALU_DEP_1)
	v_lshrrev_b64 v[16:17], v16, v[54:55]
; %bb.6050:                             ;   in Loop: Header=BB6_4515 Depth=2
	s_and_not1_saveexec_b32 s10, s10
; %bb.6051:                             ;   in Loop: Header=BB6_4515 Depth=2
	v_mov_b64_e32 v[16:17], v[54:55]
	v_bfe_u32 v18, v54, 23, 1
; %bb.6052:                             ;   in Loop: Header=BB6_4515 Depth=2
	s_or_b32 exec_lo, exec_lo, s10
	s_delay_alu instid0(VALU_DEP_2) | instskip(NEXT) | instid1(VALU_DEP_2)
	v_lshrrev_b64 v[16:17], 20, v[16:17]
	v_cmp_gt_i32_e32 vcc_lo, 16, v18
	v_cmp_ne_u32_e64 s10, 0, v18
                                        ; implicit-def: $vgpr37
	s_delay_alu instid0(VALU_DEP_3) | instskip(NEXT) | instid1(VALU_DEP_1)
	v_dual_cndmask_b32 v17, 0, v17 :: v_dual_cndmask_b32 v16, 7, v16
	v_cmp_ne_u64_e32 vcc_lo, 0, v[16:17]
	s_or_b32 s10, s10, vcc_lo
	s_delay_alu instid0(SALU_CYCLE_1) | instskip(NEXT) | instid1(SALU_CYCLE_1)
	s_and_saveexec_b32 s41, s10
	s_xor_b32 s10, exec_lo, s41
; %bb.6053:                             ;   in Loop: Header=BB6_4515 Depth=2
	v_min_i32_e32 v17, 15, v18
	s_delay_alu instid0(VALU_DEP_1) | instskip(NEXT) | instid1(VALU_DEP_1)
	v_lshl_or_b32 v17, v17, 3, v42
                                        ; implicit-def: $vgpr42
	v_and_or_b32 v37, v16, 7, v17
; %bb.6054:                             ;   in Loop: Header=BB6_4515 Depth=2
	s_and_not1_saveexec_b32 s10, s10
; %bb.6055:                             ;   in Loop: Header=BB6_4515 Depth=2
	v_mov_b32_e32 v37, v42
; %bb.6056:                             ;   in Loop: Header=BB6_4515 Depth=2
	s_or_b32 exec_lo, exec_lo, s10
.LBB6_6057:                             ;   in Loop: Header=BB6_4515 Depth=2
	s_delay_alu instid0(SALU_CYCLE_1)
	s_or_b32 exec_lo, exec_lo, s40
                                        ; implicit-def: $vgpr42
.LBB6_6058:                             ;   in Loop: Header=BB6_4515 Depth=2
	s_and_not1_saveexec_b32 s10, s29
; %bb.6059:                             ;   in Loop: Header=BB6_4515 Depth=2
	v_or_b32_e32 v37, 0x7e, v42
; %bb.6060:                             ;   in Loop: Header=BB6_4515 Depth=2
	s_or_b32 exec_lo, exec_lo, s10
                                        ; implicit-def: $vgpr17
.LBB6_6061:                             ;   in Loop: Header=BB6_4515 Depth=2
	s_and_not1_saveexec_b32 s10, s11
; %bb.6062:                             ;   in Loop: Header=BB6_4515 Depth=2
	v_or_b32_e32 v37, 0x7f, v17
; %bb.6063:                             ;   in Loop: Header=BB6_4515 Depth=2
	s_or_b32 exec_lo, exec_lo, s10
	v_and_b32_e32 v16, 0xff, v35
	v_dual_mov_b32 v18, 0 :: v_dual_mov_b32 v19, 0
	s_mov_b32 s10, exec_lo
	s_delay_alu instid0(VALU_DEP_2)
	v_cmpx_ne_u16_e32 0, v16
	s_cbranch_execz .LBB6_6071
; %bb.6064:                             ;   in Loop: Header=BB6_4515 Depth=2
	v_bfrev_b32_e32 v19, 1
	s_mov_b32 s11, exec_lo
	v_cmpx_ne_u16_e32 0x80, v16
	s_cbranch_execz .LBB6_6070
; %bb.6065:                             ;   in Loop: Header=BB6_4515 Depth=2
	v_and_b32_e32 v17, 0x7f, v35
	v_mov_b32_e32 v19, 0x7f800001
	s_mov_b32 s29, exec_lo
	s_delay_alu instid0(VALU_DEP_2)
	v_cmpx_ne_u32_e32 0x7f, v17
	s_cbranch_execz .LBB6_6069
; %bb.6066:                             ;   in Loop: Header=BB6_4515 Depth=2
	v_dual_lshrrev_b32 v19, 3, v17 :: v_dual_bitop2_b32 v54, 7, v16 bitop3:0x40
	v_cmp_gt_u32_e32 vcc_lo, 8, v17
	s_delay_alu instid0(VALU_DEP_2)
	v_mov_b64_e32 v[16:17], v[54:55]
	s_and_saveexec_b32 s40, vcc_lo
; %bb.6067:                             ;   in Loop: Header=BB6_4515 Depth=2
	v_clz_i32_u32_e32 v16, v54
	s_delay_alu instid0(VALU_DEP_1) | instskip(NEXT) | instid1(VALU_DEP_1)
	v_min_u32_e32 v19, 32, v16
	v_subrev_nc_u32_e32 v16, 28, v19
	s_delay_alu instid0(VALU_DEP_1) | instskip(NEXT) | instid1(VALU_DEP_1)
	v_lshlrev_b64_e32 v[16:17], v16, v[54:55]
	v_dual_sub_nc_u32 v19, 29, v19 :: v_dual_bitop2_b32 v16, 7, v16 bitop3:0x40
; %bb.6068:                             ;   in Loop: Header=BB6_4515 Depth=2
	s_or_b32 exec_lo, exec_lo, s40
	s_delay_alu instid0(VALU_DEP_1) | instskip(NEXT) | instid1(VALU_DEP_2)
	v_dual_lshlrev_b32 v17, 24, v35 :: v_dual_lshlrev_b32 v16, 20, v16
	v_lshl_add_u32 v19, v19, 23, 0x3c000000
	s_delay_alu instid0(VALU_DEP_2) | instskip(NEXT) | instid1(VALU_DEP_1)
	v_and_b32_e32 v17, 0x80000000, v17
	v_or3_b32 v19, v16, v17, v19
.LBB6_6069:                             ;   in Loop: Header=BB6_4515 Depth=2
	s_or_b32 exec_lo, exec_lo, s29
.LBB6_6070:                             ;   in Loop: Header=BB6_4515 Depth=2
	s_delay_alu instid0(SALU_CYCLE_1)
	s_or_b32 exec_lo, exec_lo, s11
.LBB6_6071:                             ;   in Loop: Header=BB6_4515 Depth=2
	s_delay_alu instid0(SALU_CYCLE_1) | instskip(SKIP_3) | instid1(VALU_DEP_1)
	s_or_b32 exec_lo, exec_lo, s10
	s_wait_loadcnt_dscnt 0xd0d
	v_and_b32_e32 v16, 0xff, v41
	s_mov_b32 s10, exec_lo
	v_cmpx_ne_u16_e32 0, v16
	s_cbranch_execz .LBB6_6079
; %bb.6072:                             ;   in Loop: Header=BB6_4515 Depth=2
	v_bfrev_b32_e32 v18, 1
	s_mov_b32 s11, exec_lo
	v_cmpx_ne_u16_e32 0x80, v16
	s_cbranch_execz .LBB6_6078
; %bb.6073:                             ;   in Loop: Header=BB6_4515 Depth=2
	v_and_b32_e32 v17, 0x7f, v41
	v_mov_b32_e32 v18, 0x7f800001
	s_mov_b32 s29, exec_lo
	s_delay_alu instid0(VALU_DEP_2)
	v_cmpx_ne_u32_e32 0x7f, v17
	s_cbranch_execz .LBB6_6077
; %bb.6074:                             ;   in Loop: Header=BB6_4515 Depth=2
	v_dual_lshrrev_b32 v18, 3, v17 :: v_dual_bitop2_b32 v54, 7, v16 bitop3:0x40
	v_cmp_gt_u32_e32 vcc_lo, 8, v17
	s_delay_alu instid0(VALU_DEP_2)
	v_mov_b64_e32 v[16:17], v[54:55]
	s_and_saveexec_b32 s40, vcc_lo
; %bb.6075:                             ;   in Loop: Header=BB6_4515 Depth=2
	v_clz_i32_u32_e32 v16, v54
	s_delay_alu instid0(VALU_DEP_1) | instskip(NEXT) | instid1(VALU_DEP_1)
	v_min_u32_e32 v18, 32, v16
	v_subrev_nc_u32_e32 v16, 28, v18
	s_delay_alu instid0(VALU_DEP_1) | instskip(NEXT) | instid1(VALU_DEP_1)
	v_lshlrev_b64_e32 v[16:17], v16, v[54:55]
	v_dual_sub_nc_u32 v18, 29, v18 :: v_dual_bitop2_b32 v16, 7, v16 bitop3:0x40
; %bb.6076:                             ;   in Loop: Header=BB6_4515 Depth=2
	s_or_b32 exec_lo, exec_lo, s40
	s_delay_alu instid0(VALU_DEP_1) | instskip(NEXT) | instid1(VALU_DEP_2)
	v_dual_lshlrev_b32 v17, 24, v41 :: v_dual_lshlrev_b32 v16, 20, v16
	v_lshl_add_u32 v18, v18, 23, 0x3c000000
	s_delay_alu instid0(VALU_DEP_2) | instskip(NEXT) | instid1(VALU_DEP_1)
	v_and_b32_e32 v17, 0x80000000, v17
	v_or3_b32 v18, v16, v17, v18
.LBB6_6077:                             ;   in Loop: Header=BB6_4515 Depth=2
	s_or_b32 exec_lo, exec_lo, s29
.LBB6_6078:                             ;   in Loop: Header=BB6_4515 Depth=2
	s_delay_alu instid0(SALU_CYCLE_1)
	s_or_b32 exec_lo, exec_lo, s11
.LBB6_6079:                             ;   in Loop: Header=BB6_4515 Depth=2
	s_delay_alu instid0(SALU_CYCLE_1) | instskip(NEXT) | instid1(VALU_DEP_1)
	s_or_b32 exec_lo, exec_lo, s10
	v_add_f32_e32 v16, v19, v18
                                        ; implicit-def: $vgpr35
	s_mov_b32 s10, exec_lo
	s_delay_alu instid0(VALU_DEP_1) | instskip(SKIP_1) | instid1(VALU_DEP_2)
	v_and_b32_e32 v54, 0x7f800000, v16
	v_lshrrev_b32_e32 v17, 24, v16
	v_cmpx_ne_u64_e32 0x7f800000, v[54:55]
	s_xor_b32 s11, exec_lo, s10
	s_cbranch_execz .LBB6_6097
; %bb.6080:                             ;   in Loop: Header=BB6_4515 Depth=2
	v_and_b32_e32 v54, 0x7fffffff, v16
	v_and_b32_e32 v41, 0x80, v17
                                        ; implicit-def: $vgpr35
	s_mov_b32 s10, exec_lo
	s_delay_alu instid0(VALU_DEP_2)
	v_cmpx_gt_u64_e32 0x43e00001, v[54:55]
	s_xor_b32 s29, exec_lo, s10
	s_cbranch_execz .LBB6_6094
; %bb.6081:                             ;   in Loop: Header=BB6_4515 Depth=2
	v_mov_b32_e32 v35, 0
	s_mov_b32 s40, exec_lo
	v_cmpx_ne_u32_e32 0, v16
	s_cbranch_execz .LBB6_6093
; %bb.6082:                             ;   in Loop: Header=BB6_4515 Depth=2
	v_bfe_u32 v35, v16, 23, 8
	v_and_b32_e32 v18, 0x7fffff, v16
	s_delay_alu instid0(VALU_DEP_2) | instskip(NEXT) | instid1(VALU_DEP_2)
	v_cmp_gt_u32_e32 vcc_lo, 0x7a, v35
	v_or_b32_e32 v19, 0x800000, v18
	v_sub_nc_u32_e32 v17, 0x79, v35
	s_delay_alu instid0(VALU_DEP_1) | instskip(SKIP_1) | instid1(VALU_DEP_2)
	v_cndmask_b32_e32 v17, 0, v17, vcc_lo
	v_cmp_eq_u32_e32 vcc_lo, 0, v35
	v_cndmask_b32_e64 v42, v17, 0x78, vcc_lo
	v_cndmask_b32_e32 v54, v19, v18, vcc_lo
	s_delay_alu instid0(VALU_DEP_2) | instskip(NEXT) | instid1(VALU_DEP_1)
	v_dual_add_nc_u32 v16, 20, v42 :: v_dual_add_nc_u32 v43, 19, v42
	v_lshlrev_b64_e64 v[16:17], v16, -1
	s_delay_alu instid0(VALU_DEP_2) | instskip(NEXT) | instid1(VALU_DEP_2)
	v_lshlrev_b64_e64 v[18:19], v43, 1
	v_bfi_b32 v47, v17, 0, 0
	s_delay_alu instid0(VALU_DEP_3) | instskip(SKIP_1) | instid1(VALU_DEP_2)
	v_bfi_b32 v46, v16, 0, v54
	v_lshrrev_b64 v[16:17], v42, v[54:55]
	v_cmp_eq_u64_e64 s10, v[46:47], v[18:19]
	s_delay_alu instid0(VALU_DEP_2)
	v_mov_b64_e32 v[18:19], v[16:17]
	s_and_saveexec_b32 s41, s10
; %bb.6083:                             ;   in Loop: Header=BB6_4515 Depth=2
	v_bfe_u32 v54, v16, 20, 1
	s_delay_alu instid0(VALU_DEP_1) | instskip(NEXT) | instid1(VALU_DEP_1)
	v_add_nc_u64_e32 v[18:19], v[16:17], v[54:55]
	v_add_nc_u64_e32 v[18:19], -1, v[18:19]
; %bb.6084:                             ;   in Loop: Header=BB6_4515 Depth=2
	s_or_b32 exec_lo, exec_lo, s41
	v_add_nc_u32_e32 v17, 0xffffff81, v35
	v_lshrrev_b32_e32 v19, 23, v16
	s_mov_b32 s10, exec_lo
	s_delay_alu instid0(VALU_DEP_2) | instskip(NEXT) | instid1(VALU_DEP_1)
	v_cndmask_b32_e64 v17, v17, 0xffffff82, vcc_lo
	v_add3_u32 v19, v42, v17, v19
	v_and_b32_e32 v17, 0xfffff, v18
                                        ; implicit-def: $vgpr18
	s_delay_alu instid0(VALU_DEP_1) | instskip(NEXT) | instid1(VALU_DEP_1)
	v_dual_add_nc_u32 v35, 6, v19 :: v_dual_add_nc_u32 v54, v17, v16
                                        ; implicit-def: $vgpr16_vgpr17
	v_cmpx_ne_u32_e32 0, v35
	s_xor_b32 s10, exec_lo, s10
; %bb.6085:                             ;   in Loop: Header=BB6_4515 Depth=2
	s_delay_alu instid0(VALU_DEP_2) | instskip(SKIP_1) | instid1(VALU_DEP_1)
	v_cmp_lt_u64_e32 vcc_lo, 0xffffff, v[54:55]
	v_add_nc_u32_e32 v16, 7, v19
	v_cndmask_b32_e32 v18, v35, v16, vcc_lo
	v_cndmask_b32_e64 v16, 0, 1, vcc_lo
	s_delay_alu instid0(VALU_DEP_1)
	v_lshrrev_b64 v[16:17], v16, v[54:55]
; %bb.6086:                             ;   in Loop: Header=BB6_4515 Depth=2
	s_and_not1_saveexec_b32 s10, s10
; %bb.6087:                             ;   in Loop: Header=BB6_4515 Depth=2
	v_mov_b64_e32 v[16:17], v[54:55]
	v_bfe_u32 v18, v54, 23, 1
; %bb.6088:                             ;   in Loop: Header=BB6_4515 Depth=2
	s_or_b32 exec_lo, exec_lo, s10
	s_delay_alu instid0(VALU_DEP_2) | instskip(NEXT) | instid1(VALU_DEP_2)
	v_lshrrev_b64 v[16:17], 20, v[16:17]
	v_cmp_gt_i32_e32 vcc_lo, 16, v18
	v_cmp_ne_u32_e64 s10, 0, v18
                                        ; implicit-def: $vgpr35
	s_delay_alu instid0(VALU_DEP_3) | instskip(NEXT) | instid1(VALU_DEP_1)
	v_dual_cndmask_b32 v17, 0, v17 :: v_dual_cndmask_b32 v16, 7, v16
	v_cmp_ne_u64_e32 vcc_lo, 0, v[16:17]
	s_or_b32 s10, s10, vcc_lo
	s_delay_alu instid0(SALU_CYCLE_1) | instskip(NEXT) | instid1(SALU_CYCLE_1)
	s_and_saveexec_b32 s41, s10
	s_xor_b32 s10, exec_lo, s41
; %bb.6089:                             ;   in Loop: Header=BB6_4515 Depth=2
	v_min_i32_e32 v17, 15, v18
	s_delay_alu instid0(VALU_DEP_1) | instskip(NEXT) | instid1(VALU_DEP_1)
	v_lshl_or_b32 v17, v17, 3, v41
                                        ; implicit-def: $vgpr41
	v_and_or_b32 v35, v16, 7, v17
; %bb.6090:                             ;   in Loop: Header=BB6_4515 Depth=2
	s_and_not1_saveexec_b32 s10, s10
; %bb.6091:                             ;   in Loop: Header=BB6_4515 Depth=2
	v_mov_b32_e32 v35, v41
; %bb.6092:                             ;   in Loop: Header=BB6_4515 Depth=2
	s_or_b32 exec_lo, exec_lo, s10
.LBB6_6093:                             ;   in Loop: Header=BB6_4515 Depth=2
	s_delay_alu instid0(SALU_CYCLE_1)
	s_or_b32 exec_lo, exec_lo, s40
                                        ; implicit-def: $vgpr41
.LBB6_6094:                             ;   in Loop: Header=BB6_4515 Depth=2
	s_and_not1_saveexec_b32 s10, s29
; %bb.6095:                             ;   in Loop: Header=BB6_4515 Depth=2
	v_or_b32_e32 v35, 0x7e, v41
; %bb.6096:                             ;   in Loop: Header=BB6_4515 Depth=2
	s_or_b32 exec_lo, exec_lo, s10
                                        ; implicit-def: $vgpr17
.LBB6_6097:                             ;   in Loop: Header=BB6_4515 Depth=2
	s_and_not1_saveexec_b32 s10, s11
; %bb.6098:                             ;   in Loop: Header=BB6_4515 Depth=2
	v_or_b32_e32 v35, 0x7f, v17
; %bb.6099:                             ;   in Loop: Header=BB6_4515 Depth=2
	s_or_b32 exec_lo, exec_lo, s10
	v_and_b32_e32 v16, 0xff, v34
	v_dual_mov_b32 v18, 0 :: v_dual_mov_b32 v19, 0
	s_mov_b32 s10, exec_lo
	s_delay_alu instid0(VALU_DEP_2)
	v_cmpx_ne_u16_e32 0, v16
	s_cbranch_execz .LBB6_6107
; %bb.6100:                             ;   in Loop: Header=BB6_4515 Depth=2
	v_bfrev_b32_e32 v19, 1
	s_mov_b32 s11, exec_lo
	v_cmpx_ne_u16_e32 0x80, v16
	s_cbranch_execz .LBB6_6106
; %bb.6101:                             ;   in Loop: Header=BB6_4515 Depth=2
	v_and_b32_e32 v17, 0x7f, v34
	v_mov_b32_e32 v19, 0x7f800001
	s_mov_b32 s29, exec_lo
	s_delay_alu instid0(VALU_DEP_2)
	v_cmpx_ne_u32_e32 0x7f, v17
	s_cbranch_execz .LBB6_6105
; %bb.6102:                             ;   in Loop: Header=BB6_4515 Depth=2
	v_dual_lshrrev_b32 v19, 3, v17 :: v_dual_bitop2_b32 v54, 7, v16 bitop3:0x40
	v_cmp_gt_u32_e32 vcc_lo, 8, v17
	s_delay_alu instid0(VALU_DEP_2)
	v_mov_b64_e32 v[16:17], v[54:55]
	s_and_saveexec_b32 s40, vcc_lo
; %bb.6103:                             ;   in Loop: Header=BB6_4515 Depth=2
	v_clz_i32_u32_e32 v16, v54
	s_delay_alu instid0(VALU_DEP_1) | instskip(NEXT) | instid1(VALU_DEP_1)
	v_min_u32_e32 v19, 32, v16
	v_subrev_nc_u32_e32 v16, 28, v19
	s_delay_alu instid0(VALU_DEP_1) | instskip(NEXT) | instid1(VALU_DEP_1)
	v_lshlrev_b64_e32 v[16:17], v16, v[54:55]
	v_dual_sub_nc_u32 v19, 29, v19 :: v_dual_bitop2_b32 v16, 7, v16 bitop3:0x40
; %bb.6104:                             ;   in Loop: Header=BB6_4515 Depth=2
	s_or_b32 exec_lo, exec_lo, s40
	s_delay_alu instid0(VALU_DEP_1) | instskip(NEXT) | instid1(VALU_DEP_2)
	v_dual_lshlrev_b32 v17, 24, v34 :: v_dual_lshlrev_b32 v16, 20, v16
	v_lshl_add_u32 v19, v19, 23, 0x3c000000
	s_delay_alu instid0(VALU_DEP_2) | instskip(NEXT) | instid1(VALU_DEP_1)
	v_and_b32_e32 v17, 0x80000000, v17
	v_or3_b32 v19, v16, v17, v19
.LBB6_6105:                             ;   in Loop: Header=BB6_4515 Depth=2
	s_or_b32 exec_lo, exec_lo, s29
.LBB6_6106:                             ;   in Loop: Header=BB6_4515 Depth=2
	s_delay_alu instid0(SALU_CYCLE_1)
	s_or_b32 exec_lo, exec_lo, s11
.LBB6_6107:                             ;   in Loop: Header=BB6_4515 Depth=2
	s_delay_alu instid0(SALU_CYCLE_1) | instskip(SKIP_3) | instid1(VALU_DEP_1)
	s_or_b32 exec_lo, exec_lo, s10
	s_wait_loadcnt_dscnt 0xc0c
	v_and_b32_e32 v16, 0xff, v40
	s_mov_b32 s10, exec_lo
	v_cmpx_ne_u16_e32 0, v16
	s_cbranch_execz .LBB6_6115
; %bb.6108:                             ;   in Loop: Header=BB6_4515 Depth=2
	v_bfrev_b32_e32 v18, 1
	s_mov_b32 s11, exec_lo
	v_cmpx_ne_u16_e32 0x80, v16
	s_cbranch_execz .LBB6_6114
; %bb.6109:                             ;   in Loop: Header=BB6_4515 Depth=2
	v_and_b32_e32 v17, 0x7f, v40
	v_mov_b32_e32 v18, 0x7f800001
	s_mov_b32 s29, exec_lo
	s_delay_alu instid0(VALU_DEP_2)
	v_cmpx_ne_u32_e32 0x7f, v17
	s_cbranch_execz .LBB6_6113
; %bb.6110:                             ;   in Loop: Header=BB6_4515 Depth=2
	v_dual_lshrrev_b32 v18, 3, v17 :: v_dual_bitop2_b32 v54, 7, v16 bitop3:0x40
	v_cmp_gt_u32_e32 vcc_lo, 8, v17
	s_delay_alu instid0(VALU_DEP_2)
	v_mov_b64_e32 v[16:17], v[54:55]
	s_and_saveexec_b32 s40, vcc_lo
; %bb.6111:                             ;   in Loop: Header=BB6_4515 Depth=2
	v_clz_i32_u32_e32 v16, v54
	s_delay_alu instid0(VALU_DEP_1) | instskip(NEXT) | instid1(VALU_DEP_1)
	v_min_u32_e32 v18, 32, v16
	v_subrev_nc_u32_e32 v16, 28, v18
	s_delay_alu instid0(VALU_DEP_1) | instskip(NEXT) | instid1(VALU_DEP_1)
	v_lshlrev_b64_e32 v[16:17], v16, v[54:55]
	v_dual_sub_nc_u32 v18, 29, v18 :: v_dual_bitop2_b32 v16, 7, v16 bitop3:0x40
; %bb.6112:                             ;   in Loop: Header=BB6_4515 Depth=2
	s_or_b32 exec_lo, exec_lo, s40
	v_lshlrev_b32_e32 v17, 24, v40
	s_delay_alu instid0(VALU_DEP_2) | instskip(NEXT) | instid1(VALU_DEP_3)
	v_lshlrev_b32_e32 v16, 20, v16
	v_lshl_add_u32 v18, v18, 23, 0x3c000000
	s_delay_alu instid0(VALU_DEP_3) | instskip(NEXT) | instid1(VALU_DEP_1)
	v_and_b32_e32 v17, 0x80000000, v17
	v_or3_b32 v18, v16, v17, v18
.LBB6_6113:                             ;   in Loop: Header=BB6_4515 Depth=2
	s_or_b32 exec_lo, exec_lo, s29
.LBB6_6114:                             ;   in Loop: Header=BB6_4515 Depth=2
	s_delay_alu instid0(SALU_CYCLE_1)
	s_or_b32 exec_lo, exec_lo, s11
.LBB6_6115:                             ;   in Loop: Header=BB6_4515 Depth=2
	s_delay_alu instid0(SALU_CYCLE_1) | instskip(NEXT) | instid1(VALU_DEP_1)
	s_or_b32 exec_lo, exec_lo, s10
	v_add_f32_e32 v16, v19, v18
                                        ; implicit-def: $vgpr34
	s_mov_b32 s10, exec_lo
	s_delay_alu instid0(VALU_DEP_1) | instskip(SKIP_1) | instid1(VALU_DEP_2)
	v_and_b32_e32 v54, 0x7f800000, v16
	v_lshrrev_b32_e32 v17, 24, v16
	v_cmpx_ne_u64_e32 0x7f800000, v[54:55]
	s_xor_b32 s11, exec_lo, s10
	s_cbranch_execz .LBB6_6133
; %bb.6116:                             ;   in Loop: Header=BB6_4515 Depth=2
	v_and_b32_e32 v54, 0x7fffffff, v16
	v_and_b32_e32 v40, 0x80, v17
                                        ; implicit-def: $vgpr34
	s_mov_b32 s10, exec_lo
	s_delay_alu instid0(VALU_DEP_2)
	v_cmpx_gt_u64_e32 0x43e00001, v[54:55]
	s_xor_b32 s29, exec_lo, s10
	s_cbranch_execz .LBB6_6130
; %bb.6117:                             ;   in Loop: Header=BB6_4515 Depth=2
	v_mov_b32_e32 v34, 0
	s_mov_b32 s40, exec_lo
	v_cmpx_ne_u32_e32 0, v16
	s_cbranch_execz .LBB6_6129
; %bb.6118:                             ;   in Loop: Header=BB6_4515 Depth=2
	v_bfe_u32 v34, v16, 23, 8
	v_and_b32_e32 v18, 0x7fffff, v16
	s_delay_alu instid0(VALU_DEP_2) | instskip(SKIP_1) | instid1(VALU_DEP_3)
	v_sub_nc_u32_e32 v17, 0x79, v34
	v_cmp_gt_u32_e32 vcc_lo, 0x7a, v34
	v_or_b32_e32 v19, 0x800000, v18
	s_delay_alu instid0(VALU_DEP_3) | instskip(SKIP_1) | instid1(VALU_DEP_3)
	v_cndmask_b32_e32 v17, 0, v17, vcc_lo
	v_cmp_eq_u32_e32 vcc_lo, 0, v34
	v_cndmask_b32_e32 v54, v19, v18, vcc_lo
	s_delay_alu instid0(VALU_DEP_3) | instskip(NEXT) | instid1(VALU_DEP_1)
	v_cndmask_b32_e64 v41, v17, 0x78, vcc_lo
	v_dual_add_nc_u32 v16, 20, v41 :: v_dual_add_nc_u32 v42, 19, v41
	s_delay_alu instid0(VALU_DEP_1) | instskip(NEXT) | instid1(VALU_DEP_2)
	v_lshlrev_b64_e64 v[16:17], v16, -1
	v_lshlrev_b64_e64 v[18:19], v42, 1
	s_delay_alu instid0(VALU_DEP_2) | instskip(NEXT) | instid1(VALU_DEP_3)
	v_bfi_b32 v43, v17, 0, 0
	v_bfi_b32 v42, v16, 0, v54
	v_lshrrev_b64 v[16:17], v41, v[54:55]
	s_delay_alu instid0(VALU_DEP_2) | instskip(NEXT) | instid1(VALU_DEP_2)
	v_cmp_eq_u64_e64 s10, v[42:43], v[18:19]
	v_mov_b64_e32 v[18:19], v[16:17]
	s_and_saveexec_b32 s41, s10
; %bb.6119:                             ;   in Loop: Header=BB6_4515 Depth=2
	v_bfe_u32 v54, v16, 20, 1
	s_delay_alu instid0(VALU_DEP_1) | instskip(NEXT) | instid1(VALU_DEP_1)
	v_add_nc_u64_e32 v[18:19], v[16:17], v[54:55]
	v_add_nc_u64_e32 v[18:19], -1, v[18:19]
; %bb.6120:                             ;   in Loop: Header=BB6_4515 Depth=2
	s_or_b32 exec_lo, exec_lo, s41
	v_add_nc_u32_e32 v17, 0xffffff81, v34
	v_lshrrev_b32_e32 v19, 23, v16
	s_mov_b32 s10, exec_lo
	s_delay_alu instid0(VALU_DEP_2) | instskip(NEXT) | instid1(VALU_DEP_1)
	v_cndmask_b32_e64 v17, v17, 0xffffff82, vcc_lo
	v_add3_u32 v19, v41, v17, v19
	v_and_b32_e32 v17, 0xfffff, v18
                                        ; implicit-def: $vgpr18
	s_delay_alu instid0(VALU_DEP_1) | instskip(NEXT) | instid1(VALU_DEP_1)
	v_dual_add_nc_u32 v34, 6, v19 :: v_dual_add_nc_u32 v54, v17, v16
                                        ; implicit-def: $vgpr16_vgpr17
	v_cmpx_ne_u32_e32 0, v34
	s_xor_b32 s10, exec_lo, s10
; %bb.6121:                             ;   in Loop: Header=BB6_4515 Depth=2
	s_delay_alu instid0(VALU_DEP_2) | instskip(SKIP_1) | instid1(VALU_DEP_1)
	v_cmp_lt_u64_e32 vcc_lo, 0xffffff, v[54:55]
	v_add_nc_u32_e32 v16, 7, v19
	v_cndmask_b32_e32 v18, v34, v16, vcc_lo
	v_cndmask_b32_e64 v16, 0, 1, vcc_lo
	s_delay_alu instid0(VALU_DEP_1)
	v_lshrrev_b64 v[16:17], v16, v[54:55]
; %bb.6122:                             ;   in Loop: Header=BB6_4515 Depth=2
	s_and_not1_saveexec_b32 s10, s10
; %bb.6123:                             ;   in Loop: Header=BB6_4515 Depth=2
	v_mov_b64_e32 v[16:17], v[54:55]
	v_bfe_u32 v18, v54, 23, 1
; %bb.6124:                             ;   in Loop: Header=BB6_4515 Depth=2
	s_or_b32 exec_lo, exec_lo, s10
	s_delay_alu instid0(VALU_DEP_2) | instskip(NEXT) | instid1(VALU_DEP_2)
	v_lshrrev_b64 v[16:17], 20, v[16:17]
	v_cmp_gt_i32_e32 vcc_lo, 16, v18
	v_cmp_ne_u32_e64 s10, 0, v18
                                        ; implicit-def: $vgpr34
	s_delay_alu instid0(VALU_DEP_3) | instskip(NEXT) | instid1(VALU_DEP_1)
	v_dual_cndmask_b32 v17, 0, v17 :: v_dual_cndmask_b32 v16, 7, v16
	v_cmp_ne_u64_e32 vcc_lo, 0, v[16:17]
	s_or_b32 s10, s10, vcc_lo
	s_delay_alu instid0(SALU_CYCLE_1) | instskip(NEXT) | instid1(SALU_CYCLE_1)
	s_and_saveexec_b32 s41, s10
	s_xor_b32 s10, exec_lo, s41
; %bb.6125:                             ;   in Loop: Header=BB6_4515 Depth=2
	v_min_i32_e32 v17, 15, v18
	s_delay_alu instid0(VALU_DEP_1) | instskip(NEXT) | instid1(VALU_DEP_1)
	v_lshl_or_b32 v17, v17, 3, v40
                                        ; implicit-def: $vgpr40
	v_and_or_b32 v34, v16, 7, v17
; %bb.6126:                             ;   in Loop: Header=BB6_4515 Depth=2
	s_and_not1_saveexec_b32 s10, s10
; %bb.6127:                             ;   in Loop: Header=BB6_4515 Depth=2
	v_mov_b32_e32 v34, v40
; %bb.6128:                             ;   in Loop: Header=BB6_4515 Depth=2
	s_or_b32 exec_lo, exec_lo, s10
.LBB6_6129:                             ;   in Loop: Header=BB6_4515 Depth=2
	s_delay_alu instid0(SALU_CYCLE_1)
	s_or_b32 exec_lo, exec_lo, s40
                                        ; implicit-def: $vgpr40
.LBB6_6130:                             ;   in Loop: Header=BB6_4515 Depth=2
	s_and_not1_saveexec_b32 s10, s29
; %bb.6131:                             ;   in Loop: Header=BB6_4515 Depth=2
	v_or_b32_e32 v34, 0x7e, v40
; %bb.6132:                             ;   in Loop: Header=BB6_4515 Depth=2
	s_or_b32 exec_lo, exec_lo, s10
                                        ; implicit-def: $vgpr17
.LBB6_6133:                             ;   in Loop: Header=BB6_4515 Depth=2
	s_and_not1_saveexec_b32 s10, s11
; %bb.6134:                             ;   in Loop: Header=BB6_4515 Depth=2
	v_or_b32_e32 v34, 0x7f, v17
; %bb.6135:                             ;   in Loop: Header=BB6_4515 Depth=2
	s_or_b32 exec_lo, exec_lo, s10
	v_and_b32_e32 v16, 0xff, v31
	v_dual_mov_b32 v18, 0 :: v_dual_mov_b32 v19, 0
	s_mov_b32 s10, exec_lo
	s_delay_alu instid0(VALU_DEP_2)
	v_cmpx_ne_u16_e32 0, v16
	s_cbranch_execz .LBB6_6143
; %bb.6136:                             ;   in Loop: Header=BB6_4515 Depth=2
	v_bfrev_b32_e32 v19, 1
	s_mov_b32 s11, exec_lo
	v_cmpx_ne_u16_e32 0x80, v16
	s_cbranch_execz .LBB6_6142
; %bb.6137:                             ;   in Loop: Header=BB6_4515 Depth=2
	v_and_b32_e32 v17, 0x7f, v31
	v_mov_b32_e32 v19, 0x7f800001
	s_mov_b32 s29, exec_lo
	s_delay_alu instid0(VALU_DEP_2)
	v_cmpx_ne_u32_e32 0x7f, v17
	s_cbranch_execz .LBB6_6141
; %bb.6138:                             ;   in Loop: Header=BB6_4515 Depth=2
	v_dual_lshrrev_b32 v19, 3, v17 :: v_dual_bitop2_b32 v54, 7, v16 bitop3:0x40
	v_cmp_gt_u32_e32 vcc_lo, 8, v17
	s_delay_alu instid0(VALU_DEP_2)
	v_mov_b64_e32 v[16:17], v[54:55]
	s_and_saveexec_b32 s40, vcc_lo
; %bb.6139:                             ;   in Loop: Header=BB6_4515 Depth=2
	v_clz_i32_u32_e32 v16, v54
	s_delay_alu instid0(VALU_DEP_1) | instskip(NEXT) | instid1(VALU_DEP_1)
	v_min_u32_e32 v19, 32, v16
	v_subrev_nc_u32_e32 v16, 28, v19
	s_delay_alu instid0(VALU_DEP_1) | instskip(NEXT) | instid1(VALU_DEP_1)
	v_lshlrev_b64_e32 v[16:17], v16, v[54:55]
	v_dual_sub_nc_u32 v19, 29, v19 :: v_dual_bitop2_b32 v16, 7, v16 bitop3:0x40
; %bb.6140:                             ;   in Loop: Header=BB6_4515 Depth=2
	s_or_b32 exec_lo, exec_lo, s40
	s_delay_alu instid0(VALU_DEP_1) | instskip(NEXT) | instid1(VALU_DEP_2)
	v_dual_lshlrev_b32 v17, 24, v31 :: v_dual_lshlrev_b32 v16, 20, v16
	v_lshl_add_u32 v19, v19, 23, 0x3c000000
	s_delay_alu instid0(VALU_DEP_2) | instskip(NEXT) | instid1(VALU_DEP_1)
	v_and_b32_e32 v17, 0x80000000, v17
	v_or3_b32 v19, v16, v17, v19
.LBB6_6141:                             ;   in Loop: Header=BB6_4515 Depth=2
	s_or_b32 exec_lo, exec_lo, s29
.LBB6_6142:                             ;   in Loop: Header=BB6_4515 Depth=2
	s_delay_alu instid0(SALU_CYCLE_1)
	s_or_b32 exec_lo, exec_lo, s11
.LBB6_6143:                             ;   in Loop: Header=BB6_4515 Depth=2
	s_delay_alu instid0(SALU_CYCLE_1) | instskip(SKIP_3) | instid1(VALU_DEP_1)
	s_or_b32 exec_lo, exec_lo, s10
	s_wait_loadcnt_dscnt 0xb0b
	v_and_b32_e32 v16, 0xff, v119
	s_mov_b32 s10, exec_lo
	v_cmpx_ne_u16_e32 0, v16
	s_cbranch_execz .LBB6_6151
; %bb.6144:                             ;   in Loop: Header=BB6_4515 Depth=2
	v_bfrev_b32_e32 v18, 1
	s_mov_b32 s11, exec_lo
	v_cmpx_ne_u16_e32 0x80, v16
	s_cbranch_execz .LBB6_6150
; %bb.6145:                             ;   in Loop: Header=BB6_4515 Depth=2
	v_and_b32_e32 v17, 0x7f, v119
	v_mov_b32_e32 v18, 0x7f800001
	s_mov_b32 s29, exec_lo
	s_delay_alu instid0(VALU_DEP_2)
	v_cmpx_ne_u32_e32 0x7f, v17
	s_cbranch_execz .LBB6_6149
; %bb.6146:                             ;   in Loop: Header=BB6_4515 Depth=2
	v_dual_lshrrev_b32 v18, 3, v17 :: v_dual_bitop2_b32 v54, 7, v16 bitop3:0x40
	v_cmp_gt_u32_e32 vcc_lo, 8, v17
	s_delay_alu instid0(VALU_DEP_2)
	v_mov_b64_e32 v[16:17], v[54:55]
	s_and_saveexec_b32 s40, vcc_lo
; %bb.6147:                             ;   in Loop: Header=BB6_4515 Depth=2
	v_clz_i32_u32_e32 v16, v54
	s_delay_alu instid0(VALU_DEP_1) | instskip(NEXT) | instid1(VALU_DEP_1)
	v_min_u32_e32 v18, 32, v16
	v_subrev_nc_u32_e32 v16, 28, v18
	s_delay_alu instid0(VALU_DEP_1) | instskip(NEXT) | instid1(VALU_DEP_1)
	v_lshlrev_b64_e32 v[16:17], v16, v[54:55]
	v_dual_sub_nc_u32 v18, 29, v18 :: v_dual_bitop2_b32 v16, 7, v16 bitop3:0x40
; %bb.6148:                             ;   in Loop: Header=BB6_4515 Depth=2
	s_or_b32 exec_lo, exec_lo, s40
	s_delay_alu instid0(VALU_DEP_1) | instskip(NEXT) | instid1(VALU_DEP_2)
	v_dual_lshlrev_b32 v17, 24, v119 :: v_dual_lshlrev_b32 v16, 20, v16
	v_lshl_add_u32 v18, v18, 23, 0x3c000000
	s_delay_alu instid0(VALU_DEP_2) | instskip(NEXT) | instid1(VALU_DEP_1)
	v_and_b32_e32 v17, 0x80000000, v17
	v_or3_b32 v18, v16, v17, v18
.LBB6_6149:                             ;   in Loop: Header=BB6_4515 Depth=2
	s_or_b32 exec_lo, exec_lo, s29
.LBB6_6150:                             ;   in Loop: Header=BB6_4515 Depth=2
	s_delay_alu instid0(SALU_CYCLE_1)
	s_or_b32 exec_lo, exec_lo, s11
.LBB6_6151:                             ;   in Loop: Header=BB6_4515 Depth=2
	s_delay_alu instid0(SALU_CYCLE_1) | instskip(NEXT) | instid1(VALU_DEP_1)
	s_or_b32 exec_lo, exec_lo, s10
	v_add_f32_e32 v16, v19, v18
                                        ; implicit-def: $vgpr31
	s_mov_b32 s10, exec_lo
	s_delay_alu instid0(VALU_DEP_1) | instskip(SKIP_1) | instid1(VALU_DEP_2)
	v_and_b32_e32 v54, 0x7f800000, v16
	v_lshrrev_b32_e32 v17, 24, v16
	v_cmpx_ne_u64_e32 0x7f800000, v[54:55]
	s_xor_b32 s11, exec_lo, s10
	s_cbranch_execz .LBB6_6169
; %bb.6152:                             ;   in Loop: Header=BB6_4515 Depth=2
	v_and_b32_e32 v54, 0x7fffffff, v16
	v_and_b32_e32 v119, 0x80, v17
                                        ; implicit-def: $vgpr31
	s_mov_b32 s10, exec_lo
	s_delay_alu instid0(VALU_DEP_2)
	v_cmpx_gt_u64_e32 0x43e00001, v[54:55]
	s_xor_b32 s29, exec_lo, s10
	s_cbranch_execz .LBB6_6166
; %bb.6153:                             ;   in Loop: Header=BB6_4515 Depth=2
	v_mov_b32_e32 v31, 0
	s_mov_b32 s40, exec_lo
	v_cmpx_ne_u32_e32 0, v16
	s_cbranch_execz .LBB6_6165
; %bb.6154:                             ;   in Loop: Header=BB6_4515 Depth=2
	v_bfe_u32 v31, v16, 23, 8
	v_and_b32_e32 v18, 0x7fffff, v16
	s_delay_alu instid0(VALU_DEP_2) | instskip(NEXT) | instid1(VALU_DEP_2)
	v_cmp_gt_u32_e32 vcc_lo, 0x7a, v31
	v_or_b32_e32 v19, 0x800000, v18
	v_sub_nc_u32_e32 v17, 0x79, v31
	s_delay_alu instid0(VALU_DEP_1) | instskip(SKIP_1) | instid1(VALU_DEP_2)
	v_cndmask_b32_e32 v17, 0, v17, vcc_lo
	v_cmp_eq_u32_e32 vcc_lo, 0, v31
	v_cndmask_b32_e64 v40, v17, 0x78, vcc_lo
	s_delay_alu instid0(VALU_DEP_1) | instskip(SKIP_1) | instid1(VALU_DEP_2)
	v_dual_cndmask_b32 v54, v19, v18, vcc_lo :: v_dual_add_nc_u32 v16, 20, v40
	v_add_nc_u32_e32 v41, 19, v40
	v_lshlrev_b64_e64 v[16:17], v16, -1
	s_delay_alu instid0(VALU_DEP_2) | instskip(NEXT) | instid1(VALU_DEP_2)
	v_lshlrev_b64_e64 v[18:19], v41, 1
	v_bfi_b32 v43, v17, 0, 0
	s_delay_alu instid0(VALU_DEP_3) | instskip(SKIP_1) | instid1(VALU_DEP_2)
	v_bfi_b32 v42, v16, 0, v54
	v_lshrrev_b64 v[16:17], v40, v[54:55]
	v_cmp_eq_u64_e64 s10, v[42:43], v[18:19]
	s_delay_alu instid0(VALU_DEP_2)
	v_mov_b64_e32 v[18:19], v[16:17]
	s_and_saveexec_b32 s41, s10
; %bb.6155:                             ;   in Loop: Header=BB6_4515 Depth=2
	v_bfe_u32 v54, v16, 20, 1
	s_delay_alu instid0(VALU_DEP_1) | instskip(NEXT) | instid1(VALU_DEP_1)
	v_add_nc_u64_e32 v[18:19], v[16:17], v[54:55]
	v_add_nc_u64_e32 v[18:19], -1, v[18:19]
; %bb.6156:                             ;   in Loop: Header=BB6_4515 Depth=2
	s_or_b32 exec_lo, exec_lo, s41
	v_add_nc_u32_e32 v17, 0xffffff81, v31
	v_lshrrev_b32_e32 v19, 23, v16
	s_mov_b32 s10, exec_lo
	s_delay_alu instid0(VALU_DEP_2) | instskip(NEXT) | instid1(VALU_DEP_1)
	v_cndmask_b32_e64 v17, v17, 0xffffff82, vcc_lo
	v_add3_u32 v19, v40, v17, v19
	v_and_b32_e32 v17, 0xfffff, v18
                                        ; implicit-def: $vgpr18
	s_delay_alu instid0(VALU_DEP_1) | instskip(NEXT) | instid1(VALU_DEP_1)
	v_dual_add_nc_u32 v31, 6, v19 :: v_dual_add_nc_u32 v54, v17, v16
                                        ; implicit-def: $vgpr16_vgpr17
	v_cmpx_ne_u32_e32 0, v31
	s_xor_b32 s10, exec_lo, s10
; %bb.6157:                             ;   in Loop: Header=BB6_4515 Depth=2
	s_delay_alu instid0(VALU_DEP_2) | instskip(SKIP_1) | instid1(VALU_DEP_1)
	v_cmp_lt_u64_e32 vcc_lo, 0xffffff, v[54:55]
	v_add_nc_u32_e32 v16, 7, v19
	v_cndmask_b32_e32 v18, v31, v16, vcc_lo
	v_cndmask_b32_e64 v16, 0, 1, vcc_lo
	s_delay_alu instid0(VALU_DEP_1)
	v_lshrrev_b64 v[16:17], v16, v[54:55]
; %bb.6158:                             ;   in Loop: Header=BB6_4515 Depth=2
	s_and_not1_saveexec_b32 s10, s10
; %bb.6159:                             ;   in Loop: Header=BB6_4515 Depth=2
	v_mov_b64_e32 v[16:17], v[54:55]
	v_bfe_u32 v18, v54, 23, 1
; %bb.6160:                             ;   in Loop: Header=BB6_4515 Depth=2
	s_or_b32 exec_lo, exec_lo, s10
	s_delay_alu instid0(VALU_DEP_2) | instskip(NEXT) | instid1(VALU_DEP_2)
	v_lshrrev_b64 v[16:17], 20, v[16:17]
	v_cmp_gt_i32_e32 vcc_lo, 16, v18
	v_cmp_ne_u32_e64 s10, 0, v18
                                        ; implicit-def: $vgpr31
	s_delay_alu instid0(VALU_DEP_3) | instskip(NEXT) | instid1(VALU_DEP_1)
	v_dual_cndmask_b32 v17, 0, v17 :: v_dual_cndmask_b32 v16, 7, v16
	v_cmp_ne_u64_e32 vcc_lo, 0, v[16:17]
	s_or_b32 s10, s10, vcc_lo
	s_delay_alu instid0(SALU_CYCLE_1) | instskip(NEXT) | instid1(SALU_CYCLE_1)
	s_and_saveexec_b32 s41, s10
	s_xor_b32 s10, exec_lo, s41
; %bb.6161:                             ;   in Loop: Header=BB6_4515 Depth=2
	v_min_i32_e32 v17, 15, v18
	s_delay_alu instid0(VALU_DEP_1) | instskip(NEXT) | instid1(VALU_DEP_1)
	v_lshl_or_b32 v17, v17, 3, v119
                                        ; implicit-def: $vgpr119
	v_and_or_b32 v31, v16, 7, v17
; %bb.6162:                             ;   in Loop: Header=BB6_4515 Depth=2
	s_and_not1_saveexec_b32 s10, s10
; %bb.6163:                             ;   in Loop: Header=BB6_4515 Depth=2
	v_mov_b32_e32 v31, v119
; %bb.6164:                             ;   in Loop: Header=BB6_4515 Depth=2
	s_or_b32 exec_lo, exec_lo, s10
.LBB6_6165:                             ;   in Loop: Header=BB6_4515 Depth=2
	s_delay_alu instid0(SALU_CYCLE_1)
	s_or_b32 exec_lo, exec_lo, s40
                                        ; implicit-def: $vgpr119
.LBB6_6166:                             ;   in Loop: Header=BB6_4515 Depth=2
	s_and_not1_saveexec_b32 s10, s29
; %bb.6167:                             ;   in Loop: Header=BB6_4515 Depth=2
	v_or_b32_e32 v31, 0x7e, v119
; %bb.6168:                             ;   in Loop: Header=BB6_4515 Depth=2
	s_or_b32 exec_lo, exec_lo, s10
                                        ; implicit-def: $vgpr17
.LBB6_6169:                             ;   in Loop: Header=BB6_4515 Depth=2
	s_and_not1_saveexec_b32 s10, s11
; %bb.6170:                             ;   in Loop: Header=BB6_4515 Depth=2
	v_or_b32_e32 v31, 0x7f, v17
; %bb.6171:                             ;   in Loop: Header=BB6_4515 Depth=2
	s_or_b32 exec_lo, exec_lo, s10
	v_and_b32_e32 v16, 0xff, v29
	v_dual_mov_b32 v18, 0 :: v_dual_mov_b32 v19, 0
	s_mov_b32 s10, exec_lo
	s_delay_alu instid0(VALU_DEP_2)
	v_cmpx_ne_u16_e32 0, v16
	s_cbranch_execz .LBB6_6179
; %bb.6172:                             ;   in Loop: Header=BB6_4515 Depth=2
	v_bfrev_b32_e32 v19, 1
	s_mov_b32 s11, exec_lo
	v_cmpx_ne_u16_e32 0x80, v16
	s_cbranch_execz .LBB6_6178
; %bb.6173:                             ;   in Loop: Header=BB6_4515 Depth=2
	v_and_b32_e32 v17, 0x7f, v29
	v_mov_b32_e32 v19, 0x7f800001
	s_mov_b32 s29, exec_lo
	s_delay_alu instid0(VALU_DEP_2)
	v_cmpx_ne_u32_e32 0x7f, v17
	s_cbranch_execz .LBB6_6177
; %bb.6174:                             ;   in Loop: Header=BB6_4515 Depth=2
	v_dual_lshrrev_b32 v19, 3, v17 :: v_dual_bitop2_b32 v54, 7, v16 bitop3:0x40
	v_cmp_gt_u32_e32 vcc_lo, 8, v17
	s_delay_alu instid0(VALU_DEP_2)
	v_mov_b64_e32 v[16:17], v[54:55]
	s_and_saveexec_b32 s40, vcc_lo
; %bb.6175:                             ;   in Loop: Header=BB6_4515 Depth=2
	v_clz_i32_u32_e32 v16, v54
	s_delay_alu instid0(VALU_DEP_1) | instskip(NEXT) | instid1(VALU_DEP_1)
	v_min_u32_e32 v19, 32, v16
	v_subrev_nc_u32_e32 v16, 28, v19
	s_delay_alu instid0(VALU_DEP_1) | instskip(NEXT) | instid1(VALU_DEP_1)
	v_lshlrev_b64_e32 v[16:17], v16, v[54:55]
	v_dual_sub_nc_u32 v19, 29, v19 :: v_dual_bitop2_b32 v16, 7, v16 bitop3:0x40
; %bb.6176:                             ;   in Loop: Header=BB6_4515 Depth=2
	s_or_b32 exec_lo, exec_lo, s40
	s_delay_alu instid0(VALU_DEP_1) | instskip(NEXT) | instid1(VALU_DEP_2)
	v_dual_lshlrev_b32 v17, 24, v29 :: v_dual_lshlrev_b32 v16, 20, v16
	v_lshl_add_u32 v19, v19, 23, 0x3c000000
	s_delay_alu instid0(VALU_DEP_2) | instskip(NEXT) | instid1(VALU_DEP_1)
	v_and_b32_e32 v17, 0x80000000, v17
	v_or3_b32 v19, v16, v17, v19
.LBB6_6177:                             ;   in Loop: Header=BB6_4515 Depth=2
	s_or_b32 exec_lo, exec_lo, s29
.LBB6_6178:                             ;   in Loop: Header=BB6_4515 Depth=2
	s_delay_alu instid0(SALU_CYCLE_1)
	s_or_b32 exec_lo, exec_lo, s11
.LBB6_6179:                             ;   in Loop: Header=BB6_4515 Depth=2
	s_delay_alu instid0(SALU_CYCLE_1) | instskip(SKIP_3) | instid1(VALU_DEP_1)
	s_or_b32 exec_lo, exec_lo, s10
	s_wait_loadcnt_dscnt 0xa0a
	v_and_b32_e32 v16, 0xff, v118
	s_mov_b32 s10, exec_lo
	v_cmpx_ne_u16_e32 0, v16
	s_cbranch_execz .LBB6_6187
; %bb.6180:                             ;   in Loop: Header=BB6_4515 Depth=2
	v_bfrev_b32_e32 v18, 1
	s_mov_b32 s11, exec_lo
	v_cmpx_ne_u16_e32 0x80, v16
	s_cbranch_execz .LBB6_6186
; %bb.6181:                             ;   in Loop: Header=BB6_4515 Depth=2
	v_and_b32_e32 v17, 0x7f, v118
	v_mov_b32_e32 v18, 0x7f800001
	s_mov_b32 s29, exec_lo
	s_delay_alu instid0(VALU_DEP_2)
	v_cmpx_ne_u32_e32 0x7f, v17
	s_cbranch_execz .LBB6_6185
; %bb.6182:                             ;   in Loop: Header=BB6_4515 Depth=2
	v_dual_lshrrev_b32 v18, 3, v17 :: v_dual_bitop2_b32 v54, 7, v16 bitop3:0x40
	v_cmp_gt_u32_e32 vcc_lo, 8, v17
	s_delay_alu instid0(VALU_DEP_2)
	v_mov_b64_e32 v[16:17], v[54:55]
	s_and_saveexec_b32 s40, vcc_lo
; %bb.6183:                             ;   in Loop: Header=BB6_4515 Depth=2
	v_clz_i32_u32_e32 v16, v54
	s_delay_alu instid0(VALU_DEP_1) | instskip(NEXT) | instid1(VALU_DEP_1)
	v_min_u32_e32 v18, 32, v16
	v_subrev_nc_u32_e32 v16, 28, v18
	s_delay_alu instid0(VALU_DEP_1) | instskip(NEXT) | instid1(VALU_DEP_1)
	v_lshlrev_b64_e32 v[16:17], v16, v[54:55]
	v_dual_sub_nc_u32 v18, 29, v18 :: v_dual_bitop2_b32 v16, 7, v16 bitop3:0x40
; %bb.6184:                             ;   in Loop: Header=BB6_4515 Depth=2
	s_or_b32 exec_lo, exec_lo, s40
	s_delay_alu instid0(VALU_DEP_1) | instskip(NEXT) | instid1(VALU_DEP_2)
	v_dual_lshlrev_b32 v17, 24, v118 :: v_dual_lshlrev_b32 v16, 20, v16
	v_lshl_add_u32 v18, v18, 23, 0x3c000000
	s_delay_alu instid0(VALU_DEP_2) | instskip(NEXT) | instid1(VALU_DEP_1)
	v_and_b32_e32 v17, 0x80000000, v17
	v_or3_b32 v18, v16, v17, v18
.LBB6_6185:                             ;   in Loop: Header=BB6_4515 Depth=2
	s_or_b32 exec_lo, exec_lo, s29
.LBB6_6186:                             ;   in Loop: Header=BB6_4515 Depth=2
	s_delay_alu instid0(SALU_CYCLE_1)
	s_or_b32 exec_lo, exec_lo, s11
.LBB6_6187:                             ;   in Loop: Header=BB6_4515 Depth=2
	s_delay_alu instid0(SALU_CYCLE_1) | instskip(NEXT) | instid1(VALU_DEP_1)
	s_or_b32 exec_lo, exec_lo, s10
	v_add_f32_e32 v16, v19, v18
                                        ; implicit-def: $vgpr29
	s_mov_b32 s10, exec_lo
	s_delay_alu instid0(VALU_DEP_1) | instskip(SKIP_1) | instid1(VALU_DEP_2)
	v_and_b32_e32 v54, 0x7f800000, v16
	v_lshrrev_b32_e32 v17, 24, v16
	v_cmpx_ne_u64_e32 0x7f800000, v[54:55]
	s_xor_b32 s11, exec_lo, s10
	s_cbranch_execz .LBB6_6205
; %bb.6188:                             ;   in Loop: Header=BB6_4515 Depth=2
	v_and_b32_e32 v54, 0x7fffffff, v16
	v_and_b32_e32 v118, 0x80, v17
                                        ; implicit-def: $vgpr29
	s_mov_b32 s10, exec_lo
	s_delay_alu instid0(VALU_DEP_2)
	v_cmpx_gt_u64_e32 0x43e00001, v[54:55]
	s_xor_b32 s29, exec_lo, s10
	s_cbranch_execz .LBB6_6202
; %bb.6189:                             ;   in Loop: Header=BB6_4515 Depth=2
	v_mov_b32_e32 v29, 0
	s_mov_b32 s40, exec_lo
	v_cmpx_ne_u32_e32 0, v16
	s_cbranch_execz .LBB6_6201
; %bb.6190:                             ;   in Loop: Header=BB6_4515 Depth=2
	v_bfe_u32 v29, v16, 23, 8
	v_and_b32_e32 v18, 0x7fffff, v16
	s_delay_alu instid0(VALU_DEP_2) | instskip(NEXT) | instid1(VALU_DEP_2)
	v_cmp_gt_u32_e32 vcc_lo, 0x7a, v29
	v_or_b32_e32 v19, 0x800000, v18
	v_sub_nc_u32_e32 v17, 0x79, v29
	s_delay_alu instid0(VALU_DEP_1) | instskip(SKIP_1) | instid1(VALU_DEP_2)
	v_cndmask_b32_e32 v17, 0, v17, vcc_lo
	v_cmp_eq_u32_e32 vcc_lo, 0, v29
	v_cndmask_b32_e64 v119, v17, 0x78, vcc_lo
	s_delay_alu instid0(VALU_DEP_1) | instskip(SKIP_1) | instid1(VALU_DEP_2)
	v_dual_cndmask_b32 v54, v19, v18, vcc_lo :: v_dual_add_nc_u32 v16, 20, v119
	v_add_nc_u32_e32 v40, 19, v119
	v_lshlrev_b64_e64 v[16:17], v16, -1
	s_delay_alu instid0(VALU_DEP_2) | instskip(NEXT) | instid1(VALU_DEP_2)
	v_lshlrev_b64_e64 v[18:19], v40, 1
	v_bfi_b32 v41, v17, 0, 0
	s_delay_alu instid0(VALU_DEP_3) | instskip(SKIP_1) | instid1(VALU_DEP_2)
	v_bfi_b32 v40, v16, 0, v54
	v_lshrrev_b64 v[16:17], v119, v[54:55]
	v_cmp_eq_u64_e64 s10, v[40:41], v[18:19]
	s_delay_alu instid0(VALU_DEP_2)
	v_mov_b64_e32 v[18:19], v[16:17]
	s_and_saveexec_b32 s41, s10
; %bb.6191:                             ;   in Loop: Header=BB6_4515 Depth=2
	v_bfe_u32 v54, v16, 20, 1
	s_delay_alu instid0(VALU_DEP_1) | instskip(NEXT) | instid1(VALU_DEP_1)
	v_add_nc_u64_e32 v[18:19], v[16:17], v[54:55]
	v_add_nc_u64_e32 v[18:19], -1, v[18:19]
; %bb.6192:                             ;   in Loop: Header=BB6_4515 Depth=2
	s_or_b32 exec_lo, exec_lo, s41
	v_add_nc_u32_e32 v17, 0xffffff81, v29
	v_lshrrev_b32_e32 v19, 23, v16
	s_mov_b32 s10, exec_lo
	s_delay_alu instid0(VALU_DEP_2) | instskip(NEXT) | instid1(VALU_DEP_1)
	v_cndmask_b32_e64 v17, v17, 0xffffff82, vcc_lo
	v_add3_u32 v19, v119, v17, v19
	v_and_b32_e32 v17, 0xfffff, v18
                                        ; implicit-def: $vgpr18
	s_delay_alu instid0(VALU_DEP_1) | instskip(NEXT) | instid1(VALU_DEP_1)
	v_dual_add_nc_u32 v29, 6, v19 :: v_dual_add_nc_u32 v54, v17, v16
                                        ; implicit-def: $vgpr16_vgpr17
	v_cmpx_ne_u32_e32 0, v29
	s_xor_b32 s10, exec_lo, s10
; %bb.6193:                             ;   in Loop: Header=BB6_4515 Depth=2
	s_delay_alu instid0(VALU_DEP_2) | instskip(SKIP_1) | instid1(VALU_DEP_1)
	v_cmp_lt_u64_e32 vcc_lo, 0xffffff, v[54:55]
	v_add_nc_u32_e32 v16, 7, v19
	v_cndmask_b32_e32 v18, v29, v16, vcc_lo
	v_cndmask_b32_e64 v16, 0, 1, vcc_lo
	s_delay_alu instid0(VALU_DEP_1)
	v_lshrrev_b64 v[16:17], v16, v[54:55]
; %bb.6194:                             ;   in Loop: Header=BB6_4515 Depth=2
	s_and_not1_saveexec_b32 s10, s10
; %bb.6195:                             ;   in Loop: Header=BB6_4515 Depth=2
	v_mov_b64_e32 v[16:17], v[54:55]
	v_bfe_u32 v18, v54, 23, 1
; %bb.6196:                             ;   in Loop: Header=BB6_4515 Depth=2
	s_or_b32 exec_lo, exec_lo, s10
	s_delay_alu instid0(VALU_DEP_2) | instskip(NEXT) | instid1(VALU_DEP_2)
	v_lshrrev_b64 v[16:17], 20, v[16:17]
	v_cmp_gt_i32_e32 vcc_lo, 16, v18
	v_cmp_ne_u32_e64 s10, 0, v18
                                        ; implicit-def: $vgpr29
	s_delay_alu instid0(VALU_DEP_3) | instskip(NEXT) | instid1(VALU_DEP_1)
	v_dual_cndmask_b32 v17, 0, v17 :: v_dual_cndmask_b32 v16, 7, v16
	v_cmp_ne_u64_e32 vcc_lo, 0, v[16:17]
	s_or_b32 s10, s10, vcc_lo
	s_delay_alu instid0(SALU_CYCLE_1) | instskip(NEXT) | instid1(SALU_CYCLE_1)
	s_and_saveexec_b32 s41, s10
	s_xor_b32 s10, exec_lo, s41
; %bb.6197:                             ;   in Loop: Header=BB6_4515 Depth=2
	v_min_i32_e32 v17, 15, v18
	s_delay_alu instid0(VALU_DEP_1) | instskip(NEXT) | instid1(VALU_DEP_1)
	v_lshl_or_b32 v17, v17, 3, v118
                                        ; implicit-def: $vgpr118
	v_and_or_b32 v29, v16, 7, v17
; %bb.6198:                             ;   in Loop: Header=BB6_4515 Depth=2
	s_and_not1_saveexec_b32 s10, s10
; %bb.6199:                             ;   in Loop: Header=BB6_4515 Depth=2
	v_mov_b32_e32 v29, v118
; %bb.6200:                             ;   in Loop: Header=BB6_4515 Depth=2
	s_or_b32 exec_lo, exec_lo, s10
.LBB6_6201:                             ;   in Loop: Header=BB6_4515 Depth=2
	s_delay_alu instid0(SALU_CYCLE_1)
	s_or_b32 exec_lo, exec_lo, s40
                                        ; implicit-def: $vgpr118
.LBB6_6202:                             ;   in Loop: Header=BB6_4515 Depth=2
	s_and_not1_saveexec_b32 s10, s29
; %bb.6203:                             ;   in Loop: Header=BB6_4515 Depth=2
	v_or_b32_e32 v29, 0x7e, v118
; %bb.6204:                             ;   in Loop: Header=BB6_4515 Depth=2
	s_or_b32 exec_lo, exec_lo, s10
                                        ; implicit-def: $vgpr17
.LBB6_6205:                             ;   in Loop: Header=BB6_4515 Depth=2
	s_and_not1_saveexec_b32 s10, s11
; %bb.6206:                             ;   in Loop: Header=BB6_4515 Depth=2
	v_or_b32_e32 v29, 0x7f, v17
; %bb.6207:                             ;   in Loop: Header=BB6_4515 Depth=2
	s_or_b32 exec_lo, exec_lo, s10
	v_and_b32_e32 v16, 0xff, v28
	v_dual_mov_b32 v18, 0 :: v_dual_mov_b32 v19, 0
	s_mov_b32 s10, exec_lo
	s_delay_alu instid0(VALU_DEP_2)
	v_cmpx_ne_u16_e32 0, v16
	s_cbranch_execz .LBB6_6215
; %bb.6208:                             ;   in Loop: Header=BB6_4515 Depth=2
	v_bfrev_b32_e32 v19, 1
	s_mov_b32 s11, exec_lo
	v_cmpx_ne_u16_e32 0x80, v16
	s_cbranch_execz .LBB6_6214
; %bb.6209:                             ;   in Loop: Header=BB6_4515 Depth=2
	v_and_b32_e32 v17, 0x7f, v28
	v_mov_b32_e32 v19, 0x7f800001
	s_mov_b32 s29, exec_lo
	s_delay_alu instid0(VALU_DEP_2)
	v_cmpx_ne_u32_e32 0x7f, v17
	s_cbranch_execz .LBB6_6213
; %bb.6210:                             ;   in Loop: Header=BB6_4515 Depth=2
	v_dual_lshrrev_b32 v19, 3, v17 :: v_dual_bitop2_b32 v54, 7, v16 bitop3:0x40
	v_cmp_gt_u32_e32 vcc_lo, 8, v17
	s_delay_alu instid0(VALU_DEP_2)
	v_mov_b64_e32 v[16:17], v[54:55]
	s_and_saveexec_b32 s40, vcc_lo
; %bb.6211:                             ;   in Loop: Header=BB6_4515 Depth=2
	v_clz_i32_u32_e32 v16, v54
	s_delay_alu instid0(VALU_DEP_1) | instskip(NEXT) | instid1(VALU_DEP_1)
	v_min_u32_e32 v19, 32, v16
	v_subrev_nc_u32_e32 v16, 28, v19
	s_delay_alu instid0(VALU_DEP_1) | instskip(NEXT) | instid1(VALU_DEP_1)
	v_lshlrev_b64_e32 v[16:17], v16, v[54:55]
	v_dual_sub_nc_u32 v19, 29, v19 :: v_dual_bitop2_b32 v16, 7, v16 bitop3:0x40
; %bb.6212:                             ;   in Loop: Header=BB6_4515 Depth=2
	s_or_b32 exec_lo, exec_lo, s40
	v_lshlrev_b32_e32 v17, 24, v28
	s_delay_alu instid0(VALU_DEP_2) | instskip(NEXT) | instid1(VALU_DEP_3)
	v_lshlrev_b32_e32 v16, 20, v16
	v_lshl_add_u32 v19, v19, 23, 0x3c000000
	s_delay_alu instid0(VALU_DEP_3) | instskip(NEXT) | instid1(VALU_DEP_1)
	v_and_b32_e32 v17, 0x80000000, v17
	v_or3_b32 v19, v16, v17, v19
.LBB6_6213:                             ;   in Loop: Header=BB6_4515 Depth=2
	s_or_b32 exec_lo, exec_lo, s29
.LBB6_6214:                             ;   in Loop: Header=BB6_4515 Depth=2
	s_delay_alu instid0(SALU_CYCLE_1)
	s_or_b32 exec_lo, exec_lo, s11
.LBB6_6215:                             ;   in Loop: Header=BB6_4515 Depth=2
	s_delay_alu instid0(SALU_CYCLE_1) | instskip(SKIP_3) | instid1(VALU_DEP_1)
	s_or_b32 exec_lo, exec_lo, s10
	s_wait_loadcnt_dscnt 0x909
	v_and_b32_e32 v16, 0xff, v117
	s_mov_b32 s10, exec_lo
	v_cmpx_ne_u16_e32 0, v16
	s_cbranch_execz .LBB6_6223
; %bb.6216:                             ;   in Loop: Header=BB6_4515 Depth=2
	v_bfrev_b32_e32 v18, 1
	s_mov_b32 s11, exec_lo
	v_cmpx_ne_u16_e32 0x80, v16
	s_cbranch_execz .LBB6_6222
; %bb.6217:                             ;   in Loop: Header=BB6_4515 Depth=2
	v_and_b32_e32 v17, 0x7f, v117
	v_mov_b32_e32 v18, 0x7f800001
	s_mov_b32 s29, exec_lo
	s_delay_alu instid0(VALU_DEP_2)
	v_cmpx_ne_u32_e32 0x7f, v17
	s_cbranch_execz .LBB6_6221
; %bb.6218:                             ;   in Loop: Header=BB6_4515 Depth=2
	v_dual_lshrrev_b32 v18, 3, v17 :: v_dual_bitop2_b32 v54, 7, v16 bitop3:0x40
	v_cmp_gt_u32_e32 vcc_lo, 8, v17
	s_delay_alu instid0(VALU_DEP_2)
	v_mov_b64_e32 v[16:17], v[54:55]
	s_and_saveexec_b32 s40, vcc_lo
; %bb.6219:                             ;   in Loop: Header=BB6_4515 Depth=2
	v_clz_i32_u32_e32 v16, v54
	s_delay_alu instid0(VALU_DEP_1) | instskip(NEXT) | instid1(VALU_DEP_1)
	v_min_u32_e32 v18, 32, v16
	v_subrev_nc_u32_e32 v16, 28, v18
	s_delay_alu instid0(VALU_DEP_1) | instskip(NEXT) | instid1(VALU_DEP_1)
	v_lshlrev_b64_e32 v[16:17], v16, v[54:55]
	v_dual_sub_nc_u32 v18, 29, v18 :: v_dual_bitop2_b32 v16, 7, v16 bitop3:0x40
; %bb.6220:                             ;   in Loop: Header=BB6_4515 Depth=2
	s_or_b32 exec_lo, exec_lo, s40
	s_delay_alu instid0(VALU_DEP_1) | instskip(NEXT) | instid1(VALU_DEP_2)
	v_dual_lshlrev_b32 v17, 24, v117 :: v_dual_lshlrev_b32 v16, 20, v16
	v_lshl_add_u32 v18, v18, 23, 0x3c000000
	s_delay_alu instid0(VALU_DEP_2) | instskip(NEXT) | instid1(VALU_DEP_1)
	v_and_b32_e32 v17, 0x80000000, v17
	v_or3_b32 v18, v16, v17, v18
.LBB6_6221:                             ;   in Loop: Header=BB6_4515 Depth=2
	s_or_b32 exec_lo, exec_lo, s29
.LBB6_6222:                             ;   in Loop: Header=BB6_4515 Depth=2
	s_delay_alu instid0(SALU_CYCLE_1)
	s_or_b32 exec_lo, exec_lo, s11
.LBB6_6223:                             ;   in Loop: Header=BB6_4515 Depth=2
	s_delay_alu instid0(SALU_CYCLE_1) | instskip(NEXT) | instid1(VALU_DEP_1)
	s_or_b32 exec_lo, exec_lo, s10
	v_add_f32_e32 v16, v19, v18
                                        ; implicit-def: $vgpr28
	s_mov_b32 s10, exec_lo
	s_delay_alu instid0(VALU_DEP_1) | instskip(SKIP_1) | instid1(VALU_DEP_2)
	v_and_b32_e32 v54, 0x7f800000, v16
	v_lshrrev_b32_e32 v17, 24, v16
	v_cmpx_ne_u64_e32 0x7f800000, v[54:55]
	s_xor_b32 s11, exec_lo, s10
	s_cbranch_execz .LBB6_6241
; %bb.6224:                             ;   in Loop: Header=BB6_4515 Depth=2
	v_and_b32_e32 v54, 0x7fffffff, v16
	v_and_b32_e32 v117, 0x80, v17
                                        ; implicit-def: $vgpr28
	s_mov_b32 s10, exec_lo
	s_delay_alu instid0(VALU_DEP_2)
	v_cmpx_gt_u64_e32 0x43e00001, v[54:55]
	s_xor_b32 s29, exec_lo, s10
	s_cbranch_execz .LBB6_6238
; %bb.6225:                             ;   in Loop: Header=BB6_4515 Depth=2
	v_mov_b32_e32 v28, 0
	s_mov_b32 s40, exec_lo
	v_cmpx_ne_u32_e32 0, v16
	s_cbranch_execz .LBB6_6237
; %bb.6226:                             ;   in Loop: Header=BB6_4515 Depth=2
	v_bfe_u32 v28, v16, 23, 8
	v_and_b32_e32 v18, 0x7fffff, v16
	s_delay_alu instid0(VALU_DEP_2) | instskip(NEXT) | instid1(VALU_DEP_2)
	v_cmp_gt_u32_e32 vcc_lo, 0x7a, v28
	v_or_b32_e32 v19, 0x800000, v18
	v_sub_nc_u32_e32 v17, 0x79, v28
	s_delay_alu instid0(VALU_DEP_1) | instskip(SKIP_1) | instid1(VALU_DEP_2)
	v_cndmask_b32_e32 v17, 0, v17, vcc_lo
	v_cmp_eq_u32_e32 vcc_lo, 0, v28
	v_cndmask_b32_e64 v118, v17, 0x78, vcc_lo
	v_cndmask_b32_e32 v54, v19, v18, vcc_lo
	s_delay_alu instid0(VALU_DEP_2) | instskip(NEXT) | instid1(VALU_DEP_1)
	v_dual_add_nc_u32 v16, 20, v118 :: v_dual_add_nc_u32 v119, 19, v118
	v_lshlrev_b64_e64 v[16:17], v16, -1
	s_delay_alu instid0(VALU_DEP_2) | instskip(NEXT) | instid1(VALU_DEP_2)
	v_lshlrev_b64_e64 v[18:19], v119, 1
	v_bfi_b32 v41, v17, 0, 0
	s_delay_alu instid0(VALU_DEP_3) | instskip(SKIP_1) | instid1(VALU_DEP_2)
	v_bfi_b32 v40, v16, 0, v54
	v_lshrrev_b64 v[16:17], v118, v[54:55]
	v_cmp_eq_u64_e64 s10, v[40:41], v[18:19]
	s_delay_alu instid0(VALU_DEP_2)
	v_mov_b64_e32 v[18:19], v[16:17]
	s_and_saveexec_b32 s41, s10
; %bb.6227:                             ;   in Loop: Header=BB6_4515 Depth=2
	v_bfe_u32 v54, v16, 20, 1
	s_delay_alu instid0(VALU_DEP_1) | instskip(NEXT) | instid1(VALU_DEP_1)
	v_add_nc_u64_e32 v[18:19], v[16:17], v[54:55]
	v_add_nc_u64_e32 v[18:19], -1, v[18:19]
; %bb.6228:                             ;   in Loop: Header=BB6_4515 Depth=2
	s_or_b32 exec_lo, exec_lo, s41
	v_add_nc_u32_e32 v17, 0xffffff81, v28
	v_lshrrev_b32_e32 v19, 23, v16
	s_mov_b32 s10, exec_lo
	s_delay_alu instid0(VALU_DEP_2) | instskip(NEXT) | instid1(VALU_DEP_1)
	v_cndmask_b32_e64 v17, v17, 0xffffff82, vcc_lo
	v_add3_u32 v19, v118, v17, v19
	v_and_b32_e32 v17, 0xfffff, v18
                                        ; implicit-def: $vgpr18
	s_delay_alu instid0(VALU_DEP_1) | instskip(NEXT) | instid1(VALU_DEP_1)
	v_dual_add_nc_u32 v28, 6, v19 :: v_dual_add_nc_u32 v54, v17, v16
                                        ; implicit-def: $vgpr16_vgpr17
	v_cmpx_ne_u32_e32 0, v28
	s_xor_b32 s10, exec_lo, s10
; %bb.6229:                             ;   in Loop: Header=BB6_4515 Depth=2
	s_delay_alu instid0(VALU_DEP_2) | instskip(SKIP_1) | instid1(VALU_DEP_1)
	v_cmp_lt_u64_e32 vcc_lo, 0xffffff, v[54:55]
	v_add_nc_u32_e32 v16, 7, v19
	v_cndmask_b32_e32 v18, v28, v16, vcc_lo
	v_cndmask_b32_e64 v16, 0, 1, vcc_lo
	s_delay_alu instid0(VALU_DEP_1)
	v_lshrrev_b64 v[16:17], v16, v[54:55]
; %bb.6230:                             ;   in Loop: Header=BB6_4515 Depth=2
	s_and_not1_saveexec_b32 s10, s10
; %bb.6231:                             ;   in Loop: Header=BB6_4515 Depth=2
	v_mov_b64_e32 v[16:17], v[54:55]
	v_bfe_u32 v18, v54, 23, 1
; %bb.6232:                             ;   in Loop: Header=BB6_4515 Depth=2
	s_or_b32 exec_lo, exec_lo, s10
	s_delay_alu instid0(VALU_DEP_2) | instskip(NEXT) | instid1(VALU_DEP_2)
	v_lshrrev_b64 v[16:17], 20, v[16:17]
	v_cmp_gt_i32_e32 vcc_lo, 16, v18
	v_cmp_ne_u32_e64 s10, 0, v18
                                        ; implicit-def: $vgpr28
	s_delay_alu instid0(VALU_DEP_3) | instskip(NEXT) | instid1(VALU_DEP_1)
	v_dual_cndmask_b32 v17, 0, v17 :: v_dual_cndmask_b32 v16, 7, v16
	v_cmp_ne_u64_e32 vcc_lo, 0, v[16:17]
	s_or_b32 s10, s10, vcc_lo
	s_delay_alu instid0(SALU_CYCLE_1) | instskip(NEXT) | instid1(SALU_CYCLE_1)
	s_and_saveexec_b32 s41, s10
	s_xor_b32 s10, exec_lo, s41
; %bb.6233:                             ;   in Loop: Header=BB6_4515 Depth=2
	v_min_i32_e32 v17, 15, v18
	s_delay_alu instid0(VALU_DEP_1) | instskip(NEXT) | instid1(VALU_DEP_1)
	v_lshl_or_b32 v17, v17, 3, v117
                                        ; implicit-def: $vgpr117
	v_and_or_b32 v28, v16, 7, v17
; %bb.6234:                             ;   in Loop: Header=BB6_4515 Depth=2
	s_and_not1_saveexec_b32 s10, s10
; %bb.6235:                             ;   in Loop: Header=BB6_4515 Depth=2
	v_mov_b32_e32 v28, v117
; %bb.6236:                             ;   in Loop: Header=BB6_4515 Depth=2
	s_or_b32 exec_lo, exec_lo, s10
.LBB6_6237:                             ;   in Loop: Header=BB6_4515 Depth=2
	s_delay_alu instid0(SALU_CYCLE_1)
	s_or_b32 exec_lo, exec_lo, s40
                                        ; implicit-def: $vgpr117
.LBB6_6238:                             ;   in Loop: Header=BB6_4515 Depth=2
	s_and_not1_saveexec_b32 s10, s29
; %bb.6239:                             ;   in Loop: Header=BB6_4515 Depth=2
	v_or_b32_e32 v28, 0x7e, v117
; %bb.6240:                             ;   in Loop: Header=BB6_4515 Depth=2
	s_or_b32 exec_lo, exec_lo, s10
                                        ; implicit-def: $vgpr17
.LBB6_6241:                             ;   in Loop: Header=BB6_4515 Depth=2
	s_and_not1_saveexec_b32 s10, s11
; %bb.6242:                             ;   in Loop: Header=BB6_4515 Depth=2
	v_or_b32_e32 v28, 0x7f, v17
; %bb.6243:                             ;   in Loop: Header=BB6_4515 Depth=2
	s_or_b32 exec_lo, exec_lo, s10
	v_and_b32_e32 v16, 0xff, v27
	v_dual_mov_b32 v18, 0 :: v_dual_mov_b32 v19, 0
	s_mov_b32 s10, exec_lo
	s_delay_alu instid0(VALU_DEP_2)
	v_cmpx_ne_u16_e32 0, v16
	s_cbranch_execz .LBB6_6251
; %bb.6244:                             ;   in Loop: Header=BB6_4515 Depth=2
	v_bfrev_b32_e32 v19, 1
	s_mov_b32 s11, exec_lo
	v_cmpx_ne_u16_e32 0x80, v16
	s_cbranch_execz .LBB6_6250
; %bb.6245:                             ;   in Loop: Header=BB6_4515 Depth=2
	v_and_b32_e32 v17, 0x7f, v27
	v_mov_b32_e32 v19, 0x7f800001
	s_mov_b32 s29, exec_lo
	s_delay_alu instid0(VALU_DEP_2)
	v_cmpx_ne_u32_e32 0x7f, v17
	s_cbranch_execz .LBB6_6249
; %bb.6246:                             ;   in Loop: Header=BB6_4515 Depth=2
	v_dual_lshrrev_b32 v19, 3, v17 :: v_dual_bitop2_b32 v54, 7, v16 bitop3:0x40
	v_cmp_gt_u32_e32 vcc_lo, 8, v17
	s_delay_alu instid0(VALU_DEP_2)
	v_mov_b64_e32 v[16:17], v[54:55]
	s_and_saveexec_b32 s40, vcc_lo
; %bb.6247:                             ;   in Loop: Header=BB6_4515 Depth=2
	v_clz_i32_u32_e32 v16, v54
	s_delay_alu instid0(VALU_DEP_1) | instskip(NEXT) | instid1(VALU_DEP_1)
	v_min_u32_e32 v19, 32, v16
	v_subrev_nc_u32_e32 v16, 28, v19
	s_delay_alu instid0(VALU_DEP_1) | instskip(NEXT) | instid1(VALU_DEP_1)
	v_lshlrev_b64_e32 v[16:17], v16, v[54:55]
	v_dual_sub_nc_u32 v19, 29, v19 :: v_dual_bitop2_b32 v16, 7, v16 bitop3:0x40
; %bb.6248:                             ;   in Loop: Header=BB6_4515 Depth=2
	s_or_b32 exec_lo, exec_lo, s40
	s_delay_alu instid0(VALU_DEP_1) | instskip(NEXT) | instid1(VALU_DEP_2)
	v_dual_lshlrev_b32 v17, 24, v27 :: v_dual_lshlrev_b32 v16, 20, v16
	v_lshl_add_u32 v19, v19, 23, 0x3c000000
	s_delay_alu instid0(VALU_DEP_2) | instskip(NEXT) | instid1(VALU_DEP_1)
	v_and_b32_e32 v17, 0x80000000, v17
	v_or3_b32 v19, v16, v17, v19
.LBB6_6249:                             ;   in Loop: Header=BB6_4515 Depth=2
	s_or_b32 exec_lo, exec_lo, s29
.LBB6_6250:                             ;   in Loop: Header=BB6_4515 Depth=2
	s_delay_alu instid0(SALU_CYCLE_1)
	s_or_b32 exec_lo, exec_lo, s11
.LBB6_6251:                             ;   in Loop: Header=BB6_4515 Depth=2
	s_delay_alu instid0(SALU_CYCLE_1) | instskip(SKIP_3) | instid1(VALU_DEP_1)
	s_or_b32 exec_lo, exec_lo, s10
	s_wait_loadcnt_dscnt 0x808
	v_and_b32_e32 v16, 0xff, v116
	s_mov_b32 s10, exec_lo
	v_cmpx_ne_u16_e32 0, v16
	s_cbranch_execz .LBB6_6259
; %bb.6252:                             ;   in Loop: Header=BB6_4515 Depth=2
	v_bfrev_b32_e32 v18, 1
	s_mov_b32 s11, exec_lo
	v_cmpx_ne_u16_e32 0x80, v16
	s_cbranch_execz .LBB6_6258
; %bb.6253:                             ;   in Loop: Header=BB6_4515 Depth=2
	v_and_b32_e32 v17, 0x7f, v116
	v_mov_b32_e32 v18, 0x7f800001
	s_mov_b32 s29, exec_lo
	s_delay_alu instid0(VALU_DEP_2)
	v_cmpx_ne_u32_e32 0x7f, v17
	s_cbranch_execz .LBB6_6257
; %bb.6254:                             ;   in Loop: Header=BB6_4515 Depth=2
	v_dual_lshrrev_b32 v18, 3, v17 :: v_dual_bitop2_b32 v54, 7, v16 bitop3:0x40
	v_cmp_gt_u32_e32 vcc_lo, 8, v17
	s_delay_alu instid0(VALU_DEP_2)
	v_mov_b64_e32 v[16:17], v[54:55]
	s_and_saveexec_b32 s40, vcc_lo
; %bb.6255:                             ;   in Loop: Header=BB6_4515 Depth=2
	v_clz_i32_u32_e32 v16, v54
	s_delay_alu instid0(VALU_DEP_1) | instskip(NEXT) | instid1(VALU_DEP_1)
	v_min_u32_e32 v18, 32, v16
	v_subrev_nc_u32_e32 v16, 28, v18
	s_delay_alu instid0(VALU_DEP_1) | instskip(NEXT) | instid1(VALU_DEP_1)
	v_lshlrev_b64_e32 v[16:17], v16, v[54:55]
	v_dual_sub_nc_u32 v18, 29, v18 :: v_dual_bitop2_b32 v16, 7, v16 bitop3:0x40
; %bb.6256:                             ;   in Loop: Header=BB6_4515 Depth=2
	s_or_b32 exec_lo, exec_lo, s40
	v_lshlrev_b32_e32 v17, 24, v116
	s_delay_alu instid0(VALU_DEP_2) | instskip(NEXT) | instid1(VALU_DEP_3)
	v_lshlrev_b32_e32 v16, 20, v16
	v_lshl_add_u32 v18, v18, 23, 0x3c000000
	s_delay_alu instid0(VALU_DEP_3) | instskip(NEXT) | instid1(VALU_DEP_1)
	v_and_b32_e32 v17, 0x80000000, v17
	v_or3_b32 v18, v16, v17, v18
.LBB6_6257:                             ;   in Loop: Header=BB6_4515 Depth=2
	s_or_b32 exec_lo, exec_lo, s29
.LBB6_6258:                             ;   in Loop: Header=BB6_4515 Depth=2
	s_delay_alu instid0(SALU_CYCLE_1)
	s_or_b32 exec_lo, exec_lo, s11
.LBB6_6259:                             ;   in Loop: Header=BB6_4515 Depth=2
	s_delay_alu instid0(SALU_CYCLE_1) | instskip(NEXT) | instid1(VALU_DEP_1)
	s_or_b32 exec_lo, exec_lo, s10
	v_add_f32_e32 v16, v19, v18
                                        ; implicit-def: $vgpr27
	s_mov_b32 s10, exec_lo
	s_delay_alu instid0(VALU_DEP_1) | instskip(SKIP_1) | instid1(VALU_DEP_2)
	v_and_b32_e32 v54, 0x7f800000, v16
	v_lshrrev_b32_e32 v17, 24, v16
	v_cmpx_ne_u64_e32 0x7f800000, v[54:55]
	s_xor_b32 s11, exec_lo, s10
	s_cbranch_execz .LBB6_6277
; %bb.6260:                             ;   in Loop: Header=BB6_4515 Depth=2
	v_and_b32_e32 v54, 0x7fffffff, v16
	v_and_b32_e32 v116, 0x80, v17
                                        ; implicit-def: $vgpr27
	s_mov_b32 s10, exec_lo
	s_delay_alu instid0(VALU_DEP_2)
	v_cmpx_gt_u64_e32 0x43e00001, v[54:55]
	s_xor_b32 s29, exec_lo, s10
	s_cbranch_execz .LBB6_6274
; %bb.6261:                             ;   in Loop: Header=BB6_4515 Depth=2
	v_mov_b32_e32 v27, 0
	s_mov_b32 s40, exec_lo
	v_cmpx_ne_u32_e32 0, v16
	s_cbranch_execz .LBB6_6273
; %bb.6262:                             ;   in Loop: Header=BB6_4515 Depth=2
	v_bfe_u32 v27, v16, 23, 8
	v_and_b32_e32 v18, 0x7fffff, v16
	s_delay_alu instid0(VALU_DEP_2) | instskip(NEXT) | instid1(VALU_DEP_2)
	v_cmp_gt_u32_e32 vcc_lo, 0x7a, v27
	v_or_b32_e32 v19, 0x800000, v18
	v_sub_nc_u32_e32 v17, 0x79, v27
	s_delay_alu instid0(VALU_DEP_1) | instskip(SKIP_1) | instid1(VALU_DEP_2)
	v_cndmask_b32_e32 v17, 0, v17, vcc_lo
	v_cmp_eq_u32_e32 vcc_lo, 0, v27
	v_cndmask_b32_e64 v117, v17, 0x78, vcc_lo
	s_delay_alu instid0(VALU_DEP_1) | instskip(SKIP_1) | instid1(VALU_DEP_2)
	v_dual_cndmask_b32 v54, v19, v18, vcc_lo :: v_dual_add_nc_u32 v16, 20, v117
	v_add_nc_u32_e32 v118, 19, v117
	v_lshlrev_b64_e64 v[16:17], v16, -1
	s_delay_alu instid0(VALU_DEP_2) | instskip(NEXT) | instid1(VALU_DEP_2)
	v_lshlrev_b64_e64 v[18:19], v118, 1
	v_bfi_b32 v119, v17, 0, 0
	s_delay_alu instid0(VALU_DEP_3) | instskip(SKIP_1) | instid1(VALU_DEP_2)
	v_bfi_b32 v118, v16, 0, v54
	v_lshrrev_b64 v[16:17], v117, v[54:55]
	v_cmp_eq_u64_e64 s10, v[118:119], v[18:19]
	s_delay_alu instid0(VALU_DEP_2)
	v_mov_b64_e32 v[18:19], v[16:17]
	s_and_saveexec_b32 s41, s10
; %bb.6263:                             ;   in Loop: Header=BB6_4515 Depth=2
	v_bfe_u32 v54, v16, 20, 1
	s_delay_alu instid0(VALU_DEP_1) | instskip(NEXT) | instid1(VALU_DEP_1)
	v_add_nc_u64_e32 v[18:19], v[16:17], v[54:55]
	v_add_nc_u64_e32 v[18:19], -1, v[18:19]
; %bb.6264:                             ;   in Loop: Header=BB6_4515 Depth=2
	s_or_b32 exec_lo, exec_lo, s41
	v_add_nc_u32_e32 v17, 0xffffff81, v27
	v_lshrrev_b32_e32 v19, 23, v16
	s_mov_b32 s10, exec_lo
	s_delay_alu instid0(VALU_DEP_2) | instskip(NEXT) | instid1(VALU_DEP_1)
	v_cndmask_b32_e64 v17, v17, 0xffffff82, vcc_lo
	v_add3_u32 v19, v117, v17, v19
	v_and_b32_e32 v17, 0xfffff, v18
                                        ; implicit-def: $vgpr18
	s_delay_alu instid0(VALU_DEP_1) | instskip(NEXT) | instid1(VALU_DEP_1)
	v_dual_add_nc_u32 v27, 6, v19 :: v_dual_add_nc_u32 v54, v17, v16
                                        ; implicit-def: $vgpr16_vgpr17
	v_cmpx_ne_u32_e32 0, v27
	s_xor_b32 s10, exec_lo, s10
; %bb.6265:                             ;   in Loop: Header=BB6_4515 Depth=2
	s_delay_alu instid0(VALU_DEP_2) | instskip(SKIP_1) | instid1(VALU_DEP_1)
	v_cmp_lt_u64_e32 vcc_lo, 0xffffff, v[54:55]
	v_add_nc_u32_e32 v16, 7, v19
	v_cndmask_b32_e32 v18, v27, v16, vcc_lo
	v_cndmask_b32_e64 v16, 0, 1, vcc_lo
	s_delay_alu instid0(VALU_DEP_1)
	v_lshrrev_b64 v[16:17], v16, v[54:55]
; %bb.6266:                             ;   in Loop: Header=BB6_4515 Depth=2
	s_and_not1_saveexec_b32 s10, s10
; %bb.6267:                             ;   in Loop: Header=BB6_4515 Depth=2
	v_mov_b64_e32 v[16:17], v[54:55]
	v_bfe_u32 v18, v54, 23, 1
; %bb.6268:                             ;   in Loop: Header=BB6_4515 Depth=2
	s_or_b32 exec_lo, exec_lo, s10
	s_delay_alu instid0(VALU_DEP_2) | instskip(NEXT) | instid1(VALU_DEP_2)
	v_lshrrev_b64 v[16:17], 20, v[16:17]
	v_cmp_gt_i32_e32 vcc_lo, 16, v18
	v_cmp_ne_u32_e64 s10, 0, v18
                                        ; implicit-def: $vgpr27
	s_delay_alu instid0(VALU_DEP_3) | instskip(NEXT) | instid1(VALU_DEP_1)
	v_dual_cndmask_b32 v17, 0, v17 :: v_dual_cndmask_b32 v16, 7, v16
	v_cmp_ne_u64_e32 vcc_lo, 0, v[16:17]
	s_or_b32 s10, s10, vcc_lo
	s_delay_alu instid0(SALU_CYCLE_1) | instskip(NEXT) | instid1(SALU_CYCLE_1)
	s_and_saveexec_b32 s41, s10
	s_xor_b32 s10, exec_lo, s41
; %bb.6269:                             ;   in Loop: Header=BB6_4515 Depth=2
	v_min_i32_e32 v17, 15, v18
	s_delay_alu instid0(VALU_DEP_1) | instskip(NEXT) | instid1(VALU_DEP_1)
	v_lshl_or_b32 v17, v17, 3, v116
                                        ; implicit-def: $vgpr116
	v_and_or_b32 v27, v16, 7, v17
; %bb.6270:                             ;   in Loop: Header=BB6_4515 Depth=2
	s_and_not1_saveexec_b32 s10, s10
; %bb.6271:                             ;   in Loop: Header=BB6_4515 Depth=2
	v_mov_b32_e32 v27, v116
; %bb.6272:                             ;   in Loop: Header=BB6_4515 Depth=2
	s_or_b32 exec_lo, exec_lo, s10
.LBB6_6273:                             ;   in Loop: Header=BB6_4515 Depth=2
	s_delay_alu instid0(SALU_CYCLE_1)
	s_or_b32 exec_lo, exec_lo, s40
                                        ; implicit-def: $vgpr116
.LBB6_6274:                             ;   in Loop: Header=BB6_4515 Depth=2
	s_and_not1_saveexec_b32 s10, s29
; %bb.6275:                             ;   in Loop: Header=BB6_4515 Depth=2
	v_or_b32_e32 v27, 0x7e, v116
; %bb.6276:                             ;   in Loop: Header=BB6_4515 Depth=2
	s_or_b32 exec_lo, exec_lo, s10
                                        ; implicit-def: $vgpr17
.LBB6_6277:                             ;   in Loop: Header=BB6_4515 Depth=2
	s_and_not1_saveexec_b32 s10, s11
; %bb.6278:                             ;   in Loop: Header=BB6_4515 Depth=2
	v_or_b32_e32 v27, 0x7f, v17
; %bb.6279:                             ;   in Loop: Header=BB6_4515 Depth=2
	s_or_b32 exec_lo, exec_lo, s10
	v_and_b32_e32 v16, 0xff, v25
	v_dual_mov_b32 v18, 0 :: v_dual_mov_b32 v19, 0
	s_mov_b32 s10, exec_lo
	s_delay_alu instid0(VALU_DEP_2)
	v_cmpx_ne_u16_e32 0, v16
	s_cbranch_execz .LBB6_6287
; %bb.6280:                             ;   in Loop: Header=BB6_4515 Depth=2
	v_bfrev_b32_e32 v19, 1
	s_mov_b32 s11, exec_lo
	v_cmpx_ne_u16_e32 0x80, v16
	s_cbranch_execz .LBB6_6286
; %bb.6281:                             ;   in Loop: Header=BB6_4515 Depth=2
	v_and_b32_e32 v17, 0x7f, v25
	v_mov_b32_e32 v19, 0x7f800001
	s_mov_b32 s29, exec_lo
	s_delay_alu instid0(VALU_DEP_2)
	v_cmpx_ne_u32_e32 0x7f, v17
	s_cbranch_execz .LBB6_6285
; %bb.6282:                             ;   in Loop: Header=BB6_4515 Depth=2
	v_dual_lshrrev_b32 v19, 3, v17 :: v_dual_bitop2_b32 v54, 7, v16 bitop3:0x40
	v_cmp_gt_u32_e32 vcc_lo, 8, v17
	s_delay_alu instid0(VALU_DEP_2)
	v_mov_b64_e32 v[16:17], v[54:55]
	s_and_saveexec_b32 s40, vcc_lo
; %bb.6283:                             ;   in Loop: Header=BB6_4515 Depth=2
	v_clz_i32_u32_e32 v16, v54
	s_delay_alu instid0(VALU_DEP_1) | instskip(NEXT) | instid1(VALU_DEP_1)
	v_min_u32_e32 v19, 32, v16
	v_subrev_nc_u32_e32 v16, 28, v19
	s_delay_alu instid0(VALU_DEP_1) | instskip(NEXT) | instid1(VALU_DEP_1)
	v_lshlrev_b64_e32 v[16:17], v16, v[54:55]
	v_dual_sub_nc_u32 v19, 29, v19 :: v_dual_bitop2_b32 v16, 7, v16 bitop3:0x40
; %bb.6284:                             ;   in Loop: Header=BB6_4515 Depth=2
	s_or_b32 exec_lo, exec_lo, s40
	s_delay_alu instid0(VALU_DEP_1) | instskip(NEXT) | instid1(VALU_DEP_2)
	v_dual_lshlrev_b32 v17, 24, v25 :: v_dual_lshlrev_b32 v16, 20, v16
	v_lshl_add_u32 v19, v19, 23, 0x3c000000
	s_delay_alu instid0(VALU_DEP_2) | instskip(NEXT) | instid1(VALU_DEP_1)
	v_and_b32_e32 v17, 0x80000000, v17
	v_or3_b32 v19, v16, v17, v19
.LBB6_6285:                             ;   in Loop: Header=BB6_4515 Depth=2
	s_or_b32 exec_lo, exec_lo, s29
.LBB6_6286:                             ;   in Loop: Header=BB6_4515 Depth=2
	s_delay_alu instid0(SALU_CYCLE_1)
	s_or_b32 exec_lo, exec_lo, s11
.LBB6_6287:                             ;   in Loop: Header=BB6_4515 Depth=2
	s_delay_alu instid0(SALU_CYCLE_1) | instskip(SKIP_3) | instid1(VALU_DEP_1)
	s_or_b32 exec_lo, exec_lo, s10
	s_wait_loadcnt_dscnt 0x707
	v_and_b32_e32 v16, 0xff, v115
	s_mov_b32 s10, exec_lo
	v_cmpx_ne_u16_e32 0, v16
	s_cbranch_execz .LBB6_6295
; %bb.6288:                             ;   in Loop: Header=BB6_4515 Depth=2
	v_bfrev_b32_e32 v18, 1
	s_mov_b32 s11, exec_lo
	v_cmpx_ne_u16_e32 0x80, v16
	s_cbranch_execz .LBB6_6294
; %bb.6289:                             ;   in Loop: Header=BB6_4515 Depth=2
	v_and_b32_e32 v17, 0x7f, v115
	v_mov_b32_e32 v18, 0x7f800001
	s_mov_b32 s29, exec_lo
	s_delay_alu instid0(VALU_DEP_2)
	v_cmpx_ne_u32_e32 0x7f, v17
	s_cbranch_execz .LBB6_6293
; %bb.6290:                             ;   in Loop: Header=BB6_4515 Depth=2
	v_dual_lshrrev_b32 v18, 3, v17 :: v_dual_bitop2_b32 v54, 7, v16 bitop3:0x40
	v_cmp_gt_u32_e32 vcc_lo, 8, v17
	s_delay_alu instid0(VALU_DEP_2)
	v_mov_b64_e32 v[16:17], v[54:55]
	s_and_saveexec_b32 s40, vcc_lo
; %bb.6291:                             ;   in Loop: Header=BB6_4515 Depth=2
	v_clz_i32_u32_e32 v16, v54
	s_delay_alu instid0(VALU_DEP_1) | instskip(NEXT) | instid1(VALU_DEP_1)
	v_min_u32_e32 v18, 32, v16
	v_subrev_nc_u32_e32 v16, 28, v18
	s_delay_alu instid0(VALU_DEP_1) | instskip(NEXT) | instid1(VALU_DEP_1)
	v_lshlrev_b64_e32 v[16:17], v16, v[54:55]
	v_dual_sub_nc_u32 v18, 29, v18 :: v_dual_bitop2_b32 v16, 7, v16 bitop3:0x40
; %bb.6292:                             ;   in Loop: Header=BB6_4515 Depth=2
	s_or_b32 exec_lo, exec_lo, s40
	s_delay_alu instid0(VALU_DEP_1) | instskip(NEXT) | instid1(VALU_DEP_2)
	v_dual_lshlrev_b32 v17, 24, v115 :: v_dual_lshlrev_b32 v16, 20, v16
	v_lshl_add_u32 v18, v18, 23, 0x3c000000
	s_delay_alu instid0(VALU_DEP_2) | instskip(NEXT) | instid1(VALU_DEP_1)
	v_and_b32_e32 v17, 0x80000000, v17
	v_or3_b32 v18, v16, v17, v18
.LBB6_6293:                             ;   in Loop: Header=BB6_4515 Depth=2
	s_or_b32 exec_lo, exec_lo, s29
.LBB6_6294:                             ;   in Loop: Header=BB6_4515 Depth=2
	s_delay_alu instid0(SALU_CYCLE_1)
	s_or_b32 exec_lo, exec_lo, s11
.LBB6_6295:                             ;   in Loop: Header=BB6_4515 Depth=2
	s_delay_alu instid0(SALU_CYCLE_1) | instskip(NEXT) | instid1(VALU_DEP_1)
	s_or_b32 exec_lo, exec_lo, s10
	v_add_f32_e32 v16, v19, v18
                                        ; implicit-def: $vgpr25
	s_mov_b32 s10, exec_lo
	s_delay_alu instid0(VALU_DEP_1) | instskip(SKIP_1) | instid1(VALU_DEP_2)
	v_and_b32_e32 v54, 0x7f800000, v16
	v_lshrrev_b32_e32 v17, 24, v16
	v_cmpx_ne_u64_e32 0x7f800000, v[54:55]
	s_xor_b32 s11, exec_lo, s10
	s_cbranch_execz .LBB6_6313
; %bb.6296:                             ;   in Loop: Header=BB6_4515 Depth=2
	v_and_b32_e32 v54, 0x7fffffff, v16
	v_and_b32_e32 v115, 0x80, v17
                                        ; implicit-def: $vgpr25
	s_mov_b32 s10, exec_lo
	s_delay_alu instid0(VALU_DEP_2)
	v_cmpx_gt_u64_e32 0x43e00001, v[54:55]
	s_xor_b32 s29, exec_lo, s10
	s_cbranch_execz .LBB6_6310
; %bb.6297:                             ;   in Loop: Header=BB6_4515 Depth=2
	v_mov_b32_e32 v25, 0
	s_mov_b32 s40, exec_lo
	v_cmpx_ne_u32_e32 0, v16
	s_cbranch_execz .LBB6_6309
; %bb.6298:                             ;   in Loop: Header=BB6_4515 Depth=2
	v_bfe_u32 v25, v16, 23, 8
	v_and_b32_e32 v18, 0x7fffff, v16
	s_delay_alu instid0(VALU_DEP_2) | instskip(NEXT) | instid1(VALU_DEP_2)
	v_cmp_gt_u32_e32 vcc_lo, 0x7a, v25
	v_or_b32_e32 v19, 0x800000, v18
	v_sub_nc_u32_e32 v17, 0x79, v25
	s_delay_alu instid0(VALU_DEP_1) | instskip(SKIP_1) | instid1(VALU_DEP_2)
	v_cndmask_b32_e32 v17, 0, v17, vcc_lo
	v_cmp_eq_u32_e32 vcc_lo, 0, v25
	v_cndmask_b32_e64 v116, v17, 0x78, vcc_lo
	s_delay_alu instid0(VALU_DEP_1) | instskip(SKIP_1) | instid1(VALU_DEP_2)
	v_dual_cndmask_b32 v54, v19, v18, vcc_lo :: v_dual_add_nc_u32 v16, 20, v116
	v_add_nc_u32_e32 v117, 19, v116
	v_lshlrev_b64_e64 v[16:17], v16, -1
	s_delay_alu instid0(VALU_DEP_2) | instskip(NEXT) | instid1(VALU_DEP_2)
	v_lshlrev_b64_e64 v[18:19], v117, 1
	v_bfi_b32 v119, v17, 0, 0
	s_delay_alu instid0(VALU_DEP_3) | instskip(SKIP_1) | instid1(VALU_DEP_2)
	v_bfi_b32 v118, v16, 0, v54
	v_lshrrev_b64 v[16:17], v116, v[54:55]
	v_cmp_eq_u64_e64 s10, v[118:119], v[18:19]
	s_delay_alu instid0(VALU_DEP_2)
	v_mov_b64_e32 v[18:19], v[16:17]
	s_and_saveexec_b32 s41, s10
; %bb.6299:                             ;   in Loop: Header=BB6_4515 Depth=2
	v_bfe_u32 v54, v16, 20, 1
	s_delay_alu instid0(VALU_DEP_1) | instskip(NEXT) | instid1(VALU_DEP_1)
	v_add_nc_u64_e32 v[18:19], v[16:17], v[54:55]
	v_add_nc_u64_e32 v[18:19], -1, v[18:19]
; %bb.6300:                             ;   in Loop: Header=BB6_4515 Depth=2
	s_or_b32 exec_lo, exec_lo, s41
	v_add_nc_u32_e32 v17, 0xffffff81, v25
	v_lshrrev_b32_e32 v19, 23, v16
	s_mov_b32 s10, exec_lo
	s_delay_alu instid0(VALU_DEP_2) | instskip(NEXT) | instid1(VALU_DEP_1)
	v_cndmask_b32_e64 v17, v17, 0xffffff82, vcc_lo
	v_add3_u32 v19, v116, v17, v19
	v_and_b32_e32 v17, 0xfffff, v18
                                        ; implicit-def: $vgpr18
	s_delay_alu instid0(VALU_DEP_1) | instskip(NEXT) | instid1(VALU_DEP_1)
	v_dual_add_nc_u32 v25, 6, v19 :: v_dual_add_nc_u32 v54, v17, v16
                                        ; implicit-def: $vgpr16_vgpr17
	v_cmpx_ne_u32_e32 0, v25
	s_xor_b32 s10, exec_lo, s10
; %bb.6301:                             ;   in Loop: Header=BB6_4515 Depth=2
	s_delay_alu instid0(VALU_DEP_2) | instskip(SKIP_1) | instid1(VALU_DEP_1)
	v_cmp_lt_u64_e32 vcc_lo, 0xffffff, v[54:55]
	v_add_nc_u32_e32 v16, 7, v19
	v_cndmask_b32_e32 v18, v25, v16, vcc_lo
	v_cndmask_b32_e64 v16, 0, 1, vcc_lo
	s_delay_alu instid0(VALU_DEP_1)
	v_lshrrev_b64 v[16:17], v16, v[54:55]
; %bb.6302:                             ;   in Loop: Header=BB6_4515 Depth=2
	s_and_not1_saveexec_b32 s10, s10
; %bb.6303:                             ;   in Loop: Header=BB6_4515 Depth=2
	v_mov_b64_e32 v[16:17], v[54:55]
	v_bfe_u32 v18, v54, 23, 1
; %bb.6304:                             ;   in Loop: Header=BB6_4515 Depth=2
	s_or_b32 exec_lo, exec_lo, s10
	s_delay_alu instid0(VALU_DEP_2) | instskip(NEXT) | instid1(VALU_DEP_2)
	v_lshrrev_b64 v[16:17], 20, v[16:17]
	v_cmp_gt_i32_e32 vcc_lo, 16, v18
	v_cmp_ne_u32_e64 s10, 0, v18
                                        ; implicit-def: $vgpr25
	s_delay_alu instid0(VALU_DEP_3) | instskip(NEXT) | instid1(VALU_DEP_1)
	v_dual_cndmask_b32 v17, 0, v17 :: v_dual_cndmask_b32 v16, 7, v16
	v_cmp_ne_u64_e32 vcc_lo, 0, v[16:17]
	s_or_b32 s10, s10, vcc_lo
	s_delay_alu instid0(SALU_CYCLE_1) | instskip(NEXT) | instid1(SALU_CYCLE_1)
	s_and_saveexec_b32 s41, s10
	s_xor_b32 s10, exec_lo, s41
; %bb.6305:                             ;   in Loop: Header=BB6_4515 Depth=2
	v_min_i32_e32 v17, 15, v18
	s_delay_alu instid0(VALU_DEP_1) | instskip(NEXT) | instid1(VALU_DEP_1)
	v_lshl_or_b32 v17, v17, 3, v115
                                        ; implicit-def: $vgpr115
	v_and_or_b32 v25, v16, 7, v17
; %bb.6306:                             ;   in Loop: Header=BB6_4515 Depth=2
	s_and_not1_saveexec_b32 s10, s10
; %bb.6307:                             ;   in Loop: Header=BB6_4515 Depth=2
	v_mov_b32_e32 v25, v115
; %bb.6308:                             ;   in Loop: Header=BB6_4515 Depth=2
	s_or_b32 exec_lo, exec_lo, s10
.LBB6_6309:                             ;   in Loop: Header=BB6_4515 Depth=2
	s_delay_alu instid0(SALU_CYCLE_1)
	s_or_b32 exec_lo, exec_lo, s40
                                        ; implicit-def: $vgpr115
.LBB6_6310:                             ;   in Loop: Header=BB6_4515 Depth=2
	s_and_not1_saveexec_b32 s10, s29
; %bb.6311:                             ;   in Loop: Header=BB6_4515 Depth=2
	v_or_b32_e32 v25, 0x7e, v115
; %bb.6312:                             ;   in Loop: Header=BB6_4515 Depth=2
	s_or_b32 exec_lo, exec_lo, s10
                                        ; implicit-def: $vgpr17
.LBB6_6313:                             ;   in Loop: Header=BB6_4515 Depth=2
	s_and_not1_saveexec_b32 s10, s11
; %bb.6314:                             ;   in Loop: Header=BB6_4515 Depth=2
	v_or_b32_e32 v25, 0x7f, v17
; %bb.6315:                             ;   in Loop: Header=BB6_4515 Depth=2
	s_or_b32 exec_lo, exec_lo, s10
	v_and_b32_e32 v16, 0xff, v24
	v_dual_mov_b32 v18, 0 :: v_dual_mov_b32 v19, 0
	s_mov_b32 s10, exec_lo
	s_delay_alu instid0(VALU_DEP_2)
	v_cmpx_ne_u16_e32 0, v16
	s_cbranch_execz .LBB6_6323
; %bb.6316:                             ;   in Loop: Header=BB6_4515 Depth=2
	v_bfrev_b32_e32 v19, 1
	s_mov_b32 s11, exec_lo
	v_cmpx_ne_u16_e32 0x80, v16
	s_cbranch_execz .LBB6_6322
; %bb.6317:                             ;   in Loop: Header=BB6_4515 Depth=2
	v_and_b32_e32 v17, 0x7f, v24
	v_mov_b32_e32 v19, 0x7f800001
	s_mov_b32 s29, exec_lo
	s_delay_alu instid0(VALU_DEP_2)
	v_cmpx_ne_u32_e32 0x7f, v17
	s_cbranch_execz .LBB6_6321
; %bb.6318:                             ;   in Loop: Header=BB6_4515 Depth=2
	v_dual_lshrrev_b32 v19, 3, v17 :: v_dual_bitop2_b32 v54, 7, v16 bitop3:0x40
	v_cmp_gt_u32_e32 vcc_lo, 8, v17
	s_delay_alu instid0(VALU_DEP_2)
	v_mov_b64_e32 v[16:17], v[54:55]
	s_and_saveexec_b32 s40, vcc_lo
; %bb.6319:                             ;   in Loop: Header=BB6_4515 Depth=2
	v_clz_i32_u32_e32 v16, v54
	s_delay_alu instid0(VALU_DEP_1) | instskip(NEXT) | instid1(VALU_DEP_1)
	v_min_u32_e32 v19, 32, v16
	v_subrev_nc_u32_e32 v16, 28, v19
	s_delay_alu instid0(VALU_DEP_1) | instskip(NEXT) | instid1(VALU_DEP_1)
	v_lshlrev_b64_e32 v[16:17], v16, v[54:55]
	v_dual_sub_nc_u32 v19, 29, v19 :: v_dual_bitop2_b32 v16, 7, v16 bitop3:0x40
; %bb.6320:                             ;   in Loop: Header=BB6_4515 Depth=2
	s_or_b32 exec_lo, exec_lo, s40
	v_lshlrev_b32_e32 v17, 24, v24
	s_delay_alu instid0(VALU_DEP_2) | instskip(NEXT) | instid1(VALU_DEP_3)
	v_lshlrev_b32_e32 v16, 20, v16
	v_lshl_add_u32 v19, v19, 23, 0x3c000000
	s_delay_alu instid0(VALU_DEP_3) | instskip(NEXT) | instid1(VALU_DEP_1)
	v_and_b32_e32 v17, 0x80000000, v17
	v_or3_b32 v19, v16, v17, v19
.LBB6_6321:                             ;   in Loop: Header=BB6_4515 Depth=2
	s_or_b32 exec_lo, exec_lo, s29
.LBB6_6322:                             ;   in Loop: Header=BB6_4515 Depth=2
	s_delay_alu instid0(SALU_CYCLE_1)
	s_or_b32 exec_lo, exec_lo, s11
.LBB6_6323:                             ;   in Loop: Header=BB6_4515 Depth=2
	s_delay_alu instid0(SALU_CYCLE_1) | instskip(SKIP_3) | instid1(VALU_DEP_1)
	s_or_b32 exec_lo, exec_lo, s10
	s_wait_loadcnt_dscnt 0x606
	v_and_b32_e32 v16, 0xff, v113
	s_mov_b32 s10, exec_lo
	v_cmpx_ne_u16_e32 0, v16
	s_cbranch_execz .LBB6_6331
; %bb.6324:                             ;   in Loop: Header=BB6_4515 Depth=2
	v_bfrev_b32_e32 v18, 1
	s_mov_b32 s11, exec_lo
	v_cmpx_ne_u16_e32 0x80, v16
	s_cbranch_execz .LBB6_6330
; %bb.6325:                             ;   in Loop: Header=BB6_4515 Depth=2
	v_and_b32_e32 v17, 0x7f, v113
	v_mov_b32_e32 v18, 0x7f800001
	s_mov_b32 s29, exec_lo
	s_delay_alu instid0(VALU_DEP_2)
	v_cmpx_ne_u32_e32 0x7f, v17
	s_cbranch_execz .LBB6_6329
; %bb.6326:                             ;   in Loop: Header=BB6_4515 Depth=2
	v_dual_lshrrev_b32 v18, 3, v17 :: v_dual_bitop2_b32 v54, 7, v16 bitop3:0x40
	v_cmp_gt_u32_e32 vcc_lo, 8, v17
	s_delay_alu instid0(VALU_DEP_2)
	v_mov_b64_e32 v[16:17], v[54:55]
	s_and_saveexec_b32 s40, vcc_lo
; %bb.6327:                             ;   in Loop: Header=BB6_4515 Depth=2
	v_clz_i32_u32_e32 v16, v54
	s_delay_alu instid0(VALU_DEP_1) | instskip(NEXT) | instid1(VALU_DEP_1)
	v_min_u32_e32 v18, 32, v16
	v_subrev_nc_u32_e32 v16, 28, v18
	s_delay_alu instid0(VALU_DEP_1) | instskip(NEXT) | instid1(VALU_DEP_1)
	v_lshlrev_b64_e32 v[16:17], v16, v[54:55]
	v_dual_sub_nc_u32 v18, 29, v18 :: v_dual_bitop2_b32 v16, 7, v16 bitop3:0x40
; %bb.6328:                             ;   in Loop: Header=BB6_4515 Depth=2
	s_or_b32 exec_lo, exec_lo, s40
	s_delay_alu instid0(VALU_DEP_1) | instskip(NEXT) | instid1(VALU_DEP_2)
	v_dual_lshlrev_b32 v17, 24, v113 :: v_dual_lshlrev_b32 v16, 20, v16
	v_lshl_add_u32 v18, v18, 23, 0x3c000000
	s_delay_alu instid0(VALU_DEP_2) | instskip(NEXT) | instid1(VALU_DEP_1)
	v_and_b32_e32 v17, 0x80000000, v17
	v_or3_b32 v18, v16, v17, v18
.LBB6_6329:                             ;   in Loop: Header=BB6_4515 Depth=2
	s_or_b32 exec_lo, exec_lo, s29
.LBB6_6330:                             ;   in Loop: Header=BB6_4515 Depth=2
	s_delay_alu instid0(SALU_CYCLE_1)
	s_or_b32 exec_lo, exec_lo, s11
.LBB6_6331:                             ;   in Loop: Header=BB6_4515 Depth=2
	s_delay_alu instid0(SALU_CYCLE_1) | instskip(NEXT) | instid1(VALU_DEP_1)
	s_or_b32 exec_lo, exec_lo, s10
	v_add_f32_e32 v16, v19, v18
                                        ; implicit-def: $vgpr24
	s_mov_b32 s10, exec_lo
	s_delay_alu instid0(VALU_DEP_1) | instskip(SKIP_1) | instid1(VALU_DEP_2)
	v_and_b32_e32 v54, 0x7f800000, v16
	v_lshrrev_b32_e32 v17, 24, v16
	v_cmpx_ne_u64_e32 0x7f800000, v[54:55]
	s_xor_b32 s11, exec_lo, s10
	s_cbranch_execz .LBB6_6349
; %bb.6332:                             ;   in Loop: Header=BB6_4515 Depth=2
	v_and_b32_e32 v54, 0x7fffffff, v16
	v_and_b32_e32 v113, 0x80, v17
                                        ; implicit-def: $vgpr24
	s_mov_b32 s10, exec_lo
	s_delay_alu instid0(VALU_DEP_2)
	v_cmpx_gt_u64_e32 0x43e00001, v[54:55]
	s_xor_b32 s29, exec_lo, s10
	s_cbranch_execz .LBB6_6346
; %bb.6333:                             ;   in Loop: Header=BB6_4515 Depth=2
	v_mov_b32_e32 v24, 0
	s_mov_b32 s40, exec_lo
	v_cmpx_ne_u32_e32 0, v16
	s_cbranch_execz .LBB6_6345
; %bb.6334:                             ;   in Loop: Header=BB6_4515 Depth=2
	v_bfe_u32 v24, v16, 23, 8
	v_and_b32_e32 v18, 0x7fffff, v16
	s_delay_alu instid0(VALU_DEP_2) | instskip(NEXT) | instid1(VALU_DEP_2)
	v_cmp_gt_u32_e32 vcc_lo, 0x7a, v24
	v_or_b32_e32 v19, 0x800000, v18
	v_sub_nc_u32_e32 v17, 0x79, v24
	s_delay_alu instid0(VALU_DEP_1) | instskip(SKIP_1) | instid1(VALU_DEP_2)
	v_cndmask_b32_e32 v17, 0, v17, vcc_lo
	v_cmp_eq_u32_e32 vcc_lo, 0, v24
	v_cndmask_b32_e64 v115, v17, 0x78, vcc_lo
	s_delay_alu instid0(VALU_DEP_1) | instskip(SKIP_1) | instid1(VALU_DEP_2)
	v_dual_cndmask_b32 v54, v19, v18, vcc_lo :: v_dual_add_nc_u32 v16, 20, v115
	v_add_nc_u32_e32 v116, 19, v115
	v_lshlrev_b64_e64 v[16:17], v16, -1
	s_delay_alu instid0(VALU_DEP_2) | instskip(NEXT) | instid1(VALU_DEP_2)
	v_lshlrev_b64_e64 v[18:19], v116, 1
	v_bfi_b32 v117, v17, 0, 0
	s_delay_alu instid0(VALU_DEP_3) | instskip(SKIP_1) | instid1(VALU_DEP_2)
	v_bfi_b32 v116, v16, 0, v54
	v_lshrrev_b64 v[16:17], v115, v[54:55]
	v_cmp_eq_u64_e64 s10, v[116:117], v[18:19]
	s_delay_alu instid0(VALU_DEP_2)
	v_mov_b64_e32 v[18:19], v[16:17]
	s_and_saveexec_b32 s41, s10
; %bb.6335:                             ;   in Loop: Header=BB6_4515 Depth=2
	v_bfe_u32 v54, v16, 20, 1
	s_delay_alu instid0(VALU_DEP_1) | instskip(NEXT) | instid1(VALU_DEP_1)
	v_add_nc_u64_e32 v[18:19], v[16:17], v[54:55]
	v_add_nc_u64_e32 v[18:19], -1, v[18:19]
; %bb.6336:                             ;   in Loop: Header=BB6_4515 Depth=2
	s_or_b32 exec_lo, exec_lo, s41
	v_add_nc_u32_e32 v17, 0xffffff81, v24
	v_lshrrev_b32_e32 v19, 23, v16
	s_mov_b32 s10, exec_lo
	s_delay_alu instid0(VALU_DEP_2) | instskip(NEXT) | instid1(VALU_DEP_1)
	v_cndmask_b32_e64 v17, v17, 0xffffff82, vcc_lo
	v_add3_u32 v19, v115, v17, v19
	v_and_b32_e32 v17, 0xfffff, v18
                                        ; implicit-def: $vgpr18
	s_delay_alu instid0(VALU_DEP_1) | instskip(NEXT) | instid1(VALU_DEP_1)
	v_dual_add_nc_u32 v24, 6, v19 :: v_dual_add_nc_u32 v54, v17, v16
                                        ; implicit-def: $vgpr16_vgpr17
	v_cmpx_ne_u32_e32 0, v24
	s_xor_b32 s10, exec_lo, s10
; %bb.6337:                             ;   in Loop: Header=BB6_4515 Depth=2
	s_delay_alu instid0(VALU_DEP_2) | instskip(SKIP_1) | instid1(VALU_DEP_1)
	v_cmp_lt_u64_e32 vcc_lo, 0xffffff, v[54:55]
	v_add_nc_u32_e32 v16, 7, v19
	v_cndmask_b32_e32 v18, v24, v16, vcc_lo
	v_cndmask_b32_e64 v16, 0, 1, vcc_lo
	s_delay_alu instid0(VALU_DEP_1)
	v_lshrrev_b64 v[16:17], v16, v[54:55]
; %bb.6338:                             ;   in Loop: Header=BB6_4515 Depth=2
	s_and_not1_saveexec_b32 s10, s10
; %bb.6339:                             ;   in Loop: Header=BB6_4515 Depth=2
	v_mov_b64_e32 v[16:17], v[54:55]
	v_bfe_u32 v18, v54, 23, 1
; %bb.6340:                             ;   in Loop: Header=BB6_4515 Depth=2
	s_or_b32 exec_lo, exec_lo, s10
	s_delay_alu instid0(VALU_DEP_2) | instskip(NEXT) | instid1(VALU_DEP_2)
	v_lshrrev_b64 v[16:17], 20, v[16:17]
	v_cmp_gt_i32_e32 vcc_lo, 16, v18
	v_cmp_ne_u32_e64 s10, 0, v18
                                        ; implicit-def: $vgpr24
	s_delay_alu instid0(VALU_DEP_3) | instskip(NEXT) | instid1(VALU_DEP_1)
	v_dual_cndmask_b32 v17, 0, v17 :: v_dual_cndmask_b32 v16, 7, v16
	v_cmp_ne_u64_e32 vcc_lo, 0, v[16:17]
	s_or_b32 s10, s10, vcc_lo
	s_delay_alu instid0(SALU_CYCLE_1) | instskip(NEXT) | instid1(SALU_CYCLE_1)
	s_and_saveexec_b32 s41, s10
	s_xor_b32 s10, exec_lo, s41
; %bb.6341:                             ;   in Loop: Header=BB6_4515 Depth=2
	v_min_i32_e32 v17, 15, v18
	s_delay_alu instid0(VALU_DEP_1) | instskip(NEXT) | instid1(VALU_DEP_1)
	v_lshl_or_b32 v17, v17, 3, v113
                                        ; implicit-def: $vgpr113
	v_and_or_b32 v24, v16, 7, v17
; %bb.6342:                             ;   in Loop: Header=BB6_4515 Depth=2
	s_and_not1_saveexec_b32 s10, s10
; %bb.6343:                             ;   in Loop: Header=BB6_4515 Depth=2
	v_mov_b32_e32 v24, v113
; %bb.6344:                             ;   in Loop: Header=BB6_4515 Depth=2
	s_or_b32 exec_lo, exec_lo, s10
.LBB6_6345:                             ;   in Loop: Header=BB6_4515 Depth=2
	s_delay_alu instid0(SALU_CYCLE_1)
	s_or_b32 exec_lo, exec_lo, s40
                                        ; implicit-def: $vgpr113
.LBB6_6346:                             ;   in Loop: Header=BB6_4515 Depth=2
	s_and_not1_saveexec_b32 s10, s29
; %bb.6347:                             ;   in Loop: Header=BB6_4515 Depth=2
	v_or_b32_e32 v24, 0x7e, v113
; %bb.6348:                             ;   in Loop: Header=BB6_4515 Depth=2
	s_or_b32 exec_lo, exec_lo, s10
                                        ; implicit-def: $vgpr17
.LBB6_6349:                             ;   in Loop: Header=BB6_4515 Depth=2
	s_and_not1_saveexec_b32 s10, s11
; %bb.6350:                             ;   in Loop: Header=BB6_4515 Depth=2
	v_or_b32_e32 v24, 0x7f, v17
; %bb.6351:                             ;   in Loop: Header=BB6_4515 Depth=2
	s_or_b32 exec_lo, exec_lo, s10
	v_and_b32_e32 v16, 0xff, v9
	v_dual_mov_b32 v18, 0 :: v_dual_mov_b32 v19, 0
	s_mov_b32 s10, exec_lo
	s_delay_alu instid0(VALU_DEP_2)
	v_cmpx_ne_u16_e32 0, v16
	s_cbranch_execz .LBB6_6359
; %bb.6352:                             ;   in Loop: Header=BB6_4515 Depth=2
	v_bfrev_b32_e32 v19, 1
	s_mov_b32 s11, exec_lo
	v_cmpx_ne_u16_e32 0x80, v16
	s_cbranch_execz .LBB6_6358
; %bb.6353:                             ;   in Loop: Header=BB6_4515 Depth=2
	v_and_b32_e32 v17, 0x7f, v9
	v_mov_b32_e32 v19, 0x7f800001
	s_mov_b32 s29, exec_lo
	s_delay_alu instid0(VALU_DEP_2)
	v_cmpx_ne_u32_e32 0x7f, v17
	s_cbranch_execz .LBB6_6357
; %bb.6354:                             ;   in Loop: Header=BB6_4515 Depth=2
	v_dual_lshrrev_b32 v19, 3, v17 :: v_dual_bitop2_b32 v54, 7, v16 bitop3:0x40
	v_cmp_gt_u32_e32 vcc_lo, 8, v17
	s_delay_alu instid0(VALU_DEP_2)
	v_mov_b64_e32 v[16:17], v[54:55]
	s_and_saveexec_b32 s40, vcc_lo
; %bb.6355:                             ;   in Loop: Header=BB6_4515 Depth=2
	v_clz_i32_u32_e32 v16, v54
	s_delay_alu instid0(VALU_DEP_1) | instskip(NEXT) | instid1(VALU_DEP_1)
	v_min_u32_e32 v19, 32, v16
	v_subrev_nc_u32_e32 v16, 28, v19
	s_delay_alu instid0(VALU_DEP_1) | instskip(NEXT) | instid1(VALU_DEP_1)
	v_lshlrev_b64_e32 v[16:17], v16, v[54:55]
	v_dual_sub_nc_u32 v19, 29, v19 :: v_dual_bitop2_b32 v16, 7, v16 bitop3:0x40
; %bb.6356:                             ;   in Loop: Header=BB6_4515 Depth=2
	s_or_b32 exec_lo, exec_lo, s40
	s_delay_alu instid0(VALU_DEP_1) | instskip(NEXT) | instid1(VALU_DEP_2)
	v_dual_lshlrev_b32 v9, 24, v9 :: v_dual_lshlrev_b32 v16, 20, v16
	v_lshl_add_u32 v17, v19, 23, 0x3c000000
	s_delay_alu instid0(VALU_DEP_2) | instskip(NEXT) | instid1(VALU_DEP_1)
	v_and_b32_e32 v9, 0x80000000, v9
	v_or3_b32 v19, v16, v9, v17
.LBB6_6357:                             ;   in Loop: Header=BB6_4515 Depth=2
	s_or_b32 exec_lo, exec_lo, s29
.LBB6_6358:                             ;   in Loop: Header=BB6_4515 Depth=2
	s_delay_alu instid0(SALU_CYCLE_1)
	s_or_b32 exec_lo, exec_lo, s11
.LBB6_6359:                             ;   in Loop: Header=BB6_4515 Depth=2
	s_delay_alu instid0(SALU_CYCLE_1) | instskip(SKIP_3) | instid1(VALU_DEP_1)
	s_or_b32 exec_lo, exec_lo, s10
	s_wait_loadcnt_dscnt 0x505
	v_and_b32_e32 v9, 0xff, v101
	s_mov_b32 s10, exec_lo
	v_cmpx_ne_u16_e32 0, v9
	s_cbranch_execz .LBB6_6367
; %bb.6360:                             ;   in Loop: Header=BB6_4515 Depth=2
	v_bfrev_b32_e32 v18, 1
	s_mov_b32 s11, exec_lo
	v_cmpx_ne_u16_e32 0x80, v9
	s_cbranch_execz .LBB6_6366
; %bb.6361:                             ;   in Loop: Header=BB6_4515 Depth=2
	v_and_b32_e32 v16, 0x7f, v101
	v_mov_b32_e32 v18, 0x7f800001
	s_mov_b32 s29, exec_lo
	s_delay_alu instid0(VALU_DEP_2)
	v_cmpx_ne_u32_e32 0x7f, v16
	s_cbranch_execz .LBB6_6365
; %bb.6362:                             ;   in Loop: Header=BB6_4515 Depth=2
	v_dual_lshrrev_b32 v9, 3, v16 :: v_dual_bitop2_b32 v54, 7, v9 bitop3:0x40
	v_cmp_gt_u32_e32 vcc_lo, 8, v16
	s_delay_alu instid0(VALU_DEP_2)
	v_mov_b64_e32 v[16:17], v[54:55]
	s_and_saveexec_b32 s40, vcc_lo
; %bb.6363:                             ;   in Loop: Header=BB6_4515 Depth=2
	v_clz_i32_u32_e32 v9, v54
	s_delay_alu instid0(VALU_DEP_1) | instskip(NEXT) | instid1(VALU_DEP_1)
	v_min_u32_e32 v9, 32, v9
	v_subrev_nc_u32_e32 v16, 28, v9
	s_delay_alu instid0(VALU_DEP_1) | instskip(NEXT) | instid1(VALU_DEP_1)
	v_lshlrev_b64_e32 v[16:17], v16, v[54:55]
	v_dual_sub_nc_u32 v9, 29, v9 :: v_dual_bitop2_b32 v16, 7, v16 bitop3:0x40
; %bb.6364:                             ;   in Loop: Header=BB6_4515 Depth=2
	s_or_b32 exec_lo, exec_lo, s40
	s_delay_alu instid0(VALU_DEP_1) | instskip(NEXT) | instid1(VALU_DEP_2)
	v_dual_lshlrev_b32 v17, 24, v101 :: v_dual_lshlrev_b32 v16, 20, v16
	v_lshl_add_u32 v9, v9, 23, 0x3c000000
	s_delay_alu instid0(VALU_DEP_2) | instskip(NEXT) | instid1(VALU_DEP_1)
	v_and_b32_e32 v17, 0x80000000, v17
	v_or3_b32 v18, v16, v17, v9
.LBB6_6365:                             ;   in Loop: Header=BB6_4515 Depth=2
	s_or_b32 exec_lo, exec_lo, s29
.LBB6_6366:                             ;   in Loop: Header=BB6_4515 Depth=2
	s_delay_alu instid0(SALU_CYCLE_1)
	s_or_b32 exec_lo, exec_lo, s11
.LBB6_6367:                             ;   in Loop: Header=BB6_4515 Depth=2
	s_delay_alu instid0(SALU_CYCLE_1) | instskip(NEXT) | instid1(VALU_DEP_1)
	s_or_b32 exec_lo, exec_lo, s10
	v_add_f32_e32 v16, v19, v18
                                        ; implicit-def: $vgpr9
	s_mov_b32 s10, exec_lo
	s_delay_alu instid0(VALU_DEP_1) | instskip(SKIP_1) | instid1(VALU_DEP_2)
	v_and_b32_e32 v54, 0x7f800000, v16
	v_lshrrev_b32_e32 v17, 24, v16
	v_cmpx_ne_u64_e32 0x7f800000, v[54:55]
	s_xor_b32 s11, exec_lo, s10
	s_cbranch_execz .LBB6_6385
; %bb.6368:                             ;   in Loop: Header=BB6_4515 Depth=2
	v_and_b32_e32 v54, 0x7fffffff, v16
	v_and_b32_e32 v101, 0x80, v17
                                        ; implicit-def: $vgpr9
	s_mov_b32 s10, exec_lo
	s_delay_alu instid0(VALU_DEP_2)
	v_cmpx_gt_u64_e32 0x43e00001, v[54:55]
	s_xor_b32 s29, exec_lo, s10
	s_cbranch_execz .LBB6_6382
; %bb.6369:                             ;   in Loop: Header=BB6_4515 Depth=2
	v_mov_b32_e32 v9, 0
	s_mov_b32 s40, exec_lo
	v_cmpx_ne_u32_e32 0, v16
	s_cbranch_execz .LBB6_6381
; %bb.6370:                             ;   in Loop: Header=BB6_4515 Depth=2
	v_bfe_u32 v9, v16, 23, 8
	v_and_b32_e32 v18, 0x7fffff, v16
	s_delay_alu instid0(VALU_DEP_2) | instskip(NEXT) | instid1(VALU_DEP_2)
	v_cmp_gt_u32_e32 vcc_lo, 0x7a, v9
	v_or_b32_e32 v19, 0x800000, v18
	v_sub_nc_u32_e32 v17, 0x79, v9
	s_delay_alu instid0(VALU_DEP_1) | instskip(SKIP_1) | instid1(VALU_DEP_2)
	v_cndmask_b32_e32 v17, 0, v17, vcc_lo
	v_cmp_eq_u32_e32 vcc_lo, 0, v9
	v_cndmask_b32_e64 v113, v17, 0x78, vcc_lo
	s_delay_alu instid0(VALU_DEP_1) | instskip(SKIP_1) | instid1(VALU_DEP_2)
	v_dual_cndmask_b32 v54, v19, v18, vcc_lo :: v_dual_add_nc_u32 v16, 20, v113
	v_add_nc_u32_e32 v115, 19, v113
	v_lshlrev_b64_e64 v[16:17], v16, -1
	s_delay_alu instid0(VALU_DEP_2) | instskip(NEXT) | instid1(VALU_DEP_2)
	v_lshlrev_b64_e64 v[18:19], v115, 1
	v_bfi_b32 v117, v17, 0, 0
	s_delay_alu instid0(VALU_DEP_3) | instskip(SKIP_1) | instid1(VALU_DEP_2)
	v_bfi_b32 v116, v16, 0, v54
	v_lshrrev_b64 v[16:17], v113, v[54:55]
	v_cmp_eq_u64_e64 s10, v[116:117], v[18:19]
	s_delay_alu instid0(VALU_DEP_2)
	v_mov_b64_e32 v[18:19], v[16:17]
	s_and_saveexec_b32 s41, s10
; %bb.6371:                             ;   in Loop: Header=BB6_4515 Depth=2
	v_bfe_u32 v54, v16, 20, 1
	s_delay_alu instid0(VALU_DEP_1) | instskip(NEXT) | instid1(VALU_DEP_1)
	v_add_nc_u64_e32 v[18:19], v[16:17], v[54:55]
	v_add_nc_u64_e32 v[18:19], -1, v[18:19]
; %bb.6372:                             ;   in Loop: Header=BB6_4515 Depth=2
	s_or_b32 exec_lo, exec_lo, s41
	v_add_nc_u32_e32 v9, 0xffffff81, v9
	v_lshrrev_b32_e32 v17, 23, v16
	s_mov_b32 s10, exec_lo
	s_delay_alu instid0(VALU_DEP_2) | instskip(NEXT) | instid1(VALU_DEP_1)
	v_cndmask_b32_e64 v9, v9, 0xffffff82, vcc_lo
	v_add3_u32 v9, v113, v9, v17
	v_and_b32_e32 v17, 0xfffff, v18
                                        ; implicit-def: $vgpr18
	s_delay_alu instid0(VALU_DEP_1) | instskip(NEXT) | instid1(VALU_DEP_1)
	v_dual_add_nc_u32 v19, 6, v9 :: v_dual_add_nc_u32 v54, v17, v16
                                        ; implicit-def: $vgpr16_vgpr17
	v_cmpx_ne_u32_e32 0, v19
	s_xor_b32 s10, exec_lo, s10
; %bb.6373:                             ;   in Loop: Header=BB6_4515 Depth=2
	s_delay_alu instid0(VALU_DEP_2) | instskip(SKIP_1) | instid1(VALU_DEP_1)
	v_cmp_lt_u64_e32 vcc_lo, 0xffffff, v[54:55]
	v_add_nc_u32_e32 v9, 7, v9
	v_cndmask_b32_e32 v18, v19, v9, vcc_lo
	v_cndmask_b32_e64 v9, 0, 1, vcc_lo
	s_delay_alu instid0(VALU_DEP_1)
	v_lshrrev_b64 v[16:17], v9, v[54:55]
; %bb.6374:                             ;   in Loop: Header=BB6_4515 Depth=2
	s_and_not1_saveexec_b32 s10, s10
; %bb.6375:                             ;   in Loop: Header=BB6_4515 Depth=2
	v_mov_b64_e32 v[16:17], v[54:55]
	v_bfe_u32 v18, v54, 23, 1
; %bb.6376:                             ;   in Loop: Header=BB6_4515 Depth=2
	s_or_b32 exec_lo, exec_lo, s10
	s_delay_alu instid0(VALU_DEP_2) | instskip(NEXT) | instid1(VALU_DEP_2)
	v_lshrrev_b64 v[16:17], 20, v[16:17]
	v_cmp_gt_i32_e32 vcc_lo, 16, v18
	v_cmp_ne_u32_e64 s10, 0, v18
                                        ; implicit-def: $vgpr9
	s_delay_alu instid0(VALU_DEP_3) | instskip(NEXT) | instid1(VALU_DEP_1)
	v_dual_cndmask_b32 v17, 0, v17 :: v_dual_cndmask_b32 v16, 7, v16
	v_cmp_ne_u64_e32 vcc_lo, 0, v[16:17]
	s_or_b32 s10, s10, vcc_lo
	s_delay_alu instid0(SALU_CYCLE_1) | instskip(NEXT) | instid1(SALU_CYCLE_1)
	s_and_saveexec_b32 s41, s10
	s_xor_b32 s10, exec_lo, s41
; %bb.6377:                             ;   in Loop: Header=BB6_4515 Depth=2
	v_min_i32_e32 v9, 15, v18
	s_delay_alu instid0(VALU_DEP_1) | instskip(NEXT) | instid1(VALU_DEP_1)
	v_lshl_or_b32 v9, v9, 3, v101
                                        ; implicit-def: $vgpr101
	v_and_or_b32 v9, v16, 7, v9
; %bb.6378:                             ;   in Loop: Header=BB6_4515 Depth=2
	s_and_not1_saveexec_b32 s10, s10
; %bb.6379:                             ;   in Loop: Header=BB6_4515 Depth=2
	v_mov_b32_e32 v9, v101
; %bb.6380:                             ;   in Loop: Header=BB6_4515 Depth=2
	s_or_b32 exec_lo, exec_lo, s10
.LBB6_6381:                             ;   in Loop: Header=BB6_4515 Depth=2
	s_delay_alu instid0(SALU_CYCLE_1)
	s_or_b32 exec_lo, exec_lo, s40
                                        ; implicit-def: $vgpr101
.LBB6_6382:                             ;   in Loop: Header=BB6_4515 Depth=2
	s_and_not1_saveexec_b32 s10, s29
; %bb.6383:                             ;   in Loop: Header=BB6_4515 Depth=2
	v_or_b32_e32 v9, 0x7e, v101
; %bb.6384:                             ;   in Loop: Header=BB6_4515 Depth=2
	s_or_b32 exec_lo, exec_lo, s10
                                        ; implicit-def: $vgpr17
.LBB6_6385:                             ;   in Loop: Header=BB6_4515 Depth=2
	s_and_not1_saveexec_b32 s10, s11
; %bb.6386:                             ;   in Loop: Header=BB6_4515 Depth=2
	v_or_b32_e32 v9, 0x7f, v17
; %bb.6387:                             ;   in Loop: Header=BB6_4515 Depth=2
	s_or_b32 exec_lo, exec_lo, s10
	v_and_b32_e32 v16, 0xff, v8
	v_dual_mov_b32 v18, 0 :: v_dual_mov_b32 v19, 0
	s_mov_b32 s10, exec_lo
	s_delay_alu instid0(VALU_DEP_2)
	v_cmpx_ne_u16_e32 0, v16
	s_cbranch_execz .LBB6_6395
; %bb.6388:                             ;   in Loop: Header=BB6_4515 Depth=2
	v_bfrev_b32_e32 v19, 1
	s_mov_b32 s11, exec_lo
	v_cmpx_ne_u16_e32 0x80, v16
	s_cbranch_execz .LBB6_6394
; %bb.6389:                             ;   in Loop: Header=BB6_4515 Depth=2
	v_and_b32_e32 v17, 0x7f, v8
	v_mov_b32_e32 v19, 0x7f800001
	s_mov_b32 s29, exec_lo
	s_delay_alu instid0(VALU_DEP_2)
	v_cmpx_ne_u32_e32 0x7f, v17
	s_cbranch_execz .LBB6_6393
; %bb.6390:                             ;   in Loop: Header=BB6_4515 Depth=2
	v_dual_lshrrev_b32 v19, 3, v17 :: v_dual_bitop2_b32 v54, 7, v16 bitop3:0x40
	v_cmp_gt_u32_e32 vcc_lo, 8, v17
	s_delay_alu instid0(VALU_DEP_2)
	v_mov_b64_e32 v[16:17], v[54:55]
	s_and_saveexec_b32 s40, vcc_lo
; %bb.6391:                             ;   in Loop: Header=BB6_4515 Depth=2
	v_clz_i32_u32_e32 v16, v54
	s_delay_alu instid0(VALU_DEP_1) | instskip(NEXT) | instid1(VALU_DEP_1)
	v_min_u32_e32 v19, 32, v16
	v_subrev_nc_u32_e32 v16, 28, v19
	s_delay_alu instid0(VALU_DEP_1) | instskip(NEXT) | instid1(VALU_DEP_1)
	v_lshlrev_b64_e32 v[16:17], v16, v[54:55]
	v_dual_sub_nc_u32 v19, 29, v19 :: v_dual_bitop2_b32 v16, 7, v16 bitop3:0x40
; %bb.6392:                             ;   in Loop: Header=BB6_4515 Depth=2
	s_or_b32 exec_lo, exec_lo, s40
	v_lshlrev_b32_e32 v8, 24, v8
	s_delay_alu instid0(VALU_DEP_2) | instskip(NEXT) | instid1(VALU_DEP_3)
	v_lshlrev_b32_e32 v16, 20, v16
	v_lshl_add_u32 v17, v19, 23, 0x3c000000
	s_delay_alu instid0(VALU_DEP_3) | instskip(NEXT) | instid1(VALU_DEP_1)
	v_and_b32_e32 v8, 0x80000000, v8
	v_or3_b32 v19, v16, v8, v17
.LBB6_6393:                             ;   in Loop: Header=BB6_4515 Depth=2
	s_or_b32 exec_lo, exec_lo, s29
.LBB6_6394:                             ;   in Loop: Header=BB6_4515 Depth=2
	s_delay_alu instid0(SALU_CYCLE_1)
	s_or_b32 exec_lo, exec_lo, s11
.LBB6_6395:                             ;   in Loop: Header=BB6_4515 Depth=2
	s_delay_alu instid0(SALU_CYCLE_1) | instskip(SKIP_3) | instid1(VALU_DEP_1)
	s_or_b32 exec_lo, exec_lo, s10
	s_wait_loadcnt_dscnt 0x404
	v_and_b32_e32 v8, 0xff, v67
	s_mov_b32 s10, exec_lo
	v_cmpx_ne_u16_e32 0, v8
	s_cbranch_execz .LBB6_6403
; %bb.6396:                             ;   in Loop: Header=BB6_4515 Depth=2
	v_bfrev_b32_e32 v18, 1
	s_mov_b32 s11, exec_lo
	v_cmpx_ne_u16_e32 0x80, v8
	s_cbranch_execz .LBB6_6402
; %bb.6397:                             ;   in Loop: Header=BB6_4515 Depth=2
	v_and_b32_e32 v16, 0x7f, v67
	v_mov_b32_e32 v18, 0x7f800001
	s_mov_b32 s29, exec_lo
	s_delay_alu instid0(VALU_DEP_2)
	v_cmpx_ne_u32_e32 0x7f, v16
	s_cbranch_execz .LBB6_6401
; %bb.6398:                             ;   in Loop: Header=BB6_4515 Depth=2
	v_and_b32_e32 v54, 7, v8
	v_lshrrev_b32_e32 v8, 3, v16
	v_cmp_gt_u32_e32 vcc_lo, 8, v16
	s_delay_alu instid0(VALU_DEP_3)
	v_mov_b64_e32 v[16:17], v[54:55]
	s_and_saveexec_b32 s40, vcc_lo
; %bb.6399:                             ;   in Loop: Header=BB6_4515 Depth=2
	v_clz_i32_u32_e32 v8, v54
	s_delay_alu instid0(VALU_DEP_1) | instskip(NEXT) | instid1(VALU_DEP_1)
	v_min_u32_e32 v8, 32, v8
	v_subrev_nc_u32_e32 v16, 28, v8
	v_sub_nc_u32_e32 v8, 29, v8
	s_delay_alu instid0(VALU_DEP_2) | instskip(NEXT) | instid1(VALU_DEP_1)
	v_lshlrev_b64_e32 v[16:17], v16, v[54:55]
	v_and_b32_e32 v16, 7, v16
; %bb.6400:                             ;   in Loop: Header=BB6_4515 Depth=2
	s_or_b32 exec_lo, exec_lo, s40
	s_delay_alu instid0(VALU_DEP_1) | instskip(SKIP_1) | instid1(VALU_DEP_2)
	v_dual_lshlrev_b32 v17, 24, v67 :: v_dual_lshlrev_b32 v16, 20, v16
	v_lshl_add_u32 v8, v8, 23, 0x3c000000
	v_and_b32_e32 v17, 0x80000000, v17
	s_delay_alu instid0(VALU_DEP_1)
	v_or3_b32 v18, v16, v17, v8
.LBB6_6401:                             ;   in Loop: Header=BB6_4515 Depth=2
	s_or_b32 exec_lo, exec_lo, s29
.LBB6_6402:                             ;   in Loop: Header=BB6_4515 Depth=2
	s_delay_alu instid0(SALU_CYCLE_1)
	s_or_b32 exec_lo, exec_lo, s11
.LBB6_6403:                             ;   in Loop: Header=BB6_4515 Depth=2
	s_delay_alu instid0(SALU_CYCLE_1) | instskip(NEXT) | instid1(VALU_DEP_1)
	s_or_b32 exec_lo, exec_lo, s10
	v_add_f32_e32 v16, v19, v18
                                        ; implicit-def: $vgpr8
	s_mov_b32 s10, exec_lo
	s_delay_alu instid0(VALU_DEP_1) | instskip(SKIP_1) | instid1(VALU_DEP_2)
	v_and_b32_e32 v54, 0x7f800000, v16
	v_lshrrev_b32_e32 v17, 24, v16
	v_cmpx_ne_u64_e32 0x7f800000, v[54:55]
	s_xor_b32 s11, exec_lo, s10
	s_cbranch_execz .LBB6_6421
; %bb.6404:                             ;   in Loop: Header=BB6_4515 Depth=2
	v_and_b32_e32 v54, 0x7fffffff, v16
	v_and_b32_e32 v67, 0x80, v17
                                        ; implicit-def: $vgpr8
	s_mov_b32 s10, exec_lo
	s_delay_alu instid0(VALU_DEP_2)
	v_cmpx_gt_u64_e32 0x43e00001, v[54:55]
	s_xor_b32 s29, exec_lo, s10
	s_cbranch_execz .LBB6_6418
; %bb.6405:                             ;   in Loop: Header=BB6_4515 Depth=2
	v_mov_b32_e32 v8, 0
	s_mov_b32 s40, exec_lo
	v_cmpx_ne_u32_e32 0, v16
	s_cbranch_execz .LBB6_6417
; %bb.6406:                             ;   in Loop: Header=BB6_4515 Depth=2
	v_bfe_u32 v8, v16, 23, 8
	v_and_b32_e32 v18, 0x7fffff, v16
	s_delay_alu instid0(VALU_DEP_2) | instskip(NEXT) | instid1(VALU_DEP_2)
	v_cmp_gt_u32_e32 vcc_lo, 0x7a, v8
	v_or_b32_e32 v19, 0x800000, v18
	v_sub_nc_u32_e32 v17, 0x79, v8
	s_delay_alu instid0(VALU_DEP_1) | instskip(SKIP_1) | instid1(VALU_DEP_2)
	v_cndmask_b32_e32 v17, 0, v17, vcc_lo
	v_cmp_eq_u32_e32 vcc_lo, 0, v8
	v_cndmask_b32_e64 v101, v17, 0x78, vcc_lo
	s_delay_alu instid0(VALU_DEP_1) | instskip(SKIP_1) | instid1(VALU_DEP_2)
	v_dual_cndmask_b32 v54, v19, v18, vcc_lo :: v_dual_add_nc_u32 v16, 20, v101
	v_add_nc_u32_e32 v113, 19, v101
	v_lshlrev_b64_e64 v[16:17], v16, -1
	s_delay_alu instid0(VALU_DEP_2) | instskip(NEXT) | instid1(VALU_DEP_2)
	v_lshlrev_b64_e64 v[18:19], v113, 1
	v_bfi_b32 v117, v17, 0, 0
	s_delay_alu instid0(VALU_DEP_3) | instskip(SKIP_1) | instid1(VALU_DEP_2)
	v_bfi_b32 v116, v16, 0, v54
	v_lshrrev_b64 v[16:17], v101, v[54:55]
	v_cmp_eq_u64_e64 s10, v[116:117], v[18:19]
	s_delay_alu instid0(VALU_DEP_2)
	v_mov_b64_e32 v[18:19], v[16:17]
	s_and_saveexec_b32 s41, s10
; %bb.6407:                             ;   in Loop: Header=BB6_4515 Depth=2
	v_bfe_u32 v54, v16, 20, 1
	s_delay_alu instid0(VALU_DEP_1) | instskip(NEXT) | instid1(VALU_DEP_1)
	v_add_nc_u64_e32 v[18:19], v[16:17], v[54:55]
	v_add_nc_u64_e32 v[18:19], -1, v[18:19]
; %bb.6408:                             ;   in Loop: Header=BB6_4515 Depth=2
	s_or_b32 exec_lo, exec_lo, s41
	v_add_nc_u32_e32 v8, 0xffffff81, v8
	v_lshrrev_b32_e32 v17, 23, v16
	s_mov_b32 s10, exec_lo
	s_delay_alu instid0(VALU_DEP_2) | instskip(NEXT) | instid1(VALU_DEP_1)
	v_cndmask_b32_e64 v8, v8, 0xffffff82, vcc_lo
	v_add3_u32 v8, v101, v8, v17
	v_and_b32_e32 v17, 0xfffff, v18
                                        ; implicit-def: $vgpr18
	s_delay_alu instid0(VALU_DEP_2) | instskip(NEXT) | instid1(VALU_DEP_2)
	v_add_nc_u32_e32 v19, 6, v8
	v_add_nc_u32_e32 v54, v17, v16
                                        ; implicit-def: $vgpr16_vgpr17
	s_delay_alu instid0(VALU_DEP_2)
	v_cmpx_ne_u32_e32 0, v19
	s_xor_b32 s10, exec_lo, s10
; %bb.6409:                             ;   in Loop: Header=BB6_4515 Depth=2
	s_delay_alu instid0(VALU_DEP_2) | instskip(SKIP_1) | instid1(VALU_DEP_1)
	v_cmp_lt_u64_e32 vcc_lo, 0xffffff, v[54:55]
	v_add_nc_u32_e32 v8, 7, v8
	v_cndmask_b32_e32 v18, v19, v8, vcc_lo
	v_cndmask_b32_e64 v8, 0, 1, vcc_lo
	s_delay_alu instid0(VALU_DEP_1)
	v_lshrrev_b64 v[16:17], v8, v[54:55]
; %bb.6410:                             ;   in Loop: Header=BB6_4515 Depth=2
	s_and_not1_saveexec_b32 s10, s10
; %bb.6411:                             ;   in Loop: Header=BB6_4515 Depth=2
	v_mov_b64_e32 v[16:17], v[54:55]
	v_bfe_u32 v18, v54, 23, 1
; %bb.6412:                             ;   in Loop: Header=BB6_4515 Depth=2
	s_or_b32 exec_lo, exec_lo, s10
	s_delay_alu instid0(VALU_DEP_2) | instskip(NEXT) | instid1(VALU_DEP_2)
	v_lshrrev_b64 v[16:17], 20, v[16:17]
	v_cmp_gt_i32_e32 vcc_lo, 16, v18
	v_cmp_ne_u32_e64 s10, 0, v18
                                        ; implicit-def: $vgpr8
	s_delay_alu instid0(VALU_DEP_3) | instskip(NEXT) | instid1(VALU_DEP_1)
	v_dual_cndmask_b32 v17, 0, v17 :: v_dual_cndmask_b32 v16, 7, v16
	v_cmp_ne_u64_e32 vcc_lo, 0, v[16:17]
	s_or_b32 s10, s10, vcc_lo
	s_delay_alu instid0(SALU_CYCLE_1) | instskip(NEXT) | instid1(SALU_CYCLE_1)
	s_and_saveexec_b32 s41, s10
	s_xor_b32 s10, exec_lo, s41
; %bb.6413:                             ;   in Loop: Header=BB6_4515 Depth=2
	v_min_i32_e32 v8, 15, v18
	s_delay_alu instid0(VALU_DEP_1) | instskip(NEXT) | instid1(VALU_DEP_1)
	v_lshl_or_b32 v8, v8, 3, v67
                                        ; implicit-def: $vgpr67
	v_and_or_b32 v8, v16, 7, v8
; %bb.6414:                             ;   in Loop: Header=BB6_4515 Depth=2
	s_and_not1_saveexec_b32 s10, s10
; %bb.6415:                             ;   in Loop: Header=BB6_4515 Depth=2
	v_mov_b32_e32 v8, v67
; %bb.6416:                             ;   in Loop: Header=BB6_4515 Depth=2
	s_or_b32 exec_lo, exec_lo, s10
.LBB6_6417:                             ;   in Loop: Header=BB6_4515 Depth=2
	s_delay_alu instid0(SALU_CYCLE_1)
	s_or_b32 exec_lo, exec_lo, s40
                                        ; implicit-def: $vgpr67
.LBB6_6418:                             ;   in Loop: Header=BB6_4515 Depth=2
	s_and_not1_saveexec_b32 s10, s29
; %bb.6419:                             ;   in Loop: Header=BB6_4515 Depth=2
	v_or_b32_e32 v8, 0x7e, v67
; %bb.6420:                             ;   in Loop: Header=BB6_4515 Depth=2
	s_or_b32 exec_lo, exec_lo, s10
                                        ; implicit-def: $vgpr17
.LBB6_6421:                             ;   in Loop: Header=BB6_4515 Depth=2
	s_and_not1_saveexec_b32 s10, s11
; %bb.6422:                             ;   in Loop: Header=BB6_4515 Depth=2
	v_or_b32_e32 v8, 0x7f, v17
; %bb.6423:                             ;   in Loop: Header=BB6_4515 Depth=2
	s_or_b32 exec_lo, exec_lo, s10
	v_and_b32_e32 v16, 0xff, v7
	v_dual_mov_b32 v18, 0 :: v_dual_mov_b32 v19, 0
	s_mov_b32 s10, exec_lo
	s_delay_alu instid0(VALU_DEP_2)
	v_cmpx_ne_u16_e32 0, v16
	s_cbranch_execz .LBB6_6431
; %bb.6424:                             ;   in Loop: Header=BB6_4515 Depth=2
	v_bfrev_b32_e32 v19, 1
	s_mov_b32 s11, exec_lo
	v_cmpx_ne_u16_e32 0x80, v16
	s_cbranch_execz .LBB6_6430
; %bb.6425:                             ;   in Loop: Header=BB6_4515 Depth=2
	v_and_b32_e32 v17, 0x7f, v7
	v_mov_b32_e32 v19, 0x7f800001
	s_mov_b32 s29, exec_lo
	s_delay_alu instid0(VALU_DEP_2)
	v_cmpx_ne_u32_e32 0x7f, v17
	s_cbranch_execz .LBB6_6429
; %bb.6426:                             ;   in Loop: Header=BB6_4515 Depth=2
	v_dual_lshrrev_b32 v19, 3, v17 :: v_dual_bitop2_b32 v54, 7, v16 bitop3:0x40
	v_cmp_gt_u32_e32 vcc_lo, 8, v17
	s_delay_alu instid0(VALU_DEP_2)
	v_mov_b64_e32 v[16:17], v[54:55]
	s_and_saveexec_b32 s40, vcc_lo
; %bb.6427:                             ;   in Loop: Header=BB6_4515 Depth=2
	v_clz_i32_u32_e32 v16, v54
	s_delay_alu instid0(VALU_DEP_1) | instskip(NEXT) | instid1(VALU_DEP_1)
	v_min_u32_e32 v19, 32, v16
	v_subrev_nc_u32_e32 v16, 28, v19
	s_delay_alu instid0(VALU_DEP_1) | instskip(NEXT) | instid1(VALU_DEP_1)
	v_lshlrev_b64_e32 v[16:17], v16, v[54:55]
	v_dual_sub_nc_u32 v19, 29, v19 :: v_dual_bitop2_b32 v16, 7, v16 bitop3:0x40
; %bb.6428:                             ;   in Loop: Header=BB6_4515 Depth=2
	s_or_b32 exec_lo, exec_lo, s40
	s_delay_alu instid0(VALU_DEP_1) | instskip(NEXT) | instid1(VALU_DEP_2)
	v_dual_lshlrev_b32 v7, 24, v7 :: v_dual_lshlrev_b32 v16, 20, v16
	v_lshl_add_u32 v17, v19, 23, 0x3c000000
	s_delay_alu instid0(VALU_DEP_2) | instskip(NEXT) | instid1(VALU_DEP_1)
	v_and_b32_e32 v7, 0x80000000, v7
	v_or3_b32 v19, v16, v7, v17
.LBB6_6429:                             ;   in Loop: Header=BB6_4515 Depth=2
	s_or_b32 exec_lo, exec_lo, s29
.LBB6_6430:                             ;   in Loop: Header=BB6_4515 Depth=2
	s_delay_alu instid0(SALU_CYCLE_1)
	s_or_b32 exec_lo, exec_lo, s11
.LBB6_6431:                             ;   in Loop: Header=BB6_4515 Depth=2
	s_delay_alu instid0(SALU_CYCLE_1) | instskip(SKIP_3) | instid1(VALU_DEP_1)
	s_or_b32 exec_lo, exec_lo, s10
	s_wait_loadcnt_dscnt 0x303
	v_and_b32_e32 v7, 0xff, v39
	s_mov_b32 s10, exec_lo
	v_cmpx_ne_u16_e32 0, v7
	s_cbranch_execz .LBB6_6439
; %bb.6432:                             ;   in Loop: Header=BB6_4515 Depth=2
	v_bfrev_b32_e32 v18, 1
	s_mov_b32 s11, exec_lo
	v_cmpx_ne_u16_e32 0x80, v7
	s_cbranch_execz .LBB6_6438
; %bb.6433:                             ;   in Loop: Header=BB6_4515 Depth=2
	v_and_b32_e32 v16, 0x7f, v39
	v_mov_b32_e32 v18, 0x7f800001
	s_mov_b32 s29, exec_lo
	s_delay_alu instid0(VALU_DEP_2)
	v_cmpx_ne_u32_e32 0x7f, v16
	s_cbranch_execz .LBB6_6437
; %bb.6434:                             ;   in Loop: Header=BB6_4515 Depth=2
	v_dual_lshrrev_b32 v7, 3, v16 :: v_dual_bitop2_b32 v54, 7, v7 bitop3:0x40
	v_cmp_gt_u32_e32 vcc_lo, 8, v16
	s_delay_alu instid0(VALU_DEP_2)
	v_mov_b64_e32 v[16:17], v[54:55]
	s_and_saveexec_b32 s40, vcc_lo
; %bb.6435:                             ;   in Loop: Header=BB6_4515 Depth=2
	v_clz_i32_u32_e32 v7, v54
	s_delay_alu instid0(VALU_DEP_1) | instskip(NEXT) | instid1(VALU_DEP_1)
	v_min_u32_e32 v7, 32, v7
	v_subrev_nc_u32_e32 v16, 28, v7
	s_delay_alu instid0(VALU_DEP_1) | instskip(NEXT) | instid1(VALU_DEP_1)
	v_lshlrev_b64_e32 v[16:17], v16, v[54:55]
	v_dual_sub_nc_u32 v7, 29, v7 :: v_dual_bitop2_b32 v16, 7, v16 bitop3:0x40
; %bb.6436:                             ;   in Loop: Header=BB6_4515 Depth=2
	s_or_b32 exec_lo, exec_lo, s40
	s_delay_alu instid0(VALU_DEP_1) | instskip(NEXT) | instid1(VALU_DEP_2)
	v_dual_lshlrev_b32 v17, 24, v39 :: v_dual_lshlrev_b32 v16, 20, v16
	v_lshl_add_u32 v7, v7, 23, 0x3c000000
	s_delay_alu instid0(VALU_DEP_2) | instskip(NEXT) | instid1(VALU_DEP_1)
	v_and_b32_e32 v17, 0x80000000, v17
	v_or3_b32 v18, v16, v17, v7
.LBB6_6437:                             ;   in Loop: Header=BB6_4515 Depth=2
	s_or_b32 exec_lo, exec_lo, s29
.LBB6_6438:                             ;   in Loop: Header=BB6_4515 Depth=2
	s_delay_alu instid0(SALU_CYCLE_1)
	s_or_b32 exec_lo, exec_lo, s11
.LBB6_6439:                             ;   in Loop: Header=BB6_4515 Depth=2
	s_delay_alu instid0(SALU_CYCLE_1) | instskip(NEXT) | instid1(VALU_DEP_1)
	s_or_b32 exec_lo, exec_lo, s10
	v_add_f32_e32 v16, v19, v18
                                        ; implicit-def: $vgpr7
	s_mov_b32 s10, exec_lo
	s_delay_alu instid0(VALU_DEP_1) | instskip(SKIP_1) | instid1(VALU_DEP_2)
	v_and_b32_e32 v54, 0x7f800000, v16
	v_lshrrev_b32_e32 v17, 24, v16
	v_cmpx_ne_u64_e32 0x7f800000, v[54:55]
	s_xor_b32 s11, exec_lo, s10
	s_cbranch_execz .LBB6_6457
; %bb.6440:                             ;   in Loop: Header=BB6_4515 Depth=2
	v_and_b32_e32 v54, 0x7fffffff, v16
	v_and_b32_e32 v39, 0x80, v17
                                        ; implicit-def: $vgpr7
	s_mov_b32 s10, exec_lo
	s_delay_alu instid0(VALU_DEP_2)
	v_cmpx_gt_u64_e32 0x43e00001, v[54:55]
	s_xor_b32 s29, exec_lo, s10
	s_cbranch_execz .LBB6_6454
; %bb.6441:                             ;   in Loop: Header=BB6_4515 Depth=2
	v_mov_b32_e32 v7, 0
	s_mov_b32 s40, exec_lo
	v_cmpx_ne_u32_e32 0, v16
	s_cbranch_execz .LBB6_6453
; %bb.6442:                             ;   in Loop: Header=BB6_4515 Depth=2
	v_bfe_u32 v7, v16, 23, 8
	v_and_b32_e32 v18, 0x7fffff, v16
	s_delay_alu instid0(VALU_DEP_2) | instskip(NEXT) | instid1(VALU_DEP_2)
	v_cmp_gt_u32_e32 vcc_lo, 0x7a, v7
	v_or_b32_e32 v19, 0x800000, v18
	v_sub_nc_u32_e32 v17, 0x79, v7
	s_delay_alu instid0(VALU_DEP_1) | instskip(SKIP_1) | instid1(VALU_DEP_2)
	v_cndmask_b32_e32 v17, 0, v17, vcc_lo
	v_cmp_eq_u32_e32 vcc_lo, 0, v7
	v_cndmask_b32_e64 v67, v17, 0x78, vcc_lo
	s_delay_alu instid0(VALU_DEP_1) | instskip(SKIP_1) | instid1(VALU_DEP_2)
	v_dual_cndmask_b32 v54, v19, v18, vcc_lo :: v_dual_add_nc_u32 v16, 20, v67
	v_add_nc_u32_e32 v101, 19, v67
	v_lshlrev_b64_e64 v[16:17], v16, -1
	s_delay_alu instid0(VALU_DEP_2) | instskip(NEXT) | instid1(VALU_DEP_2)
	v_lshlrev_b64_e64 v[18:19], v101, 1
	v_bfi_b32 v117, v17, 0, 0
	s_delay_alu instid0(VALU_DEP_3) | instskip(SKIP_1) | instid1(VALU_DEP_2)
	v_bfi_b32 v116, v16, 0, v54
	v_lshrrev_b64 v[16:17], v67, v[54:55]
	v_cmp_eq_u64_e64 s10, v[116:117], v[18:19]
	s_delay_alu instid0(VALU_DEP_2)
	v_mov_b64_e32 v[18:19], v[16:17]
	s_and_saveexec_b32 s41, s10
; %bb.6443:                             ;   in Loop: Header=BB6_4515 Depth=2
	v_bfe_u32 v54, v16, 20, 1
	s_delay_alu instid0(VALU_DEP_1) | instskip(NEXT) | instid1(VALU_DEP_1)
	v_add_nc_u64_e32 v[18:19], v[16:17], v[54:55]
	v_add_nc_u64_e32 v[18:19], -1, v[18:19]
; %bb.6444:                             ;   in Loop: Header=BB6_4515 Depth=2
	s_or_b32 exec_lo, exec_lo, s41
	v_add_nc_u32_e32 v7, 0xffffff81, v7
	v_lshrrev_b32_e32 v17, 23, v16
	s_mov_b32 s10, exec_lo
	s_delay_alu instid0(VALU_DEP_2) | instskip(NEXT) | instid1(VALU_DEP_1)
	v_cndmask_b32_e64 v7, v7, 0xffffff82, vcc_lo
	v_add3_u32 v7, v67, v7, v17
	v_and_b32_e32 v17, 0xfffff, v18
                                        ; implicit-def: $vgpr18
	s_delay_alu instid0(VALU_DEP_1) | instskip(NEXT) | instid1(VALU_DEP_1)
	v_dual_add_nc_u32 v19, 6, v7 :: v_dual_add_nc_u32 v54, v17, v16
                                        ; implicit-def: $vgpr16_vgpr17
	v_cmpx_ne_u32_e32 0, v19
	s_xor_b32 s10, exec_lo, s10
; %bb.6445:                             ;   in Loop: Header=BB6_4515 Depth=2
	s_delay_alu instid0(VALU_DEP_2) | instskip(SKIP_1) | instid1(VALU_DEP_1)
	v_cmp_lt_u64_e32 vcc_lo, 0xffffff, v[54:55]
	v_add_nc_u32_e32 v7, 7, v7
	v_cndmask_b32_e32 v18, v19, v7, vcc_lo
	v_cndmask_b32_e64 v7, 0, 1, vcc_lo
	s_delay_alu instid0(VALU_DEP_1)
	v_lshrrev_b64 v[16:17], v7, v[54:55]
; %bb.6446:                             ;   in Loop: Header=BB6_4515 Depth=2
	s_and_not1_saveexec_b32 s10, s10
; %bb.6447:                             ;   in Loop: Header=BB6_4515 Depth=2
	v_mov_b64_e32 v[16:17], v[54:55]
	v_bfe_u32 v18, v54, 23, 1
; %bb.6448:                             ;   in Loop: Header=BB6_4515 Depth=2
	s_or_b32 exec_lo, exec_lo, s10
	s_delay_alu instid0(VALU_DEP_2) | instskip(NEXT) | instid1(VALU_DEP_2)
	v_lshrrev_b64 v[16:17], 20, v[16:17]
	v_cmp_gt_i32_e32 vcc_lo, 16, v18
	v_cmp_ne_u32_e64 s10, 0, v18
                                        ; implicit-def: $vgpr7
	s_delay_alu instid0(VALU_DEP_3) | instskip(NEXT) | instid1(VALU_DEP_1)
	v_dual_cndmask_b32 v17, 0, v17 :: v_dual_cndmask_b32 v16, 7, v16
	v_cmp_ne_u64_e32 vcc_lo, 0, v[16:17]
	s_or_b32 s10, s10, vcc_lo
	s_delay_alu instid0(SALU_CYCLE_1) | instskip(NEXT) | instid1(SALU_CYCLE_1)
	s_and_saveexec_b32 s41, s10
	s_xor_b32 s10, exec_lo, s41
; %bb.6449:                             ;   in Loop: Header=BB6_4515 Depth=2
	v_min_i32_e32 v7, 15, v18
	s_delay_alu instid0(VALU_DEP_1) | instskip(NEXT) | instid1(VALU_DEP_1)
	v_lshl_or_b32 v7, v7, 3, v39
                                        ; implicit-def: $vgpr39
	v_and_or_b32 v7, v16, 7, v7
; %bb.6450:                             ;   in Loop: Header=BB6_4515 Depth=2
	s_and_not1_saveexec_b32 s10, s10
; %bb.6451:                             ;   in Loop: Header=BB6_4515 Depth=2
	v_mov_b32_e32 v7, v39
; %bb.6452:                             ;   in Loop: Header=BB6_4515 Depth=2
	s_or_b32 exec_lo, exec_lo, s10
.LBB6_6453:                             ;   in Loop: Header=BB6_4515 Depth=2
	s_delay_alu instid0(SALU_CYCLE_1)
	s_or_b32 exec_lo, exec_lo, s40
                                        ; implicit-def: $vgpr39
.LBB6_6454:                             ;   in Loop: Header=BB6_4515 Depth=2
	s_and_not1_saveexec_b32 s10, s29
; %bb.6455:                             ;   in Loop: Header=BB6_4515 Depth=2
	v_or_b32_e32 v7, 0x7e, v39
; %bb.6456:                             ;   in Loop: Header=BB6_4515 Depth=2
	s_or_b32 exec_lo, exec_lo, s10
                                        ; implicit-def: $vgpr17
.LBB6_6457:                             ;   in Loop: Header=BB6_4515 Depth=2
	s_and_not1_saveexec_b32 s10, s11
; %bb.6458:                             ;   in Loop: Header=BB6_4515 Depth=2
	v_or_b32_e32 v7, 0x7f, v17
; %bb.6459:                             ;   in Loop: Header=BB6_4515 Depth=2
	s_or_b32 exec_lo, exec_lo, s10
	v_and_b32_e32 v16, 0xff, v6
	v_dual_mov_b32 v18, 0 :: v_dual_mov_b32 v19, 0
	s_mov_b32 s10, exec_lo
	s_delay_alu instid0(VALU_DEP_2)
	v_cmpx_ne_u16_e32 0, v16
	s_cbranch_execz .LBB6_6467
; %bb.6460:                             ;   in Loop: Header=BB6_4515 Depth=2
	v_bfrev_b32_e32 v19, 1
	s_mov_b32 s11, exec_lo
	v_cmpx_ne_u16_e32 0x80, v16
	s_cbranch_execz .LBB6_6466
; %bb.6461:                             ;   in Loop: Header=BB6_4515 Depth=2
	v_and_b32_e32 v17, 0x7f, v6
	v_mov_b32_e32 v19, 0x7f800001
	s_mov_b32 s29, exec_lo
	s_delay_alu instid0(VALU_DEP_2)
	v_cmpx_ne_u32_e32 0x7f, v17
	s_cbranch_execz .LBB6_6465
; %bb.6462:                             ;   in Loop: Header=BB6_4515 Depth=2
	v_dual_lshrrev_b32 v19, 3, v17 :: v_dual_bitop2_b32 v54, 7, v16 bitop3:0x40
	v_cmp_gt_u32_e32 vcc_lo, 8, v17
	s_delay_alu instid0(VALU_DEP_2)
	v_mov_b64_e32 v[16:17], v[54:55]
	s_and_saveexec_b32 s40, vcc_lo
; %bb.6463:                             ;   in Loop: Header=BB6_4515 Depth=2
	v_clz_i32_u32_e32 v16, v54
	s_delay_alu instid0(VALU_DEP_1) | instskip(NEXT) | instid1(VALU_DEP_1)
	v_min_u32_e32 v19, 32, v16
	v_subrev_nc_u32_e32 v16, 28, v19
	s_delay_alu instid0(VALU_DEP_1) | instskip(NEXT) | instid1(VALU_DEP_1)
	v_lshlrev_b64_e32 v[16:17], v16, v[54:55]
	v_dual_sub_nc_u32 v19, 29, v19 :: v_dual_bitop2_b32 v16, 7, v16 bitop3:0x40
; %bb.6464:                             ;   in Loop: Header=BB6_4515 Depth=2
	s_or_b32 exec_lo, exec_lo, s40
	s_delay_alu instid0(VALU_DEP_1) | instskip(NEXT) | instid1(VALU_DEP_2)
	v_dual_lshlrev_b32 v6, 24, v6 :: v_dual_lshlrev_b32 v16, 20, v16
	v_lshl_add_u32 v17, v19, 23, 0x3c000000
	s_delay_alu instid0(VALU_DEP_2) | instskip(NEXT) | instid1(VALU_DEP_1)
	v_and_b32_e32 v6, 0x80000000, v6
	v_or3_b32 v19, v16, v6, v17
.LBB6_6465:                             ;   in Loop: Header=BB6_4515 Depth=2
	s_or_b32 exec_lo, exec_lo, s29
.LBB6_6466:                             ;   in Loop: Header=BB6_4515 Depth=2
	s_delay_alu instid0(SALU_CYCLE_1)
	s_or_b32 exec_lo, exec_lo, s11
.LBB6_6467:                             ;   in Loop: Header=BB6_4515 Depth=2
	s_delay_alu instid0(SALU_CYCLE_1) | instskip(SKIP_3) | instid1(VALU_DEP_1)
	s_or_b32 exec_lo, exec_lo, s10
	s_wait_loadcnt_dscnt 0x202
	v_and_b32_e32 v6, 0xff, v30
	s_mov_b32 s10, exec_lo
	v_cmpx_ne_u16_e32 0, v6
	s_cbranch_execz .LBB6_6475
; %bb.6468:                             ;   in Loop: Header=BB6_4515 Depth=2
	v_bfrev_b32_e32 v18, 1
	s_mov_b32 s11, exec_lo
	v_cmpx_ne_u16_e32 0x80, v6
	s_cbranch_execz .LBB6_6474
; %bb.6469:                             ;   in Loop: Header=BB6_4515 Depth=2
	v_and_b32_e32 v16, 0x7f, v30
	v_mov_b32_e32 v18, 0x7f800001
	s_mov_b32 s29, exec_lo
	s_delay_alu instid0(VALU_DEP_2)
	v_cmpx_ne_u32_e32 0x7f, v16
	s_cbranch_execz .LBB6_6473
; %bb.6470:                             ;   in Loop: Header=BB6_4515 Depth=2
	v_dual_lshrrev_b32 v6, 3, v16 :: v_dual_bitop2_b32 v54, 7, v6 bitop3:0x40
	v_cmp_gt_u32_e32 vcc_lo, 8, v16
	s_delay_alu instid0(VALU_DEP_2)
	v_mov_b64_e32 v[16:17], v[54:55]
	s_and_saveexec_b32 s40, vcc_lo
; %bb.6471:                             ;   in Loop: Header=BB6_4515 Depth=2
	v_clz_i32_u32_e32 v6, v54
	s_delay_alu instid0(VALU_DEP_1) | instskip(NEXT) | instid1(VALU_DEP_1)
	v_min_u32_e32 v6, 32, v6
	v_subrev_nc_u32_e32 v16, 28, v6
	s_delay_alu instid0(VALU_DEP_1) | instskip(NEXT) | instid1(VALU_DEP_1)
	v_lshlrev_b64_e32 v[16:17], v16, v[54:55]
	v_dual_sub_nc_u32 v6, 29, v6 :: v_dual_bitop2_b32 v16, 7, v16 bitop3:0x40
; %bb.6472:                             ;   in Loop: Header=BB6_4515 Depth=2
	s_or_b32 exec_lo, exec_lo, s40
	s_delay_alu instid0(VALU_DEP_1) | instskip(NEXT) | instid1(VALU_DEP_2)
	v_dual_lshlrev_b32 v17, 24, v30 :: v_dual_lshlrev_b32 v16, 20, v16
	v_lshl_add_u32 v6, v6, 23, 0x3c000000
	s_delay_alu instid0(VALU_DEP_2) | instskip(NEXT) | instid1(VALU_DEP_1)
	v_and_b32_e32 v17, 0x80000000, v17
	v_or3_b32 v18, v16, v17, v6
.LBB6_6473:                             ;   in Loop: Header=BB6_4515 Depth=2
	s_or_b32 exec_lo, exec_lo, s29
.LBB6_6474:                             ;   in Loop: Header=BB6_4515 Depth=2
	s_delay_alu instid0(SALU_CYCLE_1)
	s_or_b32 exec_lo, exec_lo, s11
.LBB6_6475:                             ;   in Loop: Header=BB6_4515 Depth=2
	s_delay_alu instid0(SALU_CYCLE_1) | instskip(NEXT) | instid1(VALU_DEP_1)
	s_or_b32 exec_lo, exec_lo, s10
	v_add_f32_e32 v16, v19, v18
                                        ; implicit-def: $vgpr6
	s_mov_b32 s10, exec_lo
	s_delay_alu instid0(VALU_DEP_1) | instskip(SKIP_1) | instid1(VALU_DEP_2)
	v_and_b32_e32 v54, 0x7f800000, v16
	v_lshrrev_b32_e32 v17, 24, v16
	v_cmpx_ne_u64_e32 0x7f800000, v[54:55]
	s_xor_b32 s11, exec_lo, s10
	s_cbranch_execz .LBB6_6493
; %bb.6476:                             ;   in Loop: Header=BB6_4515 Depth=2
	v_and_b32_e32 v54, 0x7fffffff, v16
	v_and_b32_e32 v30, 0x80, v17
                                        ; implicit-def: $vgpr6
	s_mov_b32 s10, exec_lo
	s_delay_alu instid0(VALU_DEP_2)
	v_cmpx_gt_u64_e32 0x43e00001, v[54:55]
	s_xor_b32 s29, exec_lo, s10
	s_cbranch_execz .LBB6_6490
; %bb.6477:                             ;   in Loop: Header=BB6_4515 Depth=2
	v_mov_b32_e32 v6, 0
	s_mov_b32 s40, exec_lo
	v_cmpx_ne_u32_e32 0, v16
	s_cbranch_execz .LBB6_6489
; %bb.6478:                             ;   in Loop: Header=BB6_4515 Depth=2
	v_bfe_u32 v6, v16, 23, 8
	v_and_b32_e32 v18, 0x7fffff, v16
	s_delay_alu instid0(VALU_DEP_2) | instskip(SKIP_1) | instid1(VALU_DEP_3)
	v_sub_nc_u32_e32 v17, 0x79, v6
	v_cmp_gt_u32_e32 vcc_lo, 0x7a, v6
	v_or_b32_e32 v19, 0x800000, v18
	s_delay_alu instid0(VALU_DEP_3) | instskip(SKIP_1) | instid1(VALU_DEP_2)
	v_cndmask_b32_e32 v17, 0, v17, vcc_lo
	v_cmp_eq_u32_e32 vcc_lo, 0, v6
	v_cndmask_b32_e64 v39, v17, 0x78, vcc_lo
	s_delay_alu instid0(VALU_DEP_1) | instskip(SKIP_1) | instid1(VALU_DEP_2)
	v_dual_cndmask_b32 v54, v19, v18 :: v_dual_add_nc_u32 v67, 19, v39
	v_add_nc_u32_e32 v16, 20, v39
	v_lshlrev_b64_e64 v[18:19], v67, 1
	s_delay_alu instid0(VALU_DEP_2) | instskip(NEXT) | instid1(VALU_DEP_1)
	v_lshlrev_b64_e64 v[16:17], v16, -1
	v_bfi_b32 v117, v17, 0, 0
	s_delay_alu instid0(VALU_DEP_2) | instskip(SKIP_1) | instid1(VALU_DEP_2)
	v_bfi_b32 v116, v16, 0, v54
	v_lshrrev_b64 v[16:17], v39, v[54:55]
	v_cmp_eq_u64_e64 s10, v[116:117], v[18:19]
	s_delay_alu instid0(VALU_DEP_2)
	v_mov_b64_e32 v[18:19], v[16:17]
	s_and_saveexec_b32 s41, s10
; %bb.6479:                             ;   in Loop: Header=BB6_4515 Depth=2
	v_bfe_u32 v54, v16, 20, 1
	s_delay_alu instid0(VALU_DEP_1) | instskip(NEXT) | instid1(VALU_DEP_1)
	v_add_nc_u64_e32 v[18:19], v[16:17], v[54:55]
	v_add_nc_u64_e32 v[18:19], -1, v[18:19]
; %bb.6480:                             ;   in Loop: Header=BB6_4515 Depth=2
	s_or_b32 exec_lo, exec_lo, s41
	v_add_nc_u32_e32 v6, 0xffffff81, v6
	v_lshrrev_b32_e32 v17, 23, v16
	s_mov_b32 s10, exec_lo
	s_delay_alu instid0(VALU_DEP_2) | instskip(NEXT) | instid1(VALU_DEP_1)
	v_cndmask_b32_e64 v6, v6, 0xffffff82, vcc_lo
	v_add3_u32 v6, v39, v6, v17
	v_and_b32_e32 v17, 0xfffff, v18
                                        ; implicit-def: $vgpr18
	s_delay_alu instid0(VALU_DEP_1) | instskip(NEXT) | instid1(VALU_DEP_1)
	v_dual_add_nc_u32 v19, 6, v6 :: v_dual_add_nc_u32 v54, v17, v16
                                        ; implicit-def: $vgpr16_vgpr17
	v_cmpx_ne_u32_e32 0, v19
	s_xor_b32 s10, exec_lo, s10
; %bb.6481:                             ;   in Loop: Header=BB6_4515 Depth=2
	s_delay_alu instid0(VALU_DEP_2) | instskip(SKIP_1) | instid1(VALU_DEP_1)
	v_cmp_lt_u64_e32 vcc_lo, 0xffffff, v[54:55]
	v_add_nc_u32_e32 v6, 7, v6
	v_cndmask_b32_e32 v18, v19, v6, vcc_lo
	v_cndmask_b32_e64 v6, 0, 1, vcc_lo
	s_delay_alu instid0(VALU_DEP_1)
	v_lshrrev_b64 v[16:17], v6, v[54:55]
; %bb.6482:                             ;   in Loop: Header=BB6_4515 Depth=2
	s_and_not1_saveexec_b32 s10, s10
; %bb.6483:                             ;   in Loop: Header=BB6_4515 Depth=2
	v_mov_b64_e32 v[16:17], v[54:55]
	v_bfe_u32 v18, v54, 23, 1
; %bb.6484:                             ;   in Loop: Header=BB6_4515 Depth=2
	s_or_b32 exec_lo, exec_lo, s10
	s_delay_alu instid0(VALU_DEP_2) | instskip(NEXT) | instid1(VALU_DEP_2)
	v_lshrrev_b64 v[16:17], 20, v[16:17]
	v_cmp_gt_i32_e32 vcc_lo, 16, v18
	v_cmp_ne_u32_e64 s10, 0, v18
                                        ; implicit-def: $vgpr6
	s_delay_alu instid0(VALU_DEP_3) | instskip(NEXT) | instid1(VALU_DEP_1)
	v_dual_cndmask_b32 v17, 0, v17 :: v_dual_cndmask_b32 v16, 7, v16
	v_cmp_ne_u64_e32 vcc_lo, 0, v[16:17]
	s_or_b32 s10, s10, vcc_lo
	s_delay_alu instid0(SALU_CYCLE_1) | instskip(NEXT) | instid1(SALU_CYCLE_1)
	s_and_saveexec_b32 s41, s10
	s_xor_b32 s10, exec_lo, s41
; %bb.6485:                             ;   in Loop: Header=BB6_4515 Depth=2
	v_min_i32_e32 v6, 15, v18
	s_delay_alu instid0(VALU_DEP_1) | instskip(NEXT) | instid1(VALU_DEP_1)
	v_lshl_or_b32 v6, v6, 3, v30
                                        ; implicit-def: $vgpr30
	v_and_or_b32 v6, v16, 7, v6
; %bb.6486:                             ;   in Loop: Header=BB6_4515 Depth=2
	s_and_not1_saveexec_b32 s10, s10
; %bb.6487:                             ;   in Loop: Header=BB6_4515 Depth=2
	v_mov_b32_e32 v6, v30
; %bb.6488:                             ;   in Loop: Header=BB6_4515 Depth=2
	s_or_b32 exec_lo, exec_lo, s10
.LBB6_6489:                             ;   in Loop: Header=BB6_4515 Depth=2
	s_delay_alu instid0(SALU_CYCLE_1)
	s_or_b32 exec_lo, exec_lo, s40
                                        ; implicit-def: $vgpr30
.LBB6_6490:                             ;   in Loop: Header=BB6_4515 Depth=2
	s_and_not1_saveexec_b32 s10, s29
; %bb.6491:                             ;   in Loop: Header=BB6_4515 Depth=2
	v_or_b32_e32 v6, 0x7e, v30
; %bb.6492:                             ;   in Loop: Header=BB6_4515 Depth=2
	s_or_b32 exec_lo, exec_lo, s10
                                        ; implicit-def: $vgpr17
.LBB6_6493:                             ;   in Loop: Header=BB6_4515 Depth=2
	s_and_not1_saveexec_b32 s10, s11
; %bb.6494:                             ;   in Loop: Header=BB6_4515 Depth=2
	v_or_b32_e32 v6, 0x7f, v17
; %bb.6495:                             ;   in Loop: Header=BB6_4515 Depth=2
	s_or_b32 exec_lo, exec_lo, s10
	v_and_b32_e32 v16, 0xff, v4
	v_dual_mov_b32 v18, 0 :: v_dual_mov_b32 v19, 0
	s_mov_b32 s10, exec_lo
	s_delay_alu instid0(VALU_DEP_2)
	v_cmpx_ne_u16_e32 0, v16
	s_cbranch_execz .LBB6_6503
; %bb.6496:                             ;   in Loop: Header=BB6_4515 Depth=2
	v_bfrev_b32_e32 v19, 1
	s_mov_b32 s11, exec_lo
	v_cmpx_ne_u16_e32 0x80, v16
	s_cbranch_execz .LBB6_6502
; %bb.6497:                             ;   in Loop: Header=BB6_4515 Depth=2
	v_and_b32_e32 v17, 0x7f, v4
	v_mov_b32_e32 v19, 0x7f800001
	s_mov_b32 s29, exec_lo
	s_delay_alu instid0(VALU_DEP_2)
	v_cmpx_ne_u32_e32 0x7f, v17
	s_cbranch_execz .LBB6_6501
; %bb.6498:                             ;   in Loop: Header=BB6_4515 Depth=2
	v_dual_lshrrev_b32 v19, 3, v17 :: v_dual_bitop2_b32 v54, 7, v16 bitop3:0x40
	v_cmp_gt_u32_e32 vcc_lo, 8, v17
	s_delay_alu instid0(VALU_DEP_2)
	v_mov_b64_e32 v[16:17], v[54:55]
	s_and_saveexec_b32 s40, vcc_lo
; %bb.6499:                             ;   in Loop: Header=BB6_4515 Depth=2
	v_clz_i32_u32_e32 v16, v54
	s_delay_alu instid0(VALU_DEP_1) | instskip(NEXT) | instid1(VALU_DEP_1)
	v_min_u32_e32 v19, 32, v16
	v_subrev_nc_u32_e32 v16, 28, v19
	s_delay_alu instid0(VALU_DEP_1) | instskip(NEXT) | instid1(VALU_DEP_1)
	v_lshlrev_b64_e32 v[16:17], v16, v[54:55]
	v_dual_sub_nc_u32 v19, 29, v19 :: v_dual_bitop2_b32 v16, 7, v16 bitop3:0x40
; %bb.6500:                             ;   in Loop: Header=BB6_4515 Depth=2
	s_or_b32 exec_lo, exec_lo, s40
	v_lshlrev_b32_e32 v4, 24, v4
	s_delay_alu instid0(VALU_DEP_2) | instskip(NEXT) | instid1(VALU_DEP_3)
	v_lshlrev_b32_e32 v16, 20, v16
	v_lshl_add_u32 v17, v19, 23, 0x3c000000
	s_delay_alu instid0(VALU_DEP_3) | instskip(NEXT) | instid1(VALU_DEP_1)
	v_and_b32_e32 v4, 0x80000000, v4
	v_or3_b32 v19, v16, v4, v17
.LBB6_6501:                             ;   in Loop: Header=BB6_4515 Depth=2
	s_or_b32 exec_lo, exec_lo, s29
.LBB6_6502:                             ;   in Loop: Header=BB6_4515 Depth=2
	s_delay_alu instid0(SALU_CYCLE_1)
	s_or_b32 exec_lo, exec_lo, s11
.LBB6_6503:                             ;   in Loop: Header=BB6_4515 Depth=2
	s_delay_alu instid0(SALU_CYCLE_1) | instskip(SKIP_3) | instid1(VALU_DEP_1)
	s_or_b32 exec_lo, exec_lo, s10
	s_wait_loadcnt_dscnt 0x101
	v_and_b32_e32 v4, 0xff, v23
	s_mov_b32 s10, exec_lo
	v_cmpx_ne_u16_e32 0, v4
	s_cbranch_execz .LBB6_6511
; %bb.6504:                             ;   in Loop: Header=BB6_4515 Depth=2
	v_bfrev_b32_e32 v18, 1
	s_mov_b32 s11, exec_lo
	v_cmpx_ne_u16_e32 0x80, v4
	s_cbranch_execz .LBB6_6510
; %bb.6505:                             ;   in Loop: Header=BB6_4515 Depth=2
	v_and_b32_e32 v16, 0x7f, v23
	v_mov_b32_e32 v18, 0x7f800001
	s_mov_b32 s29, exec_lo
	s_delay_alu instid0(VALU_DEP_2)
	v_cmpx_ne_u32_e32 0x7f, v16
	s_cbranch_execz .LBB6_6509
; %bb.6506:                             ;   in Loop: Header=BB6_4515 Depth=2
	v_and_b32_e32 v54, 7, v4
	v_lshrrev_b32_e32 v4, 3, v16
	v_cmp_gt_u32_e32 vcc_lo, 8, v16
	s_delay_alu instid0(VALU_DEP_3)
	v_mov_b64_e32 v[16:17], v[54:55]
	s_and_saveexec_b32 s40, vcc_lo
; %bb.6507:                             ;   in Loop: Header=BB6_4515 Depth=2
	v_clz_i32_u32_e32 v4, v54
	s_delay_alu instid0(VALU_DEP_1) | instskip(NEXT) | instid1(VALU_DEP_1)
	v_min_u32_e32 v4, 32, v4
	v_subrev_nc_u32_e32 v16, 28, v4
	v_sub_nc_u32_e32 v4, 29, v4
	s_delay_alu instid0(VALU_DEP_2) | instskip(NEXT) | instid1(VALU_DEP_1)
	v_lshlrev_b64_e32 v[16:17], v16, v[54:55]
	v_and_b32_e32 v16, 7, v16
; %bb.6508:                             ;   in Loop: Header=BB6_4515 Depth=2
	s_or_b32 exec_lo, exec_lo, s40
	s_delay_alu instid0(VALU_DEP_1) | instskip(SKIP_1) | instid1(VALU_DEP_2)
	v_dual_lshlrev_b32 v17, 24, v23 :: v_dual_lshlrev_b32 v16, 20, v16
	v_lshl_add_u32 v4, v4, 23, 0x3c000000
	v_and_b32_e32 v17, 0x80000000, v17
	s_delay_alu instid0(VALU_DEP_1)
	v_or3_b32 v18, v16, v17, v4
.LBB6_6509:                             ;   in Loop: Header=BB6_4515 Depth=2
	s_or_b32 exec_lo, exec_lo, s29
.LBB6_6510:                             ;   in Loop: Header=BB6_4515 Depth=2
	s_delay_alu instid0(SALU_CYCLE_1)
	s_or_b32 exec_lo, exec_lo, s11
.LBB6_6511:                             ;   in Loop: Header=BB6_4515 Depth=2
	s_delay_alu instid0(SALU_CYCLE_1) | instskip(NEXT) | instid1(VALU_DEP_1)
	s_or_b32 exec_lo, exec_lo, s10
	v_add_f32_e32 v16, v19, v18
                                        ; implicit-def: $vgpr4
	s_mov_b32 s10, exec_lo
	s_delay_alu instid0(VALU_DEP_1) | instskip(SKIP_1) | instid1(VALU_DEP_2)
	v_and_b32_e32 v54, 0x7f800000, v16
	v_lshrrev_b32_e32 v17, 24, v16
	v_cmpx_ne_u64_e32 0x7f800000, v[54:55]
	s_xor_b32 s11, exec_lo, s10
	s_cbranch_execz .LBB6_6529
; %bb.6512:                             ;   in Loop: Header=BB6_4515 Depth=2
	v_and_b32_e32 v54, 0x7fffffff, v16
	v_and_b32_e32 v23, 0x80, v17
                                        ; implicit-def: $vgpr4
	s_mov_b32 s10, exec_lo
	s_delay_alu instid0(VALU_DEP_2)
	v_cmpx_gt_u64_e32 0x43e00001, v[54:55]
	s_xor_b32 s29, exec_lo, s10
	s_cbranch_execz .LBB6_6526
; %bb.6513:                             ;   in Loop: Header=BB6_4515 Depth=2
	v_mov_b32_e32 v4, 0
	s_mov_b32 s40, exec_lo
	v_cmpx_ne_u32_e32 0, v16
	s_cbranch_execz .LBB6_6525
; %bb.6514:                             ;   in Loop: Header=BB6_4515 Depth=2
	v_bfe_u32 v4, v16, 23, 8
	v_and_b32_e32 v18, 0x7fffff, v16
	s_delay_alu instid0(VALU_DEP_2) | instskip(NEXT) | instid1(VALU_DEP_2)
	v_cmp_gt_u32_e32 vcc_lo, 0x7a, v4
	v_or_b32_e32 v19, 0x800000, v18
	v_sub_nc_u32_e32 v17, 0x79, v4
	s_delay_alu instid0(VALU_DEP_1) | instskip(SKIP_1) | instid1(VALU_DEP_2)
	v_cndmask_b32_e32 v17, 0, v17, vcc_lo
	v_cmp_eq_u32_e32 vcc_lo, 0, v4
	v_cndmask_b32_e64 v30, v17, 0x78, vcc_lo
	v_cndmask_b32_e32 v54, v19, v18, vcc_lo
	s_delay_alu instid0(VALU_DEP_2) | instskip(NEXT) | instid1(VALU_DEP_1)
	v_dual_add_nc_u32 v16, 20, v30 :: v_dual_add_nc_u32 v39, 19, v30
	v_lshlrev_b64_e64 v[16:17], v16, -1
	s_delay_alu instid0(VALU_DEP_2) | instskip(NEXT) | instid1(VALU_DEP_2)
	v_lshlrev_b64_e64 v[18:19], v39, 1
	v_bfi_b32 v117, v17, 0, 0
	s_delay_alu instid0(VALU_DEP_3) | instskip(SKIP_1) | instid1(VALU_DEP_2)
	v_bfi_b32 v116, v16, 0, v54
	v_lshrrev_b64 v[16:17], v30, v[54:55]
	v_cmp_eq_u64_e64 s10, v[116:117], v[18:19]
	s_delay_alu instid0(VALU_DEP_2)
	v_mov_b64_e32 v[18:19], v[16:17]
	s_and_saveexec_b32 s41, s10
; %bb.6515:                             ;   in Loop: Header=BB6_4515 Depth=2
	v_bfe_u32 v54, v16, 20, 1
	s_delay_alu instid0(VALU_DEP_1) | instskip(NEXT) | instid1(VALU_DEP_1)
	v_add_nc_u64_e32 v[18:19], v[16:17], v[54:55]
	v_add_nc_u64_e32 v[18:19], -1, v[18:19]
; %bb.6516:                             ;   in Loop: Header=BB6_4515 Depth=2
	s_or_b32 exec_lo, exec_lo, s41
	v_add_nc_u32_e32 v4, 0xffffff81, v4
	v_lshrrev_b32_e32 v17, 23, v16
	s_mov_b32 s10, exec_lo
	s_delay_alu instid0(VALU_DEP_2) | instskip(NEXT) | instid1(VALU_DEP_1)
	v_cndmask_b32_e64 v4, v4, 0xffffff82, vcc_lo
	v_add3_u32 v4, v30, v4, v17
	v_and_b32_e32 v17, 0xfffff, v18
                                        ; implicit-def: $vgpr18
	s_delay_alu instid0(VALU_DEP_2) | instskip(NEXT) | instid1(VALU_DEP_2)
	v_add_nc_u32_e32 v19, 6, v4
	v_add_nc_u32_e32 v54, v17, v16
                                        ; implicit-def: $vgpr16_vgpr17
	s_delay_alu instid0(VALU_DEP_2)
	v_cmpx_ne_u32_e32 0, v19
	s_xor_b32 s10, exec_lo, s10
; %bb.6517:                             ;   in Loop: Header=BB6_4515 Depth=2
	s_delay_alu instid0(VALU_DEP_2) | instskip(SKIP_1) | instid1(VALU_DEP_1)
	v_cmp_lt_u64_e32 vcc_lo, 0xffffff, v[54:55]
	v_add_nc_u32_e32 v4, 7, v4
	v_cndmask_b32_e32 v18, v19, v4, vcc_lo
	v_cndmask_b32_e64 v4, 0, 1, vcc_lo
	s_delay_alu instid0(VALU_DEP_1)
	v_lshrrev_b64 v[16:17], v4, v[54:55]
; %bb.6518:                             ;   in Loop: Header=BB6_4515 Depth=2
	s_and_not1_saveexec_b32 s10, s10
; %bb.6519:                             ;   in Loop: Header=BB6_4515 Depth=2
	v_mov_b64_e32 v[16:17], v[54:55]
	v_bfe_u32 v18, v54, 23, 1
; %bb.6520:                             ;   in Loop: Header=BB6_4515 Depth=2
	s_or_b32 exec_lo, exec_lo, s10
	s_delay_alu instid0(VALU_DEP_2) | instskip(NEXT) | instid1(VALU_DEP_2)
	v_lshrrev_b64 v[16:17], 20, v[16:17]
	v_cmp_gt_i32_e32 vcc_lo, 16, v18
	v_cmp_ne_u32_e64 s10, 0, v18
                                        ; implicit-def: $vgpr4
	s_delay_alu instid0(VALU_DEP_3) | instskip(NEXT) | instid1(VALU_DEP_1)
	v_dual_cndmask_b32 v17, 0, v17 :: v_dual_cndmask_b32 v16, 7, v16
	v_cmp_ne_u64_e32 vcc_lo, 0, v[16:17]
	s_or_b32 s10, s10, vcc_lo
	s_delay_alu instid0(SALU_CYCLE_1) | instskip(NEXT) | instid1(SALU_CYCLE_1)
	s_and_saveexec_b32 s41, s10
	s_xor_b32 s10, exec_lo, s41
; %bb.6521:                             ;   in Loop: Header=BB6_4515 Depth=2
	v_min_i32_e32 v4, 15, v18
	s_delay_alu instid0(VALU_DEP_1) | instskip(NEXT) | instid1(VALU_DEP_1)
	v_lshl_or_b32 v4, v4, 3, v23
                                        ; implicit-def: $vgpr23
	v_and_or_b32 v4, v16, 7, v4
; %bb.6522:                             ;   in Loop: Header=BB6_4515 Depth=2
	s_and_not1_saveexec_b32 s10, s10
; %bb.6523:                             ;   in Loop: Header=BB6_4515 Depth=2
	v_mov_b32_e32 v4, v23
; %bb.6524:                             ;   in Loop: Header=BB6_4515 Depth=2
	s_or_b32 exec_lo, exec_lo, s10
.LBB6_6525:                             ;   in Loop: Header=BB6_4515 Depth=2
	s_delay_alu instid0(SALU_CYCLE_1)
	s_or_b32 exec_lo, exec_lo, s40
                                        ; implicit-def: $vgpr23
.LBB6_6526:                             ;   in Loop: Header=BB6_4515 Depth=2
	s_and_not1_saveexec_b32 s10, s29
; %bb.6527:                             ;   in Loop: Header=BB6_4515 Depth=2
	v_or_b32_e32 v4, 0x7e, v23
; %bb.6528:                             ;   in Loop: Header=BB6_4515 Depth=2
	s_or_b32 exec_lo, exec_lo, s10
                                        ; implicit-def: $vgpr17
.LBB6_6529:                             ;   in Loop: Header=BB6_4515 Depth=2
	s_and_not1_saveexec_b32 s10, s11
; %bb.6530:                             ;   in Loop: Header=BB6_4515 Depth=2
	v_or_b32_e32 v4, 0x7f, v17
; %bb.6531:                             ;   in Loop: Header=BB6_4515 Depth=2
	s_or_b32 exec_lo, exec_lo, s10
	v_and_b32_e32 v16, 0xff, v0
	v_dual_mov_b32 v18, 0 :: v_dual_mov_b32 v19, 0
	s_mov_b32 s10, exec_lo
	s_delay_alu instid0(VALU_DEP_2)
	v_cmpx_ne_u16_e32 0, v16
	s_cbranch_execz .LBB6_6539
; %bb.6532:                             ;   in Loop: Header=BB6_4515 Depth=2
	v_bfrev_b32_e32 v19, 1
	s_mov_b32 s11, exec_lo
	v_cmpx_ne_u16_e32 0x80, v16
	s_cbranch_execz .LBB6_6538
; %bb.6533:                             ;   in Loop: Header=BB6_4515 Depth=2
	v_and_b32_e32 v17, 0x7f, v0
	v_mov_b32_e32 v19, 0x7f800001
	s_mov_b32 s29, exec_lo
	s_delay_alu instid0(VALU_DEP_2)
	v_cmpx_ne_u32_e32 0x7f, v17
	s_cbranch_execz .LBB6_6537
; %bb.6534:                             ;   in Loop: Header=BB6_4515 Depth=2
	v_dual_lshrrev_b32 v19, 3, v17 :: v_dual_bitop2_b32 v54, 7, v16 bitop3:0x40
	v_cmp_gt_u32_e32 vcc_lo, 8, v17
	s_delay_alu instid0(VALU_DEP_2)
	v_mov_b64_e32 v[16:17], v[54:55]
	s_and_saveexec_b32 s40, vcc_lo
; %bb.6535:                             ;   in Loop: Header=BB6_4515 Depth=2
	v_clz_i32_u32_e32 v16, v54
	s_delay_alu instid0(VALU_DEP_1) | instskip(NEXT) | instid1(VALU_DEP_1)
	v_min_u32_e32 v19, 32, v16
	v_subrev_nc_u32_e32 v16, 28, v19
	s_delay_alu instid0(VALU_DEP_1) | instskip(NEXT) | instid1(VALU_DEP_1)
	v_lshlrev_b64_e32 v[16:17], v16, v[54:55]
	v_dual_sub_nc_u32 v19, 29, v19 :: v_dual_bitop2_b32 v16, 7, v16 bitop3:0x40
; %bb.6536:                             ;   in Loop: Header=BB6_4515 Depth=2
	s_or_b32 exec_lo, exec_lo, s40
	v_lshlrev_b32_e32 v0, 24, v0
	s_delay_alu instid0(VALU_DEP_2) | instskip(NEXT) | instid1(VALU_DEP_3)
	v_lshlrev_b32_e32 v16, 20, v16
	v_lshl_add_u32 v17, v19, 23, 0x3c000000
	s_delay_alu instid0(VALU_DEP_3) | instskip(NEXT) | instid1(VALU_DEP_1)
	v_and_b32_e32 v0, 0x80000000, v0
	v_or3_b32 v19, v16, v0, v17
.LBB6_6537:                             ;   in Loop: Header=BB6_4515 Depth=2
	s_or_b32 exec_lo, exec_lo, s29
.LBB6_6538:                             ;   in Loop: Header=BB6_4515 Depth=2
	s_delay_alu instid0(SALU_CYCLE_1)
	s_or_b32 exec_lo, exec_lo, s11
.LBB6_6539:                             ;   in Loop: Header=BB6_4515 Depth=2
	s_delay_alu instid0(SALU_CYCLE_1) | instskip(SKIP_3) | instid1(VALU_DEP_1)
	s_or_b32 exec_lo, exec_lo, s10
	s_wait_loadcnt_dscnt 0x0
	v_and_b32_e32 v0, 0xff, v1
	s_mov_b32 s10, exec_lo
	v_cmpx_ne_u16_e32 0, v0
	s_cbranch_execz .LBB6_6547
; %bb.6540:                             ;   in Loop: Header=BB6_4515 Depth=2
	v_bfrev_b32_e32 v18, 1
	s_mov_b32 s11, exec_lo
	v_cmpx_ne_u16_e32 0x80, v0
	s_cbranch_execz .LBB6_6546
; %bb.6541:                             ;   in Loop: Header=BB6_4515 Depth=2
	v_and_b32_e32 v16, 0x7f, v1
	v_mov_b32_e32 v18, 0x7f800001
	s_mov_b32 s29, exec_lo
	s_delay_alu instid0(VALU_DEP_2)
	v_cmpx_ne_u32_e32 0x7f, v16
	s_cbranch_execz .LBB6_6545
; %bb.6542:                             ;   in Loop: Header=BB6_4515 Depth=2
	v_and_b32_e32 v54, 7, v0
	v_lshrrev_b32_e32 v0, 3, v16
	v_cmp_gt_u32_e32 vcc_lo, 8, v16
	s_delay_alu instid0(VALU_DEP_3)
	v_mov_b64_e32 v[16:17], v[54:55]
	s_and_saveexec_b32 s40, vcc_lo
; %bb.6543:                             ;   in Loop: Header=BB6_4515 Depth=2
	v_clz_i32_u32_e32 v0, v54
	s_delay_alu instid0(VALU_DEP_1) | instskip(NEXT) | instid1(VALU_DEP_1)
	v_min_u32_e32 v0, 32, v0
	v_subrev_nc_u32_e32 v16, 28, v0
	v_sub_nc_u32_e32 v0, 29, v0
	s_delay_alu instid0(VALU_DEP_2) | instskip(NEXT) | instid1(VALU_DEP_1)
	v_lshlrev_b64_e32 v[16:17], v16, v[54:55]
	v_and_b32_e32 v16, 7, v16
; %bb.6544:                             ;   in Loop: Header=BB6_4515 Depth=2
	s_or_b32 exec_lo, exec_lo, s40
	s_delay_alu instid0(VALU_DEP_1) | instskip(SKIP_1) | instid1(VALU_DEP_2)
	v_dual_lshlrev_b32 v1, 24, v1 :: v_dual_lshlrev_b32 v16, 20, v16
	v_lshl_add_u32 v0, v0, 23, 0x3c000000
	v_and_b32_e32 v1, 0x80000000, v1
	s_delay_alu instid0(VALU_DEP_1)
	v_or3_b32 v18, v16, v1, v0
.LBB6_6545:                             ;   in Loop: Header=BB6_4515 Depth=2
	s_or_b32 exec_lo, exec_lo, s29
.LBB6_6546:                             ;   in Loop: Header=BB6_4515 Depth=2
	s_delay_alu instid0(SALU_CYCLE_1)
	s_or_b32 exec_lo, exec_lo, s11
.LBB6_6547:                             ;   in Loop: Header=BB6_4515 Depth=2
	s_delay_alu instid0(SALU_CYCLE_1) | instskip(NEXT) | instid1(VALU_DEP_1)
	s_or_b32 exec_lo, exec_lo, s10
	v_add_f32_e32 v16, v19, v18
                                        ; implicit-def: $vgpr1
	s_mov_b32 s10, exec_lo
	s_delay_alu instid0(VALU_DEP_1) | instskip(SKIP_1) | instid1(VALU_DEP_2)
	v_and_b32_e32 v54, 0x7f800000, v16
	v_lshrrev_b32_e32 v0, 24, v16
	v_cmpx_ne_u64_e32 0x7f800000, v[54:55]
	s_xor_b32 s11, exec_lo, s10
	s_cbranch_execz .LBB6_6565
; %bb.6548:                             ;   in Loop: Header=BB6_4515 Depth=2
	v_and_b32_e32 v54, 0x7fffffff, v16
	v_and_b32_e32 v0, 0x80, v0
                                        ; implicit-def: $vgpr1
	s_mov_b32 s10, exec_lo
	s_delay_alu instid0(VALU_DEP_2)
	v_cmpx_gt_u64_e32 0x43e00001, v[54:55]
	s_xor_b32 s29, exec_lo, s10
	s_cbranch_execz .LBB6_6562
; %bb.6549:                             ;   in Loop: Header=BB6_4515 Depth=2
	v_mov_b32_e32 v1, 0
	s_mov_b32 s40, exec_lo
	v_cmpx_ne_u32_e32 0, v16
	s_cbranch_execz .LBB6_6561
; %bb.6550:                             ;   in Loop: Header=BB6_4515 Depth=2
	v_bfe_u32 v1, v16, 23, 8
	v_and_b32_e32 v18, 0x7fffff, v16
	s_delay_alu instid0(VALU_DEP_2) | instskip(NEXT) | instid1(VALU_DEP_2)
	v_cmp_gt_u32_e32 vcc_lo, 0x7a, v1
	v_or_b32_e32 v19, 0x800000, v18
	v_sub_nc_u32_e32 v17, 0x79, v1
	s_delay_alu instid0(VALU_DEP_1) | instskip(SKIP_1) | instid1(VALU_DEP_2)
	v_cndmask_b32_e32 v17, 0, v17, vcc_lo
	v_cmp_eq_u32_e32 vcc_lo, 0, v1
	v_cndmask_b32_e64 v23, v17, 0x78, vcc_lo
	s_delay_alu instid0(VALU_DEP_1) | instskip(SKIP_1) | instid1(VALU_DEP_2)
	v_dual_cndmask_b32 v54, v19, v18, vcc_lo :: v_dual_add_nc_u32 v16, 20, v23
	v_add_nc_u32_e32 v30, 19, v23
	v_lshlrev_b64_e64 v[16:17], v16, -1
	s_delay_alu instid0(VALU_DEP_2) | instskip(NEXT) | instid1(VALU_DEP_2)
	v_lshlrev_b64_e64 v[18:19], v30, 1
	v_bfi_b32 v117, v17, 0, 0
	s_delay_alu instid0(VALU_DEP_3) | instskip(SKIP_1) | instid1(VALU_DEP_2)
	v_bfi_b32 v116, v16, 0, v54
	v_lshrrev_b64 v[16:17], v23, v[54:55]
	v_cmp_eq_u64_e64 s10, v[116:117], v[18:19]
	s_delay_alu instid0(VALU_DEP_2)
	v_mov_b64_e32 v[18:19], v[16:17]
	s_and_saveexec_b32 s41, s10
; %bb.6551:                             ;   in Loop: Header=BB6_4515 Depth=2
	v_bfe_u32 v54, v16, 20, 1
	s_delay_alu instid0(VALU_DEP_1) | instskip(NEXT) | instid1(VALU_DEP_1)
	v_add_nc_u64_e32 v[18:19], v[16:17], v[54:55]
	v_add_nc_u64_e32 v[18:19], -1, v[18:19]
; %bb.6552:                             ;   in Loop: Header=BB6_4515 Depth=2
	s_or_b32 exec_lo, exec_lo, s41
	v_add_nc_u32_e32 v1, 0xffffff81, v1
	v_lshrrev_b32_e32 v17, 23, v16
	s_mov_b32 s10, exec_lo
	s_delay_alu instid0(VALU_DEP_2) | instskip(NEXT) | instid1(VALU_DEP_1)
	v_cndmask_b32_e64 v1, v1, 0xffffff82, vcc_lo
	v_add3_u32 v1, v23, v1, v17
	v_and_b32_e32 v17, 0xfffff, v18
                                        ; implicit-def: $vgpr18
	s_delay_alu instid0(VALU_DEP_1) | instskip(NEXT) | instid1(VALU_DEP_1)
	v_dual_add_nc_u32 v19, 6, v1 :: v_dual_add_nc_u32 v54, v17, v16
                                        ; implicit-def: $vgpr16_vgpr17
	v_cmpx_ne_u32_e32 0, v19
	s_xor_b32 s10, exec_lo, s10
; %bb.6553:                             ;   in Loop: Header=BB6_4515 Depth=2
	s_delay_alu instid0(VALU_DEP_2) | instskip(SKIP_1) | instid1(VALU_DEP_1)
	v_cmp_lt_u64_e32 vcc_lo, 0xffffff, v[54:55]
	v_add_nc_u32_e32 v1, 7, v1
	v_cndmask_b32_e32 v18, v19, v1, vcc_lo
	v_cndmask_b32_e64 v1, 0, 1, vcc_lo
	s_delay_alu instid0(VALU_DEP_1)
	v_lshrrev_b64 v[16:17], v1, v[54:55]
; %bb.6554:                             ;   in Loop: Header=BB6_4515 Depth=2
	s_and_not1_saveexec_b32 s10, s10
; %bb.6555:                             ;   in Loop: Header=BB6_4515 Depth=2
	v_mov_b64_e32 v[16:17], v[54:55]
	v_bfe_u32 v18, v54, 23, 1
; %bb.6556:                             ;   in Loop: Header=BB6_4515 Depth=2
	s_or_b32 exec_lo, exec_lo, s10
	s_delay_alu instid0(VALU_DEP_2) | instskip(NEXT) | instid1(VALU_DEP_2)
	v_lshrrev_b64 v[16:17], 20, v[16:17]
	v_cmp_gt_i32_e32 vcc_lo, 16, v18
	v_cmp_ne_u32_e64 s10, 0, v18
                                        ; implicit-def: $vgpr1
	s_delay_alu instid0(VALU_DEP_3) | instskip(NEXT) | instid1(VALU_DEP_1)
	v_dual_cndmask_b32 v17, 0, v17 :: v_dual_cndmask_b32 v16, 7, v16
	v_cmp_ne_u64_e32 vcc_lo, 0, v[16:17]
	s_or_b32 s10, s10, vcc_lo
	s_delay_alu instid0(SALU_CYCLE_1) | instskip(NEXT) | instid1(SALU_CYCLE_1)
	s_and_saveexec_b32 s41, s10
	s_xor_b32 s10, exec_lo, s41
; %bb.6557:                             ;   in Loop: Header=BB6_4515 Depth=2
	v_min_i32_e32 v1, 15, v18
	s_delay_alu instid0(VALU_DEP_1) | instskip(NEXT) | instid1(VALU_DEP_1)
	v_lshl_or_b32 v0, v1, 3, v0
	v_and_or_b32 v1, v16, 7, v0
                                        ; implicit-def: $vgpr0
; %bb.6558:                             ;   in Loop: Header=BB6_4515 Depth=2
	s_and_not1_saveexec_b32 s10, s10
; %bb.6559:                             ;   in Loop: Header=BB6_4515 Depth=2
	v_mov_b32_e32 v1, v0
; %bb.6560:                             ;   in Loop: Header=BB6_4515 Depth=2
	s_or_b32 exec_lo, exec_lo, s10
.LBB6_6561:                             ;   in Loop: Header=BB6_4515 Depth=2
	s_delay_alu instid0(SALU_CYCLE_1)
	s_or_b32 exec_lo, exec_lo, s40
                                        ; implicit-def: $vgpr0
.LBB6_6562:                             ;   in Loop: Header=BB6_4515 Depth=2
	s_and_not1_saveexec_b32 s10, s29
; %bb.6563:                             ;   in Loop: Header=BB6_4515 Depth=2
	v_or_b32_e32 v1, 0x7e, v0
; %bb.6564:                             ;   in Loop: Header=BB6_4515 Depth=2
	s_or_b32 exec_lo, exec_lo, s10
                                        ; implicit-def: $vgpr0
.LBB6_6565:                             ;   in Loop: Header=BB6_4515 Depth=2
	s_and_not1_saveexec_b32 s10, s11
	s_cbranch_execz .LBB6_4514
; %bb.6566:                             ;   in Loop: Header=BB6_4515 Depth=2
	v_or_b32_e32 v1, 0x7f, v0
	s_branch .LBB6_4514
.LBB6_6567:                             ;   in Loop: Header=BB6_49 Depth=1
	s_or_b32 exec_lo, exec_lo, s28
.LBB6_6568:                             ;   in Loop: Header=BB6_49 Depth=1
	s_delay_alu instid0(SALU_CYCLE_1) | instskip(SKIP_1) | instid1(VALU_DEP_1)
	s_or_b32 exec_lo, exec_lo, s27
	v_and_b32_e32 v1, 0xfffffc00, v3
	v_cmp_ne_u32_e32 vcc_lo, v3, v1
	s_and_b32 exec_lo, exec_lo, vcc_lo
	s_cbranch_execz .LBB6_6640
; %bb.6569:                             ;   in Loop: Header=BB6_49 Depth=1
	v_dual_lshlrev_b32 v0, 5, v21 :: v_dual_lshlrev_b32 v4, 5, v22
	s_delay_alu instid0(VALU_DEP_1) | instskip(NEXT) | instid1(VALU_DEP_1)
	v_sub_nc_u32_e32 v0, v20, v0
	v_sub_nc_u32_e32 v4, v0, v4
	v_and_b32_e32 v0, 0x3ff, v3
	s_delay_alu instid0(VALU_DEP_1) | instskip(NEXT) | instid1(VALU_DEP_1)
	v_sub_nc_u32_e32 v0, v0, v4
	v_cmp_lt_i32_e32 vcc_lo, 0, v0
	s_and_b32 exec_lo, exec_lo, vcc_lo
	s_cbranch_execz .LBB6_6640
; %bb.6570:                             ;   in Loop: Header=BB6_49 Depth=1
	s_trap 2
	ds_load_b128 v[6:9], v0
	ds_load_b64 v[14:15], v0
	v_add3_u32 v2, v1, v2, v4
	s_mov_b32 s27, 0
	s_delay_alu instid0(VALU_DEP_1) | instskip(SKIP_1) | instid1(VALU_DEP_1)
	v_ashrrev_i32_e32 v3, 31, v2
	s_wait_dscnt 0x1
	v_add_nc_u64_e32 v[10:11], v[6:7], v[2:3]
	v_add_nc_u64_e32 v[12:13], v[8:9], v[2:3]
	s_wait_dscnt 0x0
	v_add_nc_u64_e32 v[14:15], v[14:15], v[2:3]
	s_branch .LBB6_6572
.LBB6_6571:                             ;   in Loop: Header=BB6_6572 Depth=2
	s_or_b32 exec_lo, exec_lo, s10
	v_sub_nc_u32_e32 v0, v0, v82
	flat_store_b8 v[14:15], v2 th:TH_STORE_NT
	v_add_nc_u64_e32 v[10:11], v[10:11], v[82:83]
	v_add_nc_u64_e32 v[12:13], v[12:13], v[82:83]
	s_wait_xcnt 0x0
	v_add_nc_u64_e32 v[14:15], v[14:15], v[82:83]
	v_cmp_gt_i32_e32 vcc_lo, 1, v0
	s_or_b32 s27, vcc_lo, s27
	s_delay_alu instid0(SALU_CYCLE_1)
	s_and_not1_b32 exec_lo, exec_lo, s27
	s_cbranch_execz .LBB6_6640
.LBB6_6572:                             ;   Parent Loop BB6_49 Depth=1
                                        ; =>  This Inner Loop Header: Depth=2
	s_trap 2
	ds_load_b64 v[2:3], v0
	s_mov_b32 s28, 0
	s_wait_dscnt 0x0
	v_and_b32_e32 v1, 0xff, v2
	v_readfirstlane_b32 s10, v2
	v_readfirstlane_b32 s11, v3
	s_delay_alu instid0(VALU_DEP_3)
	v_cmp_eq_u32_e32 vcc_lo, 0, v1
	s_cbranch_vccnz .LBB6_6576
; %bb.6573:                             ;   in Loop: Header=BB6_6572 Depth=2
	v_cmp_eq_u32_e32 vcc_lo, 0x80, v1
	s_brev_b32 s28, 1
	s_cbranch_vccnz .LBB6_6576
; %bb.6574:                             ;   in Loop: Header=BB6_6572 Depth=2
	s_and_b32 s29, s10, 0x7f
	s_mov_b32 s28, 0x7f800001
	s_cmp_eq_u32 s29, 0x7f
	s_cbranch_scc1 .LBB6_6576
; %bb.6575:                             ;   in Loop: Header=BB6_6572 Depth=2
	s_and_b32 s28, s10, 7
	s_lshr_b32 s40, s29, 3
	s_clz_i32_u32 s28, s28
	s_delay_alu instid0(SALU_CYCLE_1) | instskip(NEXT) | instid1(SALU_CYCLE_1)
	s_min_u32 s28, s28, 32
	s_sub_co_i32 s41, s28, 28
	s_sub_co_i32 s28, 29, s28
	s_cmp_lt_u32 s29, 8
	s_cselect_b32 s29, s41, 0
	s_cselect_b32 s40, s28, s40
	s_lshl_b64 s[28:29], s[10:11], s29
	s_lshl_b32 s10, s10, 24
	s_lshl_b32 s11, s28, 20
	;; [unrolled: 1-line block ×3, first 2 shown]
	s_and_b32 s11, s11, 0x700000
	s_and_b32 s10, s10, 0x80000000
	s_add_co_i32 s28, s28, 0x3c000000
	s_or_b32 s10, s11, s10
	s_delay_alu instid0(SALU_CYCLE_1)
	s_or_b32 s28, s28, s10
.LBB6_6576:                             ;   in Loop: Header=BB6_6572 Depth=2
	flat_load_u8 v1, v[10:11] th:TH_LOAD_NT
	v_mov_b32_e32 v2, 0
	s_mov_b32 s10, exec_lo
	s_wait_loadcnt_dscnt 0x0
	s_wait_xcnt 0x0
	v_cmpx_ne_u16_e32 0, v1
	s_cbranch_execz .LBB6_6584
; %bb.6577:                             ;   in Loop: Header=BB6_6572 Depth=2
	v_bfrev_b32_e32 v2, 1
	s_mov_b32 s11, exec_lo
	v_cmpx_ne_u16_e32 0x80, v1
	s_cbranch_execz .LBB6_6583
; %bb.6578:                             ;   in Loop: Header=BB6_6572 Depth=2
	v_and_b32_e32 v4, 0xffff, v1
	v_mov_b32_e32 v2, 0x7f800001
	s_mov_b32 s29, exec_lo
	s_delay_alu instid0(VALU_DEP_2) | instskip(NEXT) | instid1(VALU_DEP_1)
	v_and_b32_e32 v3, 0x7f, v4
	v_cmpx_ne_u32_e32 0x7f, v3
	s_cbranch_execz .LBB6_6582
; %bb.6579:                             ;   in Loop: Header=BB6_6572 Depth=2
	v_dual_lshrrev_b32 v2, 3, v3 :: v_dual_bitop2_b32 v54, 7, v4 bitop3:0x40
	s_mov_b32 s40, exec_lo
	s_delay_alu instid0(VALU_DEP_1)
	v_mov_b64_e32 v[16:17], v[54:55]
	v_cmpx_gt_u32_e32 8, v3
; %bb.6580:                             ;   in Loop: Header=BB6_6572 Depth=2
	v_clz_i32_u32_e32 v2, v54
	s_delay_alu instid0(VALU_DEP_1) | instskip(NEXT) | instid1(VALU_DEP_1)
	v_min_u32_e32 v2, 32, v2
	v_subrev_nc_u32_e32 v3, 28, v2
	s_delay_alu instid0(VALU_DEP_1) | instskip(NEXT) | instid1(VALU_DEP_1)
	v_lshlrev_b64_e32 v[4:5], v3, v[54:55]
	v_dual_sub_nc_u32 v2, 29, v2 :: v_dual_bitop2_b32 v16, 7, v4 bitop3:0x40
; %bb.6581:                             ;   in Loop: Header=BB6_6572 Depth=2
	s_or_b32 exec_lo, exec_lo, s40
	s_delay_alu instid0(VALU_DEP_1) | instskip(NEXT) | instid1(VALU_DEP_2)
	v_dual_lshlrev_b32 v1, 24, v1 :: v_dual_lshlrev_b32 v3, 20, v16
	v_lshl_add_u32 v2, v2, 23, 0x3c000000
	s_delay_alu instid0(VALU_DEP_2) | instskip(NEXT) | instid1(VALU_DEP_1)
	v_and_b32_e32 v1, 0x80000000, v1
	v_or3_b32 v2, v3, v1, v2
.LBB6_6582:                             ;   in Loop: Header=BB6_6572 Depth=2
	s_or_b32 exec_lo, exec_lo, s29
.LBB6_6583:                             ;   in Loop: Header=BB6_6572 Depth=2
	s_delay_alu instid0(SALU_CYCLE_1)
	s_or_b32 exec_lo, exec_lo, s11
.LBB6_6584:                             ;   in Loop: Header=BB6_6572 Depth=2
	s_delay_alu instid0(SALU_CYCLE_1) | instskip(NEXT) | instid1(VALU_DEP_1)
	s_or_b32 exec_lo, exec_lo, s10
	v_mul_f32_e32 v3, s28, v2
                                        ; implicit-def: $vgpr2
	s_mov_b32 s10, exec_lo
	s_delay_alu instid0(VALU_DEP_1) | instskip(SKIP_1) | instid1(VALU_DEP_2)
	v_and_b32_e32 v54, 0x7f800000, v3
	v_lshrrev_b32_e32 v1, 24, v3
	v_cmpx_ne_u64_e32 0x7f800000, v[54:55]
	s_xor_b32 s11, exec_lo, s10
	s_cbranch_execz .LBB6_6602
; %bb.6585:                             ;   in Loop: Header=BB6_6572 Depth=2
	v_and_b32_e32 v54, 0x7fffffff, v3
	v_and_b32_e32 v1, 0x80, v1
                                        ; implicit-def: $vgpr2
	s_mov_b32 s10, exec_lo
	s_delay_alu instid0(VALU_DEP_2)
	v_cmpx_gt_u64_e32 0x43e00001, v[54:55]
	s_xor_b32 s28, exec_lo, s10
	s_cbranch_execz .LBB6_6599
; %bb.6586:                             ;   in Loop: Header=BB6_6572 Depth=2
	v_mov_b32_e32 v2, 0
	s_mov_b32 s29, exec_lo
	v_cmpx_ne_u32_e32 0, v3
	s_cbranch_execz .LBB6_6598
; %bb.6587:                             ;   in Loop: Header=BB6_6572 Depth=2
	v_bfe_u32 v2, v3, 23, 8
	v_and_b32_e32 v3, 0x7fffff, v3
	s_mov_b32 s40, exec_lo
	s_delay_alu instid0(VALU_DEP_2) | instskip(SKIP_1) | instid1(VALU_DEP_3)
	v_sub_nc_u32_e32 v4, 0x79, v2
	v_cmp_gt_u32_e32 vcc_lo, 0x7a, v2
	v_or_b32_e32 v8, 0x800000, v3
	s_delay_alu instid0(VALU_DEP_3) | instskip(SKIP_1) | instid1(VALU_DEP_3)
	v_cndmask_b32_e32 v4, 0, v4, vcc_lo
	v_cmp_eq_u32_e32 vcc_lo, 0, v2
	v_cndmask_b32_e32 v54, v8, v3, vcc_lo
	s_delay_alu instid0(VALU_DEP_3) | instskip(NEXT) | instid1(VALU_DEP_1)
	v_cndmask_b32_e64 v4, v4, 0x78, vcc_lo
	v_add_nc_u32_e32 v5, 20, v4
	s_delay_alu instid0(VALU_DEP_3) | instskip(NEXT) | instid1(VALU_DEP_2)
	v_lshrrev_b64 v[16:17], v4, v[54:55]
	v_lshlrev_b64_e64 v[6:7], v5, -1
	v_add_nc_u32_e32 v5, 19, v4
	s_delay_alu instid0(VALU_DEP_3) | instskip(NEXT) | instid1(VALU_DEP_2)
	v_mov_b64_e32 v[18:19], v[16:17]
	v_lshlrev_b64_e64 v[8:9], v5, 1
	s_delay_alu instid0(VALU_DEP_4) | instskip(SKIP_1) | instid1(VALU_DEP_1)
	v_bfi_b32 v7, v7, 0, 0
	v_bfi_b32 v6, v6, 0, v54
	v_cmpx_eq_u64_e64 v[6:7], v[8:9]
; %bb.6588:                             ;   in Loop: Header=BB6_6572 Depth=2
	v_bfe_u32 v54, v16, 20, 1
	s_delay_alu instid0(VALU_DEP_1) | instskip(NEXT) | instid1(VALU_DEP_1)
	v_add_nc_u64_e32 v[6:7], v[16:17], v[54:55]
	v_add_nc_u64_e32 v[18:19], -1, v[6:7]
; %bb.6589:                             ;   in Loop: Header=BB6_6572 Depth=2
	s_or_b32 exec_lo, exec_lo, s40
	v_add_nc_u32_e32 v2, 0xffffff81, v2
	v_lshrrev_b32_e32 v3, 23, v16
	s_mov_b32 s10, exec_lo
	s_delay_alu instid0(VALU_DEP_2) | instskip(NEXT) | instid1(VALU_DEP_1)
	v_cndmask_b32_e64 v2, v2, 0xffffff82, vcc_lo
	v_add3_u32 v2, v4, v2, v3
	v_and_b32_e32 v3, 0xfffff, v18
	s_delay_alu instid0(VALU_DEP_1) | instskip(NEXT) | instid1(VALU_DEP_1)
	v_dual_add_nc_u32 v4, 6, v2 :: v_dual_add_nc_u32 v54, v3, v16
                                        ; implicit-def: $vgpr16_vgpr17
                                        ; implicit-def: $vgpr3
	v_cmpx_ne_u32_e32 0, v4
	s_xor_b32 s10, exec_lo, s10
; %bb.6590:                             ;   in Loop: Header=BB6_6572 Depth=2
	s_delay_alu instid0(VALU_DEP_2) | instskip(SKIP_1) | instid1(VALU_DEP_1)
	v_cmp_lt_u64_e32 vcc_lo, 0xffffff, v[54:55]
	v_add_nc_u32_e32 v2, 7, v2
	v_cndmask_b32_e32 v3, v4, v2, vcc_lo
	v_cndmask_b32_e64 v2, 0, 1, vcc_lo
	s_delay_alu instid0(VALU_DEP_1)
	v_lshrrev_b64 v[16:17], v2, v[54:55]
; %bb.6591:                             ;   in Loop: Header=BB6_6572 Depth=2
	s_and_not1_saveexec_b32 s10, s10
; %bb.6592:                             ;   in Loop: Header=BB6_6572 Depth=2
	v_mov_b64_e32 v[16:17], v[54:55]
	v_bfe_u32 v3, v54, 23, 1
; %bb.6593:                             ;   in Loop: Header=BB6_6572 Depth=2
	s_or_b32 exec_lo, exec_lo, s10
	s_delay_alu instid0(VALU_DEP_2) | instskip(NEXT) | instid1(VALU_DEP_2)
	v_lshrrev_b64 v[4:5], 20, v[16:17]
	v_cmp_gt_i32_e32 vcc_lo, 16, v3
	v_cmp_ne_u32_e64 s10, 0, v3
                                        ; implicit-def: $vgpr2
	s_delay_alu instid0(VALU_DEP_3) | instskip(NEXT) | instid1(VALU_DEP_1)
	v_dual_cndmask_b32 v17, 0, v5 :: v_dual_cndmask_b32 v16, 7, v4
	v_cmp_ne_u64_e32 vcc_lo, 0, v[16:17]
	s_or_b32 s10, s10, vcc_lo
	s_delay_alu instid0(SALU_CYCLE_1) | instskip(NEXT) | instid1(SALU_CYCLE_1)
	s_and_saveexec_b32 s40, s10
	s_xor_b32 s10, exec_lo, s40
; %bb.6594:                             ;   in Loop: Header=BB6_6572 Depth=2
	v_min_i32_e32 v2, 15, v3
	s_delay_alu instid0(VALU_DEP_1) | instskip(NEXT) | instid1(VALU_DEP_1)
	v_lshl_or_b32 v1, v2, 3, v1
	v_and_or_b32 v2, v16, 7, v1
                                        ; implicit-def: $vgpr1
; %bb.6595:                             ;   in Loop: Header=BB6_6572 Depth=2
	s_and_not1_saveexec_b32 s10, s10
; %bb.6596:                             ;   in Loop: Header=BB6_6572 Depth=2
	v_mov_b32_e32 v2, v1
; %bb.6597:                             ;   in Loop: Header=BB6_6572 Depth=2
	s_or_b32 exec_lo, exec_lo, s10
.LBB6_6598:                             ;   in Loop: Header=BB6_6572 Depth=2
	s_delay_alu instid0(SALU_CYCLE_1)
	s_or_b32 exec_lo, exec_lo, s29
                                        ; implicit-def: $vgpr1
.LBB6_6599:                             ;   in Loop: Header=BB6_6572 Depth=2
	s_and_not1_saveexec_b32 s10, s28
; %bb.6600:                             ;   in Loop: Header=BB6_6572 Depth=2
	v_or_b32_e32 v2, 0x7e, v1
; %bb.6601:                             ;   in Loop: Header=BB6_6572 Depth=2
	s_or_b32 exec_lo, exec_lo, s10
                                        ; implicit-def: $vgpr1
.LBB6_6602:                             ;   in Loop: Header=BB6_6572 Depth=2
	s_and_not1_saveexec_b32 s10, s11
; %bb.6603:                             ;   in Loop: Header=BB6_6572 Depth=2
	v_or_b32_e32 v2, 0x7f, v1
; %bb.6604:                             ;   in Loop: Header=BB6_6572 Depth=2
	s_or_b32 exec_lo, exec_lo, s10
	flat_load_u8 v1, v[12:13] th:TH_LOAD_NT
	v_and_b32_e32 v5, 0xff, v2
	v_dual_mov_b32 v3, 0 :: v_dual_mov_b32 v4, 0
	s_mov_b32 s10, exec_lo
	s_wait_xcnt 0x0
	s_delay_alu instid0(VALU_DEP_2)
	v_cmpx_ne_u16_e32 0, v5
	s_cbranch_execz .LBB6_6612
; %bb.6605:                             ;   in Loop: Header=BB6_6572 Depth=2
	v_bfrev_b32_e32 v4, 1
	s_mov_b32 s11, exec_lo
	v_cmpx_ne_u16_e32 0x80, v5
	s_cbranch_execz .LBB6_6611
; %bb.6606:                             ;   in Loop: Header=BB6_6572 Depth=2
	v_and_b32_e32 v6, 0x7f, v2
	v_mov_b32_e32 v4, 0x7f800001
	s_mov_b32 s28, exec_lo
	s_delay_alu instid0(VALU_DEP_2)
	v_cmpx_ne_u32_e32 0x7f, v6
	s_cbranch_execz .LBB6_6610
; %bb.6607:                             ;   in Loop: Header=BB6_6572 Depth=2
	v_dual_lshrrev_b32 v4, 3, v6 :: v_dual_bitop2_b32 v54, 7, v5 bitop3:0x40
	s_mov_b32 s29, exec_lo
	s_delay_alu instid0(VALU_DEP_1)
	v_mov_b64_e32 v[16:17], v[54:55]
	v_cmpx_gt_u32_e32 8, v6
; %bb.6608:                             ;   in Loop: Header=BB6_6572 Depth=2
	v_clz_i32_u32_e32 v4, v54
	s_delay_alu instid0(VALU_DEP_1) | instskip(NEXT) | instid1(VALU_DEP_1)
	v_min_u32_e32 v4, 32, v4
	v_subrev_nc_u32_e32 v5, 28, v4
	s_delay_alu instid0(VALU_DEP_1) | instskip(NEXT) | instid1(VALU_DEP_1)
	v_lshlrev_b64_e32 v[6:7], v5, v[54:55]
	v_dual_sub_nc_u32 v4, 29, v4 :: v_dual_bitop2_b32 v16, 7, v6 bitop3:0x40
; %bb.6609:                             ;   in Loop: Header=BB6_6572 Depth=2
	s_or_b32 exec_lo, exec_lo, s29
	s_delay_alu instid0(VALU_DEP_1) | instskip(NEXT) | instid1(VALU_DEP_2)
	v_dual_lshlrev_b32 v2, 24, v2 :: v_dual_lshlrev_b32 v5, 20, v16
	v_lshl_add_u32 v4, v4, 23, 0x3c000000
	s_delay_alu instid0(VALU_DEP_2) | instskip(NEXT) | instid1(VALU_DEP_1)
	v_and_b32_e32 v2, 0x80000000, v2
	v_or3_b32 v4, v5, v2, v4
.LBB6_6610:                             ;   in Loop: Header=BB6_6572 Depth=2
	s_or_b32 exec_lo, exec_lo, s28
.LBB6_6611:                             ;   in Loop: Header=BB6_6572 Depth=2
	s_delay_alu instid0(SALU_CYCLE_1)
	s_or_b32 exec_lo, exec_lo, s11
.LBB6_6612:                             ;   in Loop: Header=BB6_6572 Depth=2
	s_delay_alu instid0(SALU_CYCLE_1) | instskip(SKIP_3) | instid1(VALU_DEP_1)
	s_or_b32 exec_lo, exec_lo, s10
	s_wait_loadcnt_dscnt 0x0
	v_and_b32_e32 v2, 0xff, v1
	s_mov_b32 s10, exec_lo
	v_cmpx_ne_u16_e32 0, v2
	s_cbranch_execz .LBB6_6620
; %bb.6613:                             ;   in Loop: Header=BB6_6572 Depth=2
	v_bfrev_b32_e32 v3, 1
	s_mov_b32 s11, exec_lo
	v_cmpx_ne_u16_e32 0x80, v2
	s_cbranch_execz .LBB6_6619
; %bb.6614:                             ;   in Loop: Header=BB6_6572 Depth=2
	v_and_b32_e32 v5, 0x7f, v1
	v_mov_b32_e32 v3, 0x7f800001
	s_mov_b32 s28, exec_lo
	s_delay_alu instid0(VALU_DEP_2)
	v_cmpx_ne_u32_e32 0x7f, v5
	s_cbranch_execz .LBB6_6618
; %bb.6615:                             ;   in Loop: Header=BB6_6572 Depth=2
	v_dual_lshrrev_b32 v2, 3, v5 :: v_dual_bitop2_b32 v54, 7, v2 bitop3:0x40
	s_mov_b32 s29, exec_lo
	s_delay_alu instid0(VALU_DEP_1)
	v_mov_b64_e32 v[16:17], v[54:55]
	v_cmpx_gt_u32_e32 8, v5
; %bb.6616:                             ;   in Loop: Header=BB6_6572 Depth=2
	v_clz_i32_u32_e32 v2, v54
	s_delay_alu instid0(VALU_DEP_1) | instskip(NEXT) | instid1(VALU_DEP_1)
	v_min_u32_e32 v2, 32, v2
	v_subrev_nc_u32_e32 v3, 28, v2
	v_sub_nc_u32_e32 v2, 29, v2
	s_delay_alu instid0(VALU_DEP_2) | instskip(NEXT) | instid1(VALU_DEP_1)
	v_lshlrev_b64_e32 v[6:7], v3, v[54:55]
	v_and_b32_e32 v16, 7, v6
; %bb.6617:                             ;   in Loop: Header=BB6_6572 Depth=2
	s_or_b32 exec_lo, exec_lo, s29
	s_delay_alu instid0(VALU_DEP_1) | instskip(SKIP_1) | instid1(VALU_DEP_2)
	v_dual_lshlrev_b32 v1, 24, v1 :: v_dual_lshlrev_b32 v3, 20, v16
	v_lshl_add_u32 v2, v2, 23, 0x3c000000
	v_and_b32_e32 v1, 0x80000000, v1
	s_delay_alu instid0(VALU_DEP_1)
	v_or3_b32 v3, v3, v1, v2
.LBB6_6618:                             ;   in Loop: Header=BB6_6572 Depth=2
	s_or_b32 exec_lo, exec_lo, s28
.LBB6_6619:                             ;   in Loop: Header=BB6_6572 Depth=2
	s_delay_alu instid0(SALU_CYCLE_1)
	s_or_b32 exec_lo, exec_lo, s11
.LBB6_6620:                             ;   in Loop: Header=BB6_6572 Depth=2
	s_delay_alu instid0(SALU_CYCLE_1) | instskip(NEXT) | instid1(VALU_DEP_1)
	s_or_b32 exec_lo, exec_lo, s10
	v_add_f32_e32 v3, v4, v3
                                        ; implicit-def: $vgpr2
	s_mov_b32 s10, exec_lo
	s_delay_alu instid0(VALU_DEP_1) | instskip(SKIP_1) | instid1(VALU_DEP_2)
	v_and_b32_e32 v54, 0x7f800000, v3
	v_lshrrev_b32_e32 v1, 24, v3
	v_cmpx_ne_u64_e32 0x7f800000, v[54:55]
	s_xor_b32 s11, exec_lo, s10
	s_cbranch_execz .LBB6_6638
; %bb.6621:                             ;   in Loop: Header=BB6_6572 Depth=2
	v_and_b32_e32 v54, 0x7fffffff, v3
	v_and_b32_e32 v1, 0x80, v1
                                        ; implicit-def: $vgpr2
	s_mov_b32 s10, exec_lo
	s_delay_alu instid0(VALU_DEP_2)
	v_cmpx_gt_u64_e32 0x43e00001, v[54:55]
	s_xor_b32 s28, exec_lo, s10
	s_cbranch_execz .LBB6_6635
; %bb.6622:                             ;   in Loop: Header=BB6_6572 Depth=2
	v_mov_b32_e32 v2, 0
	s_mov_b32 s29, exec_lo
	v_cmpx_ne_u32_e32 0, v3
	s_cbranch_execz .LBB6_6634
; %bb.6623:                             ;   in Loop: Header=BB6_6572 Depth=2
	v_bfe_u32 v2, v3, 23, 8
	v_and_b32_e32 v3, 0x7fffff, v3
	s_mov_b32 s40, exec_lo
	s_delay_alu instid0(VALU_DEP_2) | instskip(SKIP_1) | instid1(VALU_DEP_3)
	v_sub_nc_u32_e32 v4, 0x79, v2
	v_cmp_gt_u32_e32 vcc_lo, 0x7a, v2
	v_or_b32_e32 v8, 0x800000, v3
	s_delay_alu instid0(VALU_DEP_3) | instskip(SKIP_1) | instid1(VALU_DEP_3)
	v_cndmask_b32_e32 v4, 0, v4, vcc_lo
	v_cmp_eq_u32_e32 vcc_lo, 0, v2
	v_cndmask_b32_e32 v54, v8, v3, vcc_lo
	s_delay_alu instid0(VALU_DEP_3) | instskip(NEXT) | instid1(VALU_DEP_1)
	v_cndmask_b32_e64 v4, v4, 0x78, vcc_lo
	v_add_nc_u32_e32 v5, 20, v4
	s_delay_alu instid0(VALU_DEP_3) | instskip(NEXT) | instid1(VALU_DEP_2)
	v_lshrrev_b64 v[16:17], v4, v[54:55]
	v_lshlrev_b64_e64 v[6:7], v5, -1
	v_add_nc_u32_e32 v5, 19, v4
	s_delay_alu instid0(VALU_DEP_3) | instskip(NEXT) | instid1(VALU_DEP_2)
	v_mov_b64_e32 v[18:19], v[16:17]
	v_lshlrev_b64_e64 v[8:9], v5, 1
	s_delay_alu instid0(VALU_DEP_4) | instskip(SKIP_1) | instid1(VALU_DEP_1)
	v_bfi_b32 v7, v7, 0, 0
	v_bfi_b32 v6, v6, 0, v54
	v_cmpx_eq_u64_e64 v[6:7], v[8:9]
; %bb.6624:                             ;   in Loop: Header=BB6_6572 Depth=2
	v_bfe_u32 v54, v16, 20, 1
	s_delay_alu instid0(VALU_DEP_1) | instskip(NEXT) | instid1(VALU_DEP_1)
	v_add_nc_u64_e32 v[6:7], v[16:17], v[54:55]
	v_add_nc_u64_e32 v[18:19], -1, v[6:7]
; %bb.6625:                             ;   in Loop: Header=BB6_6572 Depth=2
	s_or_b32 exec_lo, exec_lo, s40
	v_add_nc_u32_e32 v2, 0xffffff81, v2
	v_lshrrev_b32_e32 v3, 23, v16
	s_mov_b32 s10, exec_lo
	s_delay_alu instid0(VALU_DEP_2) | instskip(NEXT) | instid1(VALU_DEP_1)
	v_cndmask_b32_e64 v2, v2, 0xffffff82, vcc_lo
	v_add3_u32 v2, v4, v2, v3
	v_and_b32_e32 v3, 0xfffff, v18
	s_delay_alu instid0(VALU_DEP_1) | instskip(NEXT) | instid1(VALU_DEP_1)
	v_dual_add_nc_u32 v4, 6, v2 :: v_dual_add_nc_u32 v54, v3, v16
                                        ; implicit-def: $vgpr16_vgpr17
                                        ; implicit-def: $vgpr3
	v_cmpx_ne_u32_e32 0, v4
	s_xor_b32 s10, exec_lo, s10
; %bb.6626:                             ;   in Loop: Header=BB6_6572 Depth=2
	s_delay_alu instid0(VALU_DEP_2) | instskip(SKIP_1) | instid1(VALU_DEP_1)
	v_cmp_lt_u64_e32 vcc_lo, 0xffffff, v[54:55]
	v_add_nc_u32_e32 v2, 7, v2
	v_cndmask_b32_e32 v3, v4, v2, vcc_lo
	v_cndmask_b32_e64 v2, 0, 1, vcc_lo
	s_delay_alu instid0(VALU_DEP_1)
	v_lshrrev_b64 v[16:17], v2, v[54:55]
; %bb.6627:                             ;   in Loop: Header=BB6_6572 Depth=2
	s_and_not1_saveexec_b32 s10, s10
; %bb.6628:                             ;   in Loop: Header=BB6_6572 Depth=2
	v_mov_b64_e32 v[16:17], v[54:55]
	v_bfe_u32 v3, v54, 23, 1
; %bb.6629:                             ;   in Loop: Header=BB6_6572 Depth=2
	s_or_b32 exec_lo, exec_lo, s10
	s_delay_alu instid0(VALU_DEP_2) | instskip(NEXT) | instid1(VALU_DEP_2)
	v_lshrrev_b64 v[4:5], 20, v[16:17]
	v_cmp_gt_i32_e32 vcc_lo, 16, v3
	v_cmp_ne_u32_e64 s10, 0, v3
                                        ; implicit-def: $vgpr2
	s_delay_alu instid0(VALU_DEP_3) | instskip(NEXT) | instid1(VALU_DEP_1)
	v_dual_cndmask_b32 v17, 0, v5 :: v_dual_cndmask_b32 v16, 7, v4
	v_cmp_ne_u64_e32 vcc_lo, 0, v[16:17]
	s_or_b32 s10, s10, vcc_lo
	s_delay_alu instid0(SALU_CYCLE_1) | instskip(NEXT) | instid1(SALU_CYCLE_1)
	s_and_saveexec_b32 s40, s10
	s_xor_b32 s10, exec_lo, s40
; %bb.6630:                             ;   in Loop: Header=BB6_6572 Depth=2
	v_min_i32_e32 v2, 15, v3
	s_delay_alu instid0(VALU_DEP_1) | instskip(NEXT) | instid1(VALU_DEP_1)
	v_lshl_or_b32 v1, v2, 3, v1
	v_and_or_b32 v2, v16, 7, v1
                                        ; implicit-def: $vgpr1
; %bb.6631:                             ;   in Loop: Header=BB6_6572 Depth=2
	s_and_not1_saveexec_b32 s10, s10
; %bb.6632:                             ;   in Loop: Header=BB6_6572 Depth=2
	v_mov_b32_e32 v2, v1
; %bb.6633:                             ;   in Loop: Header=BB6_6572 Depth=2
	s_or_b32 exec_lo, exec_lo, s10
.LBB6_6634:                             ;   in Loop: Header=BB6_6572 Depth=2
	s_delay_alu instid0(SALU_CYCLE_1)
	s_or_b32 exec_lo, exec_lo, s29
                                        ; implicit-def: $vgpr1
.LBB6_6635:                             ;   in Loop: Header=BB6_6572 Depth=2
	s_and_not1_saveexec_b32 s10, s28
; %bb.6636:                             ;   in Loop: Header=BB6_6572 Depth=2
	v_or_b32_e32 v2, 0x7e, v1
; %bb.6637:                             ;   in Loop: Header=BB6_6572 Depth=2
	s_or_b32 exec_lo, exec_lo, s10
                                        ; implicit-def: $vgpr1
.LBB6_6638:                             ;   in Loop: Header=BB6_6572 Depth=2
	s_and_not1_saveexec_b32 s10, s11
	s_cbranch_execz .LBB6_6571
; %bb.6639:                             ;   in Loop: Header=BB6_6572 Depth=2
	v_or_b32_e32 v2, 0x7f, v1
	s_branch .LBB6_6571
.LBB6_6640:                             ;   in Loop: Header=BB6_49 Depth=1
	s_or_b32 exec_lo, exec_lo, s12
	scratch_load_b32 v4, off, s33 offset:396 ; 4-byte Folded Reload
	v_cmp_ne_u32_e64 s10, 0, v87
	v_mov_b32_e32 v5, 1
	s_wait_xcnt 0x0
	s_and_saveexec_b32 s11, s2
	s_cbranch_execz .LBB6_6659
.LBB6_6641:                             ;   in Loop: Header=BB6_49 Depth=1
	s_and_saveexec_b32 s12, s3
	s_delay_alu instid0(SALU_CYCLE_1)
	s_xor_b32 s12, exec_lo, s12
	s_cbranch_execz .LBB6_6656
; %bb.6642:                             ;   in Loop: Header=BB6_49 Depth=1
	s_and_saveexec_b32 s27, s4
	s_cbranch_execz .LBB6_6655
; %bb.6643:                             ;   in Loop: Header=BB6_49 Depth=1
	s_mov_b32 s29, exec_lo
	s_mov_b32 s28, exec_lo
	v_mbcnt_lo_u32_b32 v0, s29, 0
	global_wb scope:SCOPE_DEV
	s_wait_storecnt 0x0
	s_wait_loadcnt_dscnt 0x0
	global_inv scope:SCOPE_DEV
	v_cmpx_eq_u32_e32 0, v0
	s_cbranch_execz .LBB6_6645
; %bb.6644:                             ;   in Loop: Header=BB6_49 Depth=1
	s_bcnt1_i32_b32 s29, s29
	s_delay_alu instid0(SALU_CYCLE_1)
	v_mov_b32_e32 v54, s29
	s_wait_loadcnt 0x0
	ds_add_u64 v0, v[54:55]
	s_trap 2
.LBB6_6645:                             ;   in Loop: Header=BB6_49 Depth=1
	s_or_b32 exec_lo, exec_lo, s28
	s_trap 2
	ds_load_b64 v[0:1], v0
	s_wait_dscnt 0x0
	scratch_load_b64 v[2:3], off, s33 offset:204 th:TH_LOAD_LU ; 8-byte Folded Reload
	s_mov_b32 s28, exec_lo
	s_wait_loadcnt 0x0
	v_add_nc_u64_e32 v[2:3], v[2:3], v[64:65]
	scratch_store_b64 off, v[2:3], s33 offset:204 ; 8-byte Folded Spill
	s_wait_xcnt 0x0
	v_cmpx_lt_u64_e64 v[0:1], v[2:3]
	s_cbranch_execz .LBB6_6654
; %bb.6646:                             ;   in Loop: Header=BB6_49 Depth=1
	s_mov_b32 s29, 0
	s_mov_b32 s42, 0
                                        ; implicit-def: $sgpr40
                                        ; implicit-def: $sgpr41
	s_branch .LBB6_6648
.LBB6_6647:                             ;   in Loop: Header=BB6_6648 Depth=2
	s_wait_xcnt 0x0
	s_or_b32 exec_lo, exec_lo, s44
	s_delay_alu instid0(SALU_CYCLE_1) | instskip(NEXT) | instid1(SALU_CYCLE_1)
	s_and_b32 s43, exec_lo, s45
	s_or_b32 s29, s43, s29
	s_and_not1_b32 s40, s40, exec_lo
	s_and_b32 s43, s41, exec_lo
	s_delay_alu instid0(SALU_CYCLE_1)
	s_or_b32 s40, s40, s43
	s_and_not1_b32 exec_lo, exec_lo, s29
	s_cbranch_execz .LBB6_6652
.LBB6_6648:                             ;   Parent Loop BB6_49 Depth=1
                                        ; =>  This Inner Loop Header: Depth=2
	s_add_co_i32 s42, s42, 1
	s_delay_alu instid0(SALU_CYCLE_1) | instskip(SKIP_1) | instid1(SALU_CYCLE_1)
	s_cmp_lg_u32 s42, 0x2710
	s_cselect_b32 s43, -1, 0
	s_and_b32 vcc_lo, exec_lo, s43
	s_cbranch_vccz .LBB6_6650
; %bb.6649:                             ;   in Loop: Header=BB6_6648 Depth=2
	s_mov_b32 s45, -1
	s_or_b32 s41, s41, exec_lo
	s_and_saveexec_b32 s44, s43
	s_cbranch_execz .LBB6_6647
	s_branch .LBB6_6651
.LBB6_6650:                             ;   in Loop: Header=BB6_6648 Depth=2
	s_trap 2
	ds_load_b64 v[0:1], v0
	s_and_not1_b32 s43, s43, exec_lo
	s_mov_b32 s42, 0
	s_wait_storecnt_dscnt 0x0
	flat_load_b32 v0, v[0:1] scope:SCOPE_SYS
	s_wait_loadcnt_dscnt 0x0
	global_inv scope:SCOPE_SYS
	v_cmp_eq_u32_e32 vcc_lo, 0, v0
	s_and_b32 s44, vcc_lo, exec_lo
	s_delay_alu instid0(SALU_CYCLE_1)
	s_or_b32 s43, s43, s44
	s_mov_b32 s45, -1
	s_or_b32 s41, s41, exec_lo
	s_wait_xcnt 0x0
	s_and_saveexec_b32 s44, s43
	s_cbranch_execz .LBB6_6647
.LBB6_6651:                             ;   in Loop: Header=BB6_6648 Depth=2
	s_sleep 1
	s_trap 2
	ds_load_b64 v[0:1], v0
	s_wait_dscnt 0x0
	scratch_load_b64 v[2:3], off, s33 offset:204 ; 8-byte Folded Reload
	s_and_not1_b32 s41, s41, exec_lo
	s_wait_loadcnt 0x0
	v_cmp_ge_u64_e32 vcc_lo, v[0:1], v[2:3]
	s_or_not1_b32 s45, vcc_lo, exec_lo
	s_branch .LBB6_6647
.LBB6_6652:                             ;   in Loop: Header=BB6_49 Depth=1
	s_or_b32 exec_lo, exec_lo, s29
	s_and_saveexec_b32 s29, s40
	s_delay_alu instid0(SALU_CYCLE_1)
	s_xor_b32 s29, exec_lo, s29
	s_cbranch_execz .LBB6_6654
; %bb.6653:                             ;   in Loop: Header=BB6_49 Depth=1
	ds_store_b32 v0, v5
	s_trap 2
.LBB6_6654:                             ;   in Loop: Header=BB6_49 Depth=1
	s_or_b32 exec_lo, exec_lo, s28
	;;#ASMSTART
	s_wakeup
	;;#ASMEND
.LBB6_6655:                             ;   in Loop: Header=BB6_49 Depth=1
	s_or_b32 exec_lo, exec_lo, s27
.LBB6_6656:                             ;   in Loop: Header=BB6_49 Depth=1
	s_and_not1_saveexec_b32 s12, s12
	s_cbranch_execz .LBB6_6658
; %bb.6657:                             ;   in Loop: Header=BB6_49 Depth=1
	global_wb scope:SCOPE_DEV
	s_wait_storecnt 0x0
	s_wait_loadcnt_dscnt 0x0
	global_inv scope:SCOPE_DEV
	s_barrier_signal -1
	s_barrier_wait -1
.LBB6_6658:                             ;   in Loop: Header=BB6_49 Depth=1
	s_or_b32 exec_lo, exec_lo, s12
.LBB6_6659:                             ;   in Loop: Header=BB6_49 Depth=1
	s_delay_alu instid0(SALU_CYCLE_1) | instskip(SKIP_2) | instid1(VALU_DEP_1)
	s_or_b32 exec_lo, exec_lo, s11
	s_wait_loadcnt 0x0
	v_and_b32_e32 v0, 16, v4
	v_cmp_ne_u32_e32 vcc_lo, 0, v0
	s_and_b32 s11, vcc_lo, s10
	s_delay_alu instid0(SALU_CYCLE_1)
	s_and_saveexec_b32 s10, s11
	s_cbranch_execz .LBB6_6661
; %bb.6660:                             ;   in Loop: Header=BB6_49 Depth=1
	global_wb scope:SCOPE_SYS
	s_wait_storecnt_dscnt 0x0
	global_inv scope:SCOPE_SYS
.LBB6_6661:                             ;   in Loop: Header=BB6_49 Depth=1
	s_or_b32 exec_lo, exec_lo, s10
	v_cmp_ne_u32_e32 vcc_lo, 0, v0
	s_xor_b32 s10, s7, -1
	s_delay_alu instid0(SALU_CYCLE_1) | instskip(NEXT) | instid1(SALU_CYCLE_1)
	s_and_b32 s11, vcc_lo, s10
	s_and_saveexec_b32 s10, s11
	s_cbranch_execz .LBB6_6663
; %bb.6662:                             ;   in Loop: Header=BB6_49 Depth=1
	scratch_load_b64 v[0:1], off, s33 offset:400 ; 8-byte Folded Reload
	global_wb scope:SCOPE_SYS
	s_wait_storecnt 0x0
	s_wait_xcnt 0x0
	s_wait_loadcnt_dscnt 0x0
	flat_store_b32 v[0:1], v5 scope:SCOPE_SYS
.LBB6_6663:                             ;   in Loop: Header=BB6_49 Depth=1
	s_wait_xcnt 0x0
	s_or_b32 exec_lo, exec_lo, s10
	v_and_b32_e32 v0, 48, v4
	s_mov_b32 s10, exec_lo
	s_delay_alu instid0(VALU_DEP_1)
	v_cmpx_ne_u32_e32 0, v0
	s_cbranch_execz .LBB6_6665
; %bb.6664:                             ;   in Loop: Header=BB6_49 Depth=1
	scratch_load_b128 v[0:3], off, s33 offset:188 th:TH_LOAD_LU ; 16-byte Folded Reload
	s_wait_loadcnt 0x0
	v_add_nc_u64_e32 v[2:3], 1, v[2:3]
	scratch_store_b128 off, v[0:3], s33 offset:188 ; 16-byte Folded Spill
	global_wb scope:SCOPE_SYS
	s_wait_xcnt 0x0
	s_wait_storecnt_dscnt 0x0
	flat_store_b64 v[32:33], v[2:3] scope:SCOPE_SYS
.LBB6_6665:                             ;   in Loop: Header=BB6_49 Depth=1
	s_wait_xcnt 0x0
	s_or_b32 exec_lo, exec_lo, s10
	v_mov_b32_e32 v0, v96
.LBB6_6666:                             ;   in Loop: Header=BB6_49 Depth=1
	s_or_b32 exec_lo, exec_lo, s26
	s_and_saveexec_b32 s11, s25
	s_cbranch_execnz .LBB6_6667
; %bb.17963:                            ;   in Loop: Header=BB6_49 Depth=1
	s_add_pc_i64 .LBB6_48-.Lpost_addpc22
.Lpost_addpc22:
.LBB6_6667:                             ;   in Loop: Header=BB6_49 Depth=1
	s_delay_alu instid0(VALU_DEP_1) | instskip(SKIP_2) | instid1(VALU_DEP_2)
	v_sub_nc_u32_e32 v0, v86, v0
	v_and_b32_e32 v1, 12, v4
	s_mov_b32 s12, exec_lo
	v_min_i32_e32 v10, v96, v0
	s_delay_alu instid0(VALU_DEP_2)
	v_cmpx_ne_u32_e32 0, v1
	s_cbranch_execz .LBB6_6693
; %bb.6668:                             ;   in Loop: Header=BB6_49 Depth=1
	scratch_load_b128 v[6:9], off, s33 offset:188 ; 16-byte Folded Reload
	v_and_b32_e32 v54, 8, v4
	s_mov_b32 s25, exec_lo
	s_delay_alu instid0(VALU_DEP_1) | instskip(SKIP_3) | instid1(VALU_DEP_1)
	v_add_nc_u64_e32 v[0:1], v[48:49], v[54:55]
	s_wait_loadcnt 0x0
	v_add_nc_u64_e32 v[12:13], 1, v[8:9]
	s_wait_xcnt 0x0
	v_cmpx_lt_u64_e64 v[0:1], v[12:13]
	s_cbranch_execz .LBB6_6680
; %bb.6669:                             ;   in Loop: Header=BB6_49 Depth=1
	v_and_b32_e32 v0, 64, v4
	s_mov_b32 s26, 0
	s_mov_b32 s40, 0
                                        ; implicit-def: $sgpr27
                                        ; implicit-def: $sgpr28
                                        ; implicit-def: $sgpr29
	s_delay_alu instid0(VALU_DEP_1)
	v_cmp_eq_u32_e32 vcc_lo, 0, v0
	s_branch .LBB6_6672
.LBB6_6670:                             ;   in Loop: Header=BB6_6672 Depth=2
	s_or_b32 exec_lo, exec_lo, s45
	s_delay_alu instid0(SALU_CYCLE_1)
	s_and_not1_b32 s10, s29, exec_lo
	s_and_b32 s29, s43, exec_lo
	s_and_not1_b32 s28, s28, exec_lo
	s_and_b32 s42, s42, exec_lo
	s_or_b32 s29, s10, s29
	s_or_b32 s28, s28, s42
.LBB6_6671:                             ;   in Loop: Header=BB6_6672 Depth=2
	s_or_b32 exec_lo, exec_lo, s41
	s_delay_alu instid0(SALU_CYCLE_1) | instskip(NEXT) | instid1(SALU_CYCLE_1)
	s_and_b32 s10, exec_lo, s28
	s_or_b32 s26, s10, s26
	s_and_not1_b32 s10, s27, exec_lo
	s_and_b32 s27, s29, exec_lo
	s_delay_alu instid0(SALU_CYCLE_1)
	s_or_b32 s27, s10, s27
	s_and_not1_b32 exec_lo, exec_lo, s26
	s_cbranch_execz .LBB6_6677
.LBB6_6672:                             ;   Parent Loop BB6_49 Depth=1
                                        ; =>  This Inner Loop Header: Depth=2
	s_sleep 1
	s_wait_loadcnt_dscnt 0x0
	flat_load_b64 v[48:49], v[32:33] scope:SCOPE_SYS
	s_or_b32 s29, s29, exec_lo
	s_or_b32 s28, s28, exec_lo
                                        ; implicit-def: $vgpr0
	s_wait_xcnt 0x0
	s_and_saveexec_b32 s41, vcc_lo
	s_cbranch_execz .LBB6_6671
; %bb.6673:                             ;   in Loop: Header=BB6_6672 Depth=2
	s_cmp_lt_i32 s40, 0x270f
	s_mov_b32 s42, -1
	s_cselect_b32 s44, -1, 0
	s_cmp_gt_i32 s40, 0x270e
	s_cbranch_scc0 .LBB6_6675
; %bb.6674:                             ;   in Loop: Header=BB6_6672 Depth=2
	s_trap 2
	ds_load_b64 v[0:1], v0
	s_and_not1_b32 s40, s44, exec_lo
	s_mov_b32 s43, 0
	s_wait_storecnt 0x0
	s_wait_loadcnt_dscnt 0x0
	flat_load_b32 v0, v[0:1] scope:SCOPE_SYS
	s_wait_loadcnt_dscnt 0x0
	global_inv scope:SCOPE_SYS
	v_cmp_eq_u32_e64 s10, 0, v0
	s_and_b32 s10, s10, exec_lo
	s_delay_alu instid0(SALU_CYCLE_1)
	s_or_b32 s44, s40, s10
	s_mov_b32 s40, 0
	s_wait_xcnt 0x0
	s_and_saveexec_b32 s45, s44
	s_cbranch_execz .LBB6_6670
	s_branch .LBB6_6676
.LBB6_6675:                             ;   in Loop: Header=BB6_6672 Depth=2
	s_add_co_i32 s40, s40, 1
	s_mov_b32 s43, -1
                                        ; implicit-def: $vgpr0
	s_and_saveexec_b32 s45, s44
	s_cbranch_execz .LBB6_6670
.LBB6_6676:                             ;   in Loop: Header=BB6_6672 Depth=2
	s_wait_loadcnt_dscnt 0x0
	v_add_nc_u64_e32 v[2:3], v[48:49], v[54:55]
	s_or_b32 s43, s43, exec_lo
	s_delay_alu instid0(VALU_DEP_1)
	v_cmp_ge_u64_e64 s10, v[2:3], v[12:13]
	s_or_not1_b32 s42, s10, exec_lo
	s_branch .LBB6_6670
.LBB6_6677:                             ;   in Loop: Header=BB6_49 Depth=1
	s_or_b32 exec_lo, exec_lo, s26
	s_xor_b32 s10, s27, -1
	s_delay_alu instid0(SALU_CYCLE_1) | instskip(NEXT) | instid1(SALU_CYCLE_1)
	s_and_saveexec_b32 s26, s10
	s_xor_b32 s10, exec_lo, s26
	s_cbranch_execz .LBB6_6679
; %bb.6678:                             ;   in Loop: Header=BB6_49 Depth=1
	v_or_b32_e32 v4, 64, v4
	s_wait_storecnt 0x0
	s_wait_loadcnt_dscnt 0x0
	ds_store_b32 v0, v0
	s_trap 2
.LBB6_6679:                             ;   in Loop: Header=BB6_49 Depth=1
	s_or_b32 exec_lo, exec_lo, s10
.LBB6_6680:                             ;   in Loop: Header=BB6_49 Depth=1
	s_delay_alu instid0(SALU_CYCLE_1) | instskip(SKIP_1) | instid1(VALU_DEP_1)
	s_or_b32 exec_lo, exec_lo, s25
	v_and_b32_e32 v0, 0x108, v4
	v_cmp_ne_u32_e32 vcc_lo, 0x108, v0
	scratch_load_b128 v[0:3], off, s33 offset:188 ; 16-byte Folded Reload
	;;#ASMSTART
	s_wakeup
	;;#ASMEND
	s_wait_loadcnt 0x0
	v_and_b32_e32 v8, 7, v2
	s_wait_xcnt 0x0
	s_and_saveexec_b32 s10, vcc_lo
	s_delay_alu instid0(SALU_CYCLE_1)
	s_xor_b32 s10, exec_lo, s10
; %bb.6681:                             ;   in Loop: Header=BB6_49 Depth=1
	v_mov_b32_e32 v9, v55
; %bb.6682:                             ;   in Loop: Header=BB6_49 Depth=1
	s_and_not1_saveexec_b32 s10, s10
	s_cbranch_execz .LBB6_6684
; %bb.6683:                             ;   in Loop: Header=BB6_49 Depth=1
	scratch_load_b128 v[0:3], off, s33 offset:188 ; 16-byte Folded Reload
	v_dual_ashrrev_i32 v11, 31, v10 :: v_dual_mov_b32 v9, v55
	s_wait_loadcnt 0x0
	v_mad_nc_u64_u32 v[0:1], v8, 24, v[0:1]
	flat_store_b64 v[0:1], v[10:11] offset:8
.LBB6_6684:                             ;   in Loop: Header=BB6_49 Depth=1
	s_wait_xcnt 0x0
	s_or_b32 exec_lo, exec_lo, s10
	v_and_b32_e32 v0, 0x100, v4
	s_mov_b32 s10, -1
	s_mov_b32 s25, exec_lo
                                        ; implicit-def: $vgpr14_vgpr15
	s_delay_alu instid0(VALU_DEP_1)
	v_cmpx_ne_u32_e32 0, v0
	s_cbranch_execz .LBB6_6688
; %bb.6685:                             ;   in Loop: Header=BB6_49 Depth=1
	scratch_load_b128 v[0:3], off, s33 offset:188 ; 16-byte Folded Reload
	s_mov_b32 s26, exec_lo
                                        ; implicit-def: $vgpr14_vgpr15
	s_wait_loadcnt 0x0
	v_mad_nc_u64_u32 v[16:17], v8, 24, v[0:1]
	s_delay_alu instid0(VALU_DEP_1)
	v_mad_u32 v17, v9, 24, v17
	flat_load_b32 v0, v[16:17]
	s_wait_loadcnt_dscnt 0x0
	v_cmp_ne_u32_e32 vcc_lo, 1, v0
	s_wait_xcnt 0x0
	v_cmpx_eq_u32_e32 1, v0
	s_cbranch_execz .LBB6_6687
; %bb.6686:                             ;   in Loop: Header=BB6_49 Depth=1
	flat_load_b32 v14, v[16:17] offset:4 scope:SCOPE_SYS
	s_wait_loadcnt_dscnt 0x0
	v_ashrrev_i32_e32 v15, 31, v14
.LBB6_6687:                             ;   in Loop: Header=BB6_49 Depth=1
	s_wait_xcnt 0x0
	s_or_b32 exec_lo, exec_lo, s26
	s_delay_alu instid0(SALU_CYCLE_1)
	s_or_not1_b32 s10, vcc_lo, exec_lo
.LBB6_6688:                             ;   in Loop: Header=BB6_49 Depth=1
	s_or_b32 exec_lo, exec_lo, s25
	s_and_saveexec_b32 s25, s10
	s_cbranch_execz .LBB6_6690
; %bb.6689:                             ;   in Loop: Header=BB6_49 Depth=1
	scratch_load_b64 v[0:1], off, s33 offset:388 ; 8-byte Folded Reload
	s_wait_loadcnt 0x0
	v_mul_u64_e32 v[14:15], v[8:9], v[0:1]
.LBB6_6690:                             ;   in Loop: Header=BB6_49 Depth=1
	s_wait_xcnt 0x0
	s_or_b32 exec_lo, exec_lo, s25
	v_cmp_eq_u32_e32 vcc_lo, 0, v54
	v_mov_b32_e32 v0, 0x90
	v_and_b32_e32 v3, 0x2000, v4
	s_mov_b32 s10, exec_lo
	s_delay_alu instid0(VALU_DEP_2) | instskip(SKIP_3) | instid1(VALU_DEP_1)
	v_cndmask_b32_e32 v2, 0xc8, v0, vcc_lo
	scratch_load_b64 v[0:1], off, s33 offset:380 ; 8-byte Folded Reload
	s_wait_loadcnt 0x0
	v_add_nc_u64_e32 v[0:1], v[0:1], v[14:15]
	v_add_nc_u32_e32 v2, v0, v2
	ds_store_b64 v2, v[0:1] offset:584
	s_wait_xcnt 0x0
	v_cmpx_ne_u32_e32 0, v3
	s_cbranch_execz .LBB6_6692
; %bb.6691:                             ;   in Loop: Header=BB6_49 Depth=1
	ds_load_b64 v[0:1], v0 offset:872
	s_wait_dscnt 0x0
	v_add_nc_u64_e32 v[0:1], 1, v[0:1]
	ds_store_b64 v0, v[0:1] offset:872
.LBB6_6692:                             ;   in Loop: Header=BB6_49 Depth=1
	s_or_b32 exec_lo, exec_lo, s10
	scratch_load_b128 v[0:3], off, s33 offset:188 ; 16-byte Folded Reload
	s_wait_loadcnt 0x0
	v_mov_b64_e32 v[2:3], v[12:13]
	scratch_store_b128 off, v[0:3], s33 offset:188 ; 16-byte Folded Spill
.LBB6_6693:                             ;   in Loop: Header=BB6_49 Depth=1
	s_wait_xcnt 0x0
	s_or_b32 exec_lo, exec_lo, s12
	s_and_saveexec_b32 s10, s2
	s_cbranch_execz .LBB6_6712
; %bb.6694:                             ;   in Loop: Header=BB6_49 Depth=1
	s_and_saveexec_b32 s12, s3
	s_delay_alu instid0(SALU_CYCLE_1)
	s_xor_b32 s12, exec_lo, s12
	s_cbranch_execz .LBB6_6709
; %bb.6695:                             ;   in Loop: Header=BB6_49 Depth=1
	s_and_saveexec_b32 s25, s4
	s_cbranch_execz .LBB6_6708
; %bb.6696:                             ;   in Loop: Header=BB6_49 Depth=1
	s_mov_b32 s27, exec_lo
	s_mov_b32 s26, exec_lo
	v_mbcnt_lo_u32_b32 v0, s27, 0
	global_wb scope:SCOPE_DEV
	s_wait_storecnt 0x0
	s_wait_loadcnt_dscnt 0x0
	global_inv scope:SCOPE_DEV
	v_cmpx_eq_u32_e32 0, v0
	s_cbranch_execz .LBB6_6698
; %bb.6697:                             ;   in Loop: Header=BB6_49 Depth=1
	s_bcnt1_i32_b32 s27, s27
	s_delay_alu instid0(SALU_CYCLE_1)
	v_mov_b32_e32 v54, s27
	s_wait_loadcnt 0x0
	ds_add_u64 v0, v[54:55]
	s_trap 2
.LBB6_6698:                             ;   in Loop: Header=BB6_49 Depth=1
	s_or_b32 exec_lo, exec_lo, s26
	s_trap 2
	ds_load_b64 v[0:1], v0
	s_wait_dscnt 0x0
	scratch_load_b64 v[2:3], off, s33 offset:204 th:TH_LOAD_LU ; 8-byte Folded Reload
	s_mov_b32 s26, exec_lo
	s_wait_loadcnt 0x0
	v_add_nc_u64_e32 v[2:3], v[2:3], v[64:65]
	scratch_store_b64 off, v[2:3], s33 offset:204 ; 8-byte Folded Spill
	s_wait_xcnt 0x0
	v_cmpx_lt_u64_e64 v[0:1], v[2:3]
	s_cbranch_execz .LBB6_6707
; %bb.6699:                             ;   in Loop: Header=BB6_49 Depth=1
	s_mov_b32 s27, 0
	s_mov_b32 s40, 0
                                        ; implicit-def: $sgpr28
                                        ; implicit-def: $sgpr29
	s_branch .LBB6_6701
.LBB6_6700:                             ;   in Loop: Header=BB6_6701 Depth=2
	s_wait_xcnt 0x0
	s_or_b32 exec_lo, exec_lo, s42
	s_delay_alu instid0(SALU_CYCLE_1) | instskip(NEXT) | instid1(SALU_CYCLE_1)
	s_and_b32 s41, exec_lo, s43
	s_or_b32 s27, s41, s27
	s_and_not1_b32 s28, s28, exec_lo
	s_and_b32 s41, s29, exec_lo
	s_delay_alu instid0(SALU_CYCLE_1)
	s_or_b32 s28, s28, s41
	s_and_not1_b32 exec_lo, exec_lo, s27
	s_cbranch_execz .LBB6_6705
.LBB6_6701:                             ;   Parent Loop BB6_49 Depth=1
                                        ; =>  This Inner Loop Header: Depth=2
	s_add_co_i32 s40, s40, 1
	s_delay_alu instid0(SALU_CYCLE_1) | instskip(SKIP_1) | instid1(SALU_CYCLE_1)
	s_cmp_lg_u32 s40, 0x2710
	s_cselect_b32 s41, -1, 0
	s_and_b32 vcc_lo, exec_lo, s41
	s_cbranch_vccz .LBB6_6703
; %bb.6702:                             ;   in Loop: Header=BB6_6701 Depth=2
	s_mov_b32 s43, -1
	s_or_b32 s29, s29, exec_lo
	s_and_saveexec_b32 s42, s41
	s_cbranch_execz .LBB6_6700
	s_branch .LBB6_6704
.LBB6_6703:                             ;   in Loop: Header=BB6_6701 Depth=2
	s_trap 2
	ds_load_b64 v[0:1], v0
	s_and_not1_b32 s41, s41, exec_lo
	s_mov_b32 s40, 0
	s_wait_storecnt_dscnt 0x0
	flat_load_b32 v0, v[0:1] scope:SCOPE_SYS
	s_wait_loadcnt_dscnt 0x0
	global_inv scope:SCOPE_SYS
	v_cmp_eq_u32_e32 vcc_lo, 0, v0
	s_and_b32 s42, vcc_lo, exec_lo
	s_delay_alu instid0(SALU_CYCLE_1)
	s_or_b32 s41, s41, s42
	s_mov_b32 s43, -1
	s_or_b32 s29, s29, exec_lo
	s_wait_xcnt 0x0
	s_and_saveexec_b32 s42, s41
	s_cbranch_execz .LBB6_6700
.LBB6_6704:                             ;   in Loop: Header=BB6_6701 Depth=2
	s_sleep 1
	s_trap 2
	ds_load_b64 v[0:1], v0
	s_wait_dscnt 0x0
	scratch_load_b64 v[2:3], off, s33 offset:204 ; 8-byte Folded Reload
	s_and_not1_b32 s29, s29, exec_lo
	s_wait_loadcnt 0x0
	v_cmp_ge_u64_e32 vcc_lo, v[0:1], v[2:3]
	s_or_not1_b32 s43, vcc_lo, exec_lo
	s_branch .LBB6_6700
.LBB6_6705:                             ;   in Loop: Header=BB6_49 Depth=1
	s_or_b32 exec_lo, exec_lo, s27
	s_and_saveexec_b32 s27, s28
	s_delay_alu instid0(SALU_CYCLE_1)
	s_xor_b32 s27, exec_lo, s27
	s_cbranch_execz .LBB6_6707
; %bb.6706:                             ;   in Loop: Header=BB6_49 Depth=1
	ds_store_b32 v0, v5
	s_trap 2
.LBB6_6707:                             ;   in Loop: Header=BB6_49 Depth=1
	s_or_b32 exec_lo, exec_lo, s26
	;;#ASMSTART
	s_wakeup
	;;#ASMEND
.LBB6_6708:                             ;   in Loop: Header=BB6_49 Depth=1
	s_or_b32 exec_lo, exec_lo, s25
.LBB6_6709:                             ;   in Loop: Header=BB6_49 Depth=1
	s_and_not1_saveexec_b32 s12, s12
	s_cbranch_execz .LBB6_6711
; %bb.6710:                             ;   in Loop: Header=BB6_49 Depth=1
	global_wb scope:SCOPE_DEV
	s_wait_storecnt 0x0
	s_wait_loadcnt_dscnt 0x0
	global_inv scope:SCOPE_DEV
	s_barrier_signal -1
	s_barrier_wait -1
.LBB6_6711:                             ;   in Loop: Header=BB6_49 Depth=1
	s_or_b32 exec_lo, exec_lo, s12
.LBB6_6712:                             ;   in Loop: Header=BB6_49 Depth=1
	s_delay_alu instid0(SALU_CYCLE_1)
	s_or_b32 exec_lo, exec_lo, s10
	s_trap 2
	ds_load_b32 v0, v0
	v_cmp_lt_i32_e32 vcc_lo, 0, v10
	s_wait_dscnt 0x0
	v_readfirstlane_b32 s10, v0
	v_and_b32_e32 v0, 16, v4
	s_cmp_eq_u32 s10, 0
	s_delay_alu instid0(VALU_DEP_1) | instskip(SKIP_1) | instid1(SALU_CYCLE_1)
	v_cmp_ne_u32_e64 s10, 0, v0
	s_cselect_b32 s12, -1, 0
	s_and_b32 s12, vcc_lo, s12
	s_delay_alu instid0(SALU_CYCLE_1) | instskip(NEXT) | instid1(SALU_CYCLE_1)
	s_and_b32 s12, s10, s12
	s_and_saveexec_b32 s10, s12
	s_cbranch_execz .LBB6_6714
; %bb.6713:                             ;   in Loop: Header=BB6_49 Depth=1
	global_wb scope:SCOPE_SYS
	s_wait_loadcnt 0x0
	s_wait_storecnt 0x0
	global_inv scope:SCOPE_SYS
.LBB6_6714:                             ;   in Loop: Header=BB6_49 Depth=1
	s_or_b32 exec_lo, exec_lo, s10
	v_cmp_ne_u32_e32 vcc_lo, 0, v0
	s_xor_b32 s10, s7, -1
	s_delay_alu instid0(SALU_CYCLE_1) | instskip(NEXT) | instid1(SALU_CYCLE_1)
	s_and_b32 s12, vcc_lo, s10
	s_and_saveexec_b32 s10, s12
	s_cbranch_execz .LBB6_6716
; %bb.6715:                             ;   in Loop: Header=BB6_49 Depth=1
	scratch_load_b64 v[0:1], off, s33 offset:400 ; 8-byte Folded Reload
	global_wb scope:SCOPE_SYS
	s_wait_loadcnt 0x0
	s_wait_storecnt 0x0
	s_wait_xcnt 0x0
	flat_store_b32 v[0:1], v5 scope:SCOPE_SYS
.LBB6_6716:                             ;   in Loop: Header=BB6_49 Depth=1
	s_wait_xcnt 0x0
	s_or_b32 exec_lo, exec_lo, s10
	v_and_b32_e32 v0, 48, v4
	s_mov_b32 s10, exec_lo
	s_delay_alu instid0(VALU_DEP_1)
	v_cmpx_ne_u32_e32 0, v0
	s_cbranch_execnz .LBB6_6717
; %bb.17965:                            ;   in Loop: Header=BB6_49 Depth=1
	s_add_pc_i64 .LBB6_47-.Lpost_addpc23
.Lpost_addpc23:
.LBB6_6717:                             ;   in Loop: Header=BB6_49 Depth=1
	scratch_load_b128 v[0:3], off, s33 offset:188 th:TH_LOAD_LU ; 16-byte Folded Reload
	s_wait_loadcnt 0x0
	v_add_nc_u64_e32 v[2:3], 1, v[2:3]
	scratch_store_b128 off, v[0:3], s33 offset:188 ; 16-byte Folded Spill
	global_wb scope:SCOPE_SYS
	s_wait_xcnt 0x0
	s_wait_storecnt_dscnt 0x0
	flat_store_b64 v[32:33], v[2:3] scope:SCOPE_SYS
; %bb.17931:                            ;   in Loop: Header=BB6_49 Depth=1
	s_add_pc_i64 .LBB6_47-.Lpost_addpc6
.Lpost_addpc6:
.LBB6_6718:
	s_or_b32 exec_lo, exec_lo, s22
	s_clause 0x4
	scratch_load_b32 v24, off, s33 offset:420
	scratch_load_b32 v31, off, s33 offset:424
	scratch_load_b128 v[34:37], off, s33 offset:188
	scratch_load_b64 v[28:29], off, s33 offset:428
	scratch_load_b32 v7, off, s33 offset:436
.LBB6_6719:
	s_wait_xcnt 0x0
	s_or_b32 exec_lo, exec_lo, s21
                                        ; implicit-def: $vgpr0
	scratch_store_b64 off, v[0:1], s33 offset:388 ; 8-byte Folded Spill
                                        ; implicit-def: $vgpr0_vgpr1
                                        ; implicit-def: $vgpr96_vgpr97
                                        ; implicit-def: $vgpr26_vgpr27
                                        ; implicit-def: $vgpr48_vgpr49
                                        ; kill: killed $vgpr0_vgpr1
                                        ; implicit-def: $vgpr32_vgpr33
                                        ; implicit-def: $vgpr15
                                        ; implicit-def: $vgpr8_vgpr9
                                        ; implicit-def: $vgpr0
.LBB6_6720:
	s_wait_xcnt 0x0
	s_and_not1_saveexec_b32 s16, s13
	s_cbranch_execnz .LBB6_6721
; %bb.17967:
	s_add_pc_i64 .LBB6_13385-.Lpost_addpc24
.Lpost_addpc24:
.LBB6_6721:
	v_mov_b64_e32 v[2:3], 0
	s_mov_b32 s17, exec_lo
	scratch_store_b64 off, v[2:3], s33 offset:204 ; 8-byte Folded Spill
	s_wait_xcnt 0x0
	v_cmpx_ne_u64_e32 0, v[26:27]
	s_cbranch_execnz .LBB6_6722
; %bb.17969:
	s_add_pc_i64 .LBB6_13384-.Lpost_addpc25
.Lpost_addpc25:
.LBB6_6722:
	s_wait_loadcnt 0x1
	s_clause 0x2
	scratch_store_b64 off, v[28:29], s33 offset:428
	scratch_store_b128 off, v[34:37], s33 offset:188
	scratch_load_b64 v[2:3], off, s33 offset:388
	v_cmp_ge_u32_e64 s1, v0, v24
	s_ashr_i32 s2, s19, 31
	v_cmp_eq_u32_e32 vcc_lo, 32, v24
	s_lshr_b32 s2, s2, 24
	v_mov_b64_e32 v[82:83], 0
	s_add_co_i32 s7, s19, s2
	v_cmp_ne_u32_e64 s2, 32, v24
	s_wait_loadcnt 0x1
	v_cmp_ne_u32_e64 s3, v24, v7
	v_and_b32_e32 v80, 0x1fe0, v24
	v_bfrev_b32_e32 v119, 1
	s_mov_b64 s[12:13], 0xffffffffffffff
	s_mov_b64 s[14:15], 0x100000000000000
	s_ashr_i32 s22, s7, 8
	s_mov_b32 s21, 0
	s_xor_b32 s23, vcc_lo, -1
	v_dual_mov_b32 v53, 0 :: v_dual_bitop2_b32 v1, 31, v31 bitop3:0x40
	scratch_store_b32 off, v0, s33 offset:408 ; 4-byte Folded Spill
	v_lshrrev_b32_e32 v54, 5, v24
	scratch_store_b32 off, v24, s33 offset:420 ; 4-byte Folded Spill
	v_cmp_eq_u32_e64 s4, 0, v1
	v_dual_mov_b32 v55, v53 :: v_dual_mov_b32 v67, v53
	v_dual_lshlrev_b32 v68, 9, v54 :: v_dual_lshlrev_b32 v66, 11, v54
	v_dual_mov_b32 v69, v53 :: v_dual_lshlrev_b32 v70, 10, v54
	v_dual_mov_b32 v71, v53 :: v_dual_mov_b32 v81, v53
	s_wait_loadcnt 0x0
	v_ashrrev_i32_e32 v3, 31, v2
	scratch_store_b64 off, v[2:3], s33 offset:388 ; 8-byte Folded Spill
	s_wait_xcnt 0x0
	v_dual_lshrrev_b32 v2, 5, v0 :: v_dual_bitop2_b32 v0, 31, v0 bitop3:0x40
	s_delay_alu instid0(VALU_DEP_1)
	v_lshlrev_b32_e32 v1, 11, v2
	s_clause 0x1
	scratch_store_b32 off, v31, s33 offset:424
	scratch_store_b32 off, v0, s33 offset:216
	v_cmp_le_u32_e64 s5, v0, v15
	v_cmp_eq_u32_e64 s6, 0, v0
	s_wait_xcnt 0x0
	v_lshl_or_b32 v0, v0, 4, v1
	v_mov_b32_e32 v1, v53
	s_clause 0x1
	scratch_store_b32 off, v7, s33 offset:436
	scratch_store_b64 off, v[0:1], s33 offset:224
	s_wait_xcnt 0x0
	v_mov_b64_e32 v[0:1], 0
	s_clause 0x1
	scratch_store_b32 off, v2, s33 offset:212
	scratch_store_b64 off, v[0:1], s33 offset:204
	s_trap 2
	s_clause 0x2
	scratch_store_b64 off, v[96:97], s33 offset:412
	scratch_store_b128 off, v[26:29], s33 offset:340
	scratch_store_b64 off, v[8:9], s33 offset:356
	s_branch .LBB6_6725
.LBB6_6723:                             ;   in Loop: Header=BB6_6725 Depth=1
	s_wait_xcnt 0x0
	s_or_b32 exec_lo, exec_lo, s7
.LBB6_6724:                             ;   in Loop: Header=BB6_6725 Depth=1
	s_delay_alu instid0(SALU_CYCLE_1)
	s_or_b32 exec_lo, exec_lo, s10
	s_clause 0x1
	scratch_load_b64 v[8:9], off, s33 offset:356
	scratch_load_b128 v[26:29], off, s33 offset:340
	s_wait_loadcnt 0x1
	v_add_nc_u64_e32 v[82:83], v[82:83], v[8:9]
	s_wait_loadcnt 0x0
	s_delay_alu instid0(VALU_DEP_1)
	v_cmp_ge_u64_e32 vcc_lo, v[82:83], v[26:27]
	s_or_b32 s21, vcc_lo, s21
	s_wait_xcnt 0x0
	s_and_not1_b32 exec_lo, exec_lo, s21
	s_cbranch_execnz .LBB6_6725
; %bb.17971:
	s_add_pc_i64 .LBB6_13383-.Lpost_addpc26
.Lpost_addpc26:
.LBB6_6725:                             ; =>This Loop Header: Depth=1
                                        ;     Child Loop BB6_6733 Depth 2
                                        ;     Child Loop BB6_6758 Depth 2
	;; [unrolled: 1-line block ×10, first 2 shown]
	s_wait_xcnt 0x3
	v_sub_nc_u64_e32 v[0:1], v[26:27], v[82:83]
	s_delay_alu instid0(VALU_DEP_1) | instskip(NEXT) | instid1(VALU_DEP_1)
	v_min_u64 v[84:85], v[8:9], v[0:1]
	v_add_nc_u32_e32 v0, 15, v84
	s_delay_alu instid0(VALU_DEP_2) | instskip(NEXT) | instid1(VALU_DEP_2)
	v_cmp_eq_u64_e32 vcc_lo, 0, v[84:85]
	v_and_b32_e32 v0, 0x7ffffff0, v0
	s_or_b32 s24, s1, vcc_lo
	s_delay_alu instid0(SALU_CYCLE_1) | instskip(NEXT) | instid1(VALU_DEP_1)
	s_xor_b32 s7, s24, -1
	v_dual_mov_b32 v0, v53 :: v_dual_max_i32 v85, s22, v0
	s_wait_xcnt 0x0
	s_and_saveexec_b32 s25, s7
	s_cbranch_execnz .LBB6_6726
; %bb.17973:                            ;   in Loop: Header=BB6_6725 Depth=1
	s_add_pc_i64 .LBB6_13337-.Lpost_addpc27
.Lpost_addpc27:
.LBB6_6726:                             ;   in Loop: Header=BB6_6725 Depth=1
	s_and_saveexec_b32 s7, s0
	s_cbranch_execz .LBB6_6728
; %bb.6727:                             ;   in Loop: Header=BB6_6725 Depth=1
	s_trap 2
	v_mov_b32_e32 v10, v4
	ds_load_b64 v[4:5], v0
	ds_load_2addr_b64 v[0:3], v0 offset1:1
	v_add_nc_u64_e32 v[6:7], v[82:83], v[96:97]
	s_wait_dscnt 0x1
	s_delay_alu instid0(VALU_DEP_1) | instskip(SKIP_4) | instid1(VALU_DEP_4)
	v_add_nc_u64_e32 v[8:9], v[4:5], v[6:7]
	v_cmp_ne_u64_e32 vcc_lo, 0, v[4:5]
	s_wait_dscnt 0x0
	v_add_nc_u64_e32 v[0:1], v[0:1], v[6:7]
	v_add_nc_u64_e32 v[2:3], v[2:3], v[6:7]
	v_dual_cndmask_b32 v5, 0, v9 :: v_dual_cndmask_b32 v4, 0, v8
	ds_store_b64 v0, v[0:1]
	ds_store_b64 v0, v[2:3]
	;; [unrolled: 1-line block ×3, first 2 shown]
	v_mov_b32_e32 v4, v10
.LBB6_6728:                             ;   in Loop: Header=BB6_6725 Depth=1
	s_or_b32 exec_lo, exec_lo, s7
	s_delay_alu instid0(VALU_DEP_1) | instskip(SKIP_1) | instid1(VALU_DEP_1)
	v_and_b32_e32 v0, 4, v4
	s_mov_b32 s10, exec_lo
	v_cmpx_ne_u32_e32 0, v0
	s_cbranch_execz .LBB6_6750
; %bb.6729:                             ;   in Loop: Header=BB6_6725 Depth=1
	scratch_load_b128 v[0:3], off, s33 offset:188 ; 16-byte Folded Reload
	s_mov_b32 s11, exec_lo
	s_wait_loadcnt 0x0
	v_add_nc_u64_e32 v[10:11], 1, v[2:3]
	s_wait_xcnt 0x0
	s_delay_alu instid0(VALU_DEP_1)
	v_cmpx_lt_u64_e64 v[48:49], v[10:11]
	s_cbranch_execz .LBB6_6741
; %bb.6730:                             ;   in Loop: Header=BB6_6725 Depth=1
	v_and_b32_e32 v0, 64, v4
	s_mov_b32 s26, 0
	s_mov_b32 s40, 0
                                        ; implicit-def: $sgpr27
                                        ; implicit-def: $sgpr28
                                        ; implicit-def: $sgpr29
	s_delay_alu instid0(VALU_DEP_1)
	v_cmp_eq_u32_e32 vcc_lo, 0, v0
	s_branch .LBB6_6733
.LBB6_6731:                             ;   in Loop: Header=BB6_6733 Depth=2
	s_or_b32 exec_lo, exec_lo, s45
	s_delay_alu instid0(SALU_CYCLE_1)
	s_and_not1_b32 s7, s29, exec_lo
	s_and_b32 s29, s43, exec_lo
	s_and_not1_b32 s28, s28, exec_lo
	s_and_b32 s42, s42, exec_lo
	s_or_b32 s29, s7, s29
	s_or_b32 s28, s28, s42
.LBB6_6732:                             ;   in Loop: Header=BB6_6733 Depth=2
	s_or_b32 exec_lo, exec_lo, s41
	s_delay_alu instid0(SALU_CYCLE_1) | instskip(NEXT) | instid1(SALU_CYCLE_1)
	s_and_b32 s7, exec_lo, s28
	s_or_b32 s26, s7, s26
	s_and_not1_b32 s7, s27, exec_lo
	s_and_b32 s27, s29, exec_lo
	s_delay_alu instid0(SALU_CYCLE_1)
	s_or_b32 s27, s7, s27
	s_and_not1_b32 exec_lo, exec_lo, s26
	s_cbranch_execz .LBB6_6738
.LBB6_6733:                             ;   Parent Loop BB6_6725 Depth=1
                                        ; =>  This Inner Loop Header: Depth=2
	s_sleep 1
	s_wait_loadcnt_dscnt 0x0
	flat_load_b64 v[48:49], v[32:33] scope:SCOPE_SYS
	s_or_b32 s29, s29, exec_lo
	s_or_b32 s28, s28, exec_lo
                                        ; implicit-def: $vgpr0
	s_wait_xcnt 0x0
	s_and_saveexec_b32 s41, vcc_lo
	s_cbranch_execz .LBB6_6732
; %bb.6734:                             ;   in Loop: Header=BB6_6733 Depth=2
	s_cmp_lt_i32 s40, 0x270f
	s_mov_b32 s42, -1
	s_cselect_b32 s44, -1, 0
	s_cmp_gt_i32 s40, 0x270e
	s_cbranch_scc0 .LBB6_6736
; %bb.6735:                             ;   in Loop: Header=BB6_6733 Depth=2
	s_trap 2
	ds_load_b64 v[0:1], v0
	s_and_not1_b32 s40, s44, exec_lo
	s_mov_b32 s43, 0
	s_wait_storecnt 0x0
	s_wait_loadcnt_dscnt 0x0
	flat_load_b32 v0, v[0:1] scope:SCOPE_SYS
	s_wait_loadcnt_dscnt 0x0
	global_inv scope:SCOPE_SYS
	v_cmp_eq_u32_e64 s7, 0, v0
	s_and_b32 s7, s7, exec_lo
	s_delay_alu instid0(SALU_CYCLE_1)
	s_or_b32 s44, s40, s7
	s_mov_b32 s40, 0
	s_wait_xcnt 0x0
	s_and_saveexec_b32 s45, s44
	s_cbranch_execz .LBB6_6731
	s_branch .LBB6_6737
.LBB6_6736:                             ;   in Loop: Header=BB6_6733 Depth=2
	s_add_co_i32 s40, s40, 1
	s_mov_b32 s43, -1
                                        ; implicit-def: $vgpr0
	s_and_saveexec_b32 s45, s44
	s_cbranch_execz .LBB6_6731
.LBB6_6737:                             ;   in Loop: Header=BB6_6733 Depth=2
	s_wait_loadcnt_dscnt 0x0
	v_cmp_ge_u64_e64 s7, v[48:49], v[10:11]
	s_or_b32 s43, s43, exec_lo
	s_or_not1_b32 s42, s7, exec_lo
	s_branch .LBB6_6731
.LBB6_6738:                             ;   in Loop: Header=BB6_6725 Depth=1
	s_or_b32 exec_lo, exec_lo, s26
	s_xor_b32 s7, s27, -1
	s_delay_alu instid0(SALU_CYCLE_1) | instskip(NEXT) | instid1(SALU_CYCLE_1)
	s_and_saveexec_b32 s26, s7
	s_xor_b32 s7, exec_lo, s26
	s_cbranch_execz .LBB6_6740
; %bb.6739:                             ;   in Loop: Header=BB6_6725 Depth=1
	v_or_b32_e32 v4, 64, v4
	s_wait_storecnt 0x0
	s_wait_loadcnt_dscnt 0x0
	ds_store_b32 v0, v0
	s_trap 2
.LBB6_6740:                             ;   in Loop: Header=BB6_6725 Depth=1
	s_or_b32 exec_lo, exec_lo, s7
.LBB6_6741:                             ;   in Loop: Header=BB6_6725 Depth=1
	s_delay_alu instid0(SALU_CYCLE_1) | instskip(SKIP_2) | instid1(VALU_DEP_1)
	s_or_b32 exec_lo, exec_lo, s11
	v_and_b32_e32 v0, 0x100, v4
	s_mov_b32 s7, -1
                                        ; implicit-def: $vgpr8_vgpr9
	v_cmp_ne_u32_e32 vcc_lo, 0, v0
	scratch_load_b128 v[0:3], off, s33 offset:188 ; 16-byte Folded Reload
	;;#ASMSTART
	s_wakeup
	;;#ASMEND
	s_wait_loadcnt 0x0
	v_and_b32_e32 v52, 7, v2
	s_wait_xcnt 0x0
	s_and_saveexec_b32 s11, vcc_lo
	s_cbranch_execz .LBB6_6745
; %bb.6742:                             ;   in Loop: Header=BB6_6725 Depth=1
	scratch_load_b128 v[0:3], off, s33 offset:188 ; 16-byte Folded Reload
	s_mov_b32 s26, exec_lo
                                        ; implicit-def: $vgpr8_vgpr9
	s_wait_loadcnt 0x0
	v_mad_nc_u64_u32 v[12:13], v52, 24, v[0:1]
	flat_load_b32 v0, v[12:13]
	s_wait_loadcnt_dscnt 0x0
	v_cmp_ne_u32_e32 vcc_lo, 1, v0
	s_wait_xcnt 0x0
	v_cmpx_eq_u32_e32 1, v0
	s_cbranch_execz .LBB6_6744
; %bb.6743:                             ;   in Loop: Header=BB6_6725 Depth=1
	flat_load_b32 v8, v[12:13] offset:4 scope:SCOPE_SYS
	s_wait_loadcnt_dscnt 0x0
	v_ashrrev_i32_e32 v9, 31, v8
.LBB6_6744:                             ;   in Loop: Header=BB6_6725 Depth=1
	s_wait_xcnt 0x0
	s_or_b32 exec_lo, exec_lo, s26
	s_delay_alu instid0(SALU_CYCLE_1)
	s_or_not1_b32 s7, vcc_lo, exec_lo
.LBB6_6745:                             ;   in Loop: Header=BB6_6725 Depth=1
	s_or_b32 exec_lo, exec_lo, s11
	s_and_saveexec_b32 s11, s7
	s_cbranch_execz .LBB6_6747
; %bb.6746:                             ;   in Loop: Header=BB6_6725 Depth=1
	scratch_load_b64 v[0:1], off, s33 offset:388 ; 8-byte Folded Reload
	s_wait_loadcnt 0x0
	v_mul_u64_e32 v[8:9], v[52:53], v[0:1]
.LBB6_6747:                             ;   in Loop: Header=BB6_6725 Depth=1
	s_wait_xcnt 0x0
	s_or_b32 exec_lo, exec_lo, s11
	scratch_load_b64 v[0:1], off, s33 offset:380 ; 8-byte Folded Reload
	v_and_b32_e32 v2, 0x2000, v4
	s_mov_b32 s7, exec_lo
	s_wait_loadcnt 0x0
	v_add_nc_u64_e32 v[0:1], v[0:1], v[8:9]
	ds_store_b64 v0, v[0:1] offset:728
	s_wait_xcnt 0x0
	v_cmpx_ne_u32_e32 0, v2
	s_cbranch_execz .LBB6_6749
; %bb.6748:                             ;   in Loop: Header=BB6_6725 Depth=1
	ds_load_b64 v[0:1], v0 offset:872
	s_wait_dscnt 0x0
	v_add_nc_u64_e32 v[0:1], 1, v[0:1]
	ds_store_b64 v0, v[0:1] offset:872
.LBB6_6749:                             ;   in Loop: Header=BB6_6725 Depth=1
	s_or_b32 exec_lo, exec_lo, s7
	scratch_load_b128 v[0:3], off, s33 offset:188 ; 16-byte Folded Reload
	s_wait_loadcnt 0x0
	v_mov_b64_e32 v[2:3], v[10:11]
	scratch_store_b128 off, v[0:3], s33 offset:188 ; 16-byte Folded Spill
.LBB6_6750:                             ;   in Loop: Header=BB6_6725 Depth=1
	s_wait_xcnt 0x0
	s_or_b32 exec_lo, exec_lo, s10
	s_and_saveexec_b32 s7, s2
	s_cbranch_execz .LBB6_6769
; %bb.6751:                             ;   in Loop: Header=BB6_6725 Depth=1
	s_and_saveexec_b32 s10, s3
	s_delay_alu instid0(SALU_CYCLE_1)
	s_xor_b32 s10, exec_lo, s10
	s_cbranch_execz .LBB6_6766
; %bb.6752:                             ;   in Loop: Header=BB6_6725 Depth=1
	s_and_saveexec_b32 s11, s4
	s_cbranch_execz .LBB6_6765
; %bb.6753:                             ;   in Loop: Header=BB6_6725 Depth=1
	s_mov_b32 s27, exec_lo
	s_mov_b32 s26, exec_lo
	v_mbcnt_lo_u32_b32 v0, s27, 0
	global_wb scope:SCOPE_DEV
	s_wait_storecnt_dscnt 0x0
	global_inv scope:SCOPE_DEV
	v_cmpx_eq_u32_e32 0, v0
	s_cbranch_execz .LBB6_6755
; %bb.6754:                             ;   in Loop: Header=BB6_6725 Depth=1
	s_bcnt1_i32_b32 s27, s27
	s_delay_alu instid0(SALU_CYCLE_1)
	v_mov_b32_e32 v52, s27
	s_wait_loadcnt 0x0
	ds_add_u64 v0, v[52:53]
	s_trap 2
.LBB6_6755:                             ;   in Loop: Header=BB6_6725 Depth=1
	s_or_b32 exec_lo, exec_lo, s26
	s_trap 2
	ds_load_b64 v[0:1], v0
	s_wait_dscnt 0x0
	scratch_load_b64 v[2:3], off, s33 offset:204 th:TH_LOAD_LU ; 8-byte Folded Reload
	s_mov_b32 s26, exec_lo
	s_wait_loadcnt 0x0
	v_add_nc_u64_e32 v[2:3], v[2:3], v[54:55]
	scratch_store_b64 off, v[2:3], s33 offset:204 ; 8-byte Folded Spill
	s_wait_xcnt 0x0
	v_cmpx_lt_u64_e64 v[0:1], v[2:3]
	s_cbranch_execz .LBB6_6764
; %bb.6756:                             ;   in Loop: Header=BB6_6725 Depth=1
	s_mov_b32 s27, 0
	s_mov_b32 s40, 0
                                        ; implicit-def: $sgpr28
                                        ; implicit-def: $sgpr29
	s_branch .LBB6_6758
.LBB6_6757:                             ;   in Loop: Header=BB6_6758 Depth=2
	s_wait_xcnt 0x0
	s_or_b32 exec_lo, exec_lo, s42
	s_delay_alu instid0(SALU_CYCLE_1) | instskip(NEXT) | instid1(SALU_CYCLE_1)
	s_and_b32 s41, exec_lo, s43
	s_or_b32 s27, s41, s27
	s_and_not1_b32 s28, s28, exec_lo
	s_and_b32 s41, s29, exec_lo
	s_delay_alu instid0(SALU_CYCLE_1)
	s_or_b32 s28, s28, s41
	s_and_not1_b32 exec_lo, exec_lo, s27
	s_cbranch_execz .LBB6_6762
.LBB6_6758:                             ;   Parent Loop BB6_6725 Depth=1
                                        ; =>  This Inner Loop Header: Depth=2
	s_add_co_i32 s40, s40, 1
	s_delay_alu instid0(SALU_CYCLE_1) | instskip(SKIP_1) | instid1(SALU_CYCLE_1)
	s_cmp_lg_u32 s40, 0x2710
	s_cselect_b32 s41, -1, 0
	s_and_b32 vcc_lo, exec_lo, s41
	s_cbranch_vccz .LBB6_6760
; %bb.6759:                             ;   in Loop: Header=BB6_6758 Depth=2
	s_mov_b32 s43, -1
	s_or_b32 s29, s29, exec_lo
	s_and_saveexec_b32 s42, s41
	s_cbranch_execz .LBB6_6757
	s_branch .LBB6_6761
.LBB6_6760:                             ;   in Loop: Header=BB6_6758 Depth=2
	s_trap 2
	ds_load_b64 v[0:1], v0
	s_and_not1_b32 s41, s41, exec_lo
	s_mov_b32 s40, 0
	s_wait_storecnt_dscnt 0x0
	flat_load_b32 v0, v[0:1] scope:SCOPE_SYS
	s_wait_loadcnt_dscnt 0x0
	global_inv scope:SCOPE_SYS
	v_cmp_eq_u32_e32 vcc_lo, 0, v0
	s_and_b32 s42, vcc_lo, exec_lo
	s_delay_alu instid0(SALU_CYCLE_1)
	s_or_b32 s41, s41, s42
	s_mov_b32 s43, -1
	s_or_b32 s29, s29, exec_lo
	s_wait_xcnt 0x0
	s_and_saveexec_b32 s42, s41
	s_cbranch_execz .LBB6_6757
.LBB6_6761:                             ;   in Loop: Header=BB6_6758 Depth=2
	s_sleep 1
	s_trap 2
	ds_load_b64 v[0:1], v0
	s_wait_dscnt 0x0
	scratch_load_b64 v[2:3], off, s33 offset:204 ; 8-byte Folded Reload
	s_and_not1_b32 s29, s29, exec_lo
	s_wait_loadcnt 0x0
	v_cmp_ge_u64_e32 vcc_lo, v[0:1], v[2:3]
	s_or_not1_b32 s43, vcc_lo, exec_lo
	s_branch .LBB6_6757
.LBB6_6762:                             ;   in Loop: Header=BB6_6725 Depth=1
	s_or_b32 exec_lo, exec_lo, s27
	s_and_saveexec_b32 s27, s28
	s_delay_alu instid0(SALU_CYCLE_1)
	s_xor_b32 s27, exec_lo, s27
	s_cbranch_execz .LBB6_6764
; %bb.6763:                             ;   in Loop: Header=BB6_6725 Depth=1
	v_mov_b32_e32 v0, 1
	ds_store_b32 v0, v0
	s_trap 2
.LBB6_6764:                             ;   in Loop: Header=BB6_6725 Depth=1
	s_or_b32 exec_lo, exec_lo, s26
	;;#ASMSTART
	s_wakeup
	;;#ASMEND
.LBB6_6765:                             ;   in Loop: Header=BB6_6725 Depth=1
	s_or_b32 exec_lo, exec_lo, s11
.LBB6_6766:                             ;   in Loop: Header=BB6_6725 Depth=1
	s_and_not1_saveexec_b32 s10, s10
	s_cbranch_execz .LBB6_6768
; %bb.6767:                             ;   in Loop: Header=BB6_6725 Depth=1
	global_wb scope:SCOPE_DEV
	s_wait_storecnt 0x0
	s_wait_loadcnt_dscnt 0x0
	global_inv scope:SCOPE_DEV
	s_barrier_signal -1
	s_barrier_wait -1
.LBB6_6768:                             ;   in Loop: Header=BB6_6725 Depth=1
	s_or_b32 exec_lo, exec_lo, s10
.LBB6_6769:                             ;   in Loop: Header=BB6_6725 Depth=1
	s_delay_alu instid0(SALU_CYCLE_1) | instskip(SKIP_3) | instid1(VALU_DEP_1)
	s_or_b32 exec_lo, exec_lo, s7
	s_trap 2
	ds_load_b32 v0, v0
	v_and_b32_e32 v1, 0x4000, v4
	v_cmp_ne_u32_e32 vcc_lo, 0, v1
	s_and_b32 s10, s23, vcc_lo
	s_delay_alu instid0(SALU_CYCLE_1)
	s_and_saveexec_b32 s7, s10
	s_cbranch_execz .LBB6_6788
; %bb.6770:                             ;   in Loop: Header=BB6_6725 Depth=1
	s_and_saveexec_b32 s10, s3
	s_delay_alu instid0(SALU_CYCLE_1)
	s_xor_b32 s10, exec_lo, s10
	s_cbranch_execz .LBB6_6785
; %bb.6771:                             ;   in Loop: Header=BB6_6725 Depth=1
	s_and_saveexec_b32 s11, s4
	s_cbranch_execz .LBB6_6784
; %bb.6772:                             ;   in Loop: Header=BB6_6725 Depth=1
	s_mov_b32 s27, exec_lo
	s_mov_b32 s26, exec_lo
	v_mbcnt_lo_u32_b32 v1, s27, 0
	global_wb scope:SCOPE_DEV
	s_wait_storecnt 0x0
	s_wait_loadcnt_dscnt 0x0
	global_inv scope:SCOPE_DEV
	v_cmpx_eq_u32_e32 0, v1
	s_cbranch_execz .LBB6_6774
; %bb.6773:                             ;   in Loop: Header=BB6_6725 Depth=1
	s_bcnt1_i32_b32 s27, s27
	s_delay_alu instid0(SALU_CYCLE_1)
	v_mov_b32_e32 v52, s27
	s_wait_loadcnt 0x0
	ds_add_u64 v0, v[52:53]
	s_trap 2
.LBB6_6774:                             ;   in Loop: Header=BB6_6725 Depth=1
	s_or_b32 exec_lo, exec_lo, s26
	s_trap 2
	ds_load_b64 v[2:3], v0
	s_wait_dscnt 0x0
	scratch_load_b64 v[6:7], off, s33 offset:204 th:TH_LOAD_LU ; 8-byte Folded Reload
	s_mov_b32 s26, exec_lo
	s_wait_loadcnt 0x0
	v_add_nc_u64_e32 v[6:7], v[6:7], v[54:55]
	scratch_store_b64 off, v[6:7], s33 offset:204 ; 8-byte Folded Spill
	s_wait_xcnt 0x0
	v_cmpx_lt_u64_e64 v[2:3], v[6:7]
	s_cbranch_execz .LBB6_6783
; %bb.6775:                             ;   in Loop: Header=BB6_6725 Depth=1
	s_mov_b32 s27, 0
	s_mov_b32 s40, 0
                                        ; implicit-def: $sgpr28
                                        ; implicit-def: $sgpr29
	s_branch .LBB6_6777
.LBB6_6776:                             ;   in Loop: Header=BB6_6777 Depth=2
	s_wait_xcnt 0x0
	s_or_b32 exec_lo, exec_lo, s42
	s_delay_alu instid0(SALU_CYCLE_1) | instskip(NEXT) | instid1(SALU_CYCLE_1)
	s_and_b32 s41, exec_lo, s43
	s_or_b32 s27, s41, s27
	s_and_not1_b32 s28, s28, exec_lo
	s_and_b32 s41, s29, exec_lo
	s_delay_alu instid0(SALU_CYCLE_1)
	s_or_b32 s28, s28, s41
	s_and_not1_b32 exec_lo, exec_lo, s27
	s_cbranch_execz .LBB6_6781
.LBB6_6777:                             ;   Parent Loop BB6_6725 Depth=1
                                        ; =>  This Inner Loop Header: Depth=2
	s_add_co_i32 s40, s40, 1
	s_delay_alu instid0(SALU_CYCLE_1) | instskip(SKIP_1) | instid1(SALU_CYCLE_1)
	s_cmp_lg_u32 s40, 0x2710
	s_cselect_b32 s41, -1, 0
	s_and_b32 vcc_lo, exec_lo, s41
	s_cbranch_vccz .LBB6_6779
; %bb.6778:                             ;   in Loop: Header=BB6_6777 Depth=2
	s_mov_b32 s43, -1
	s_or_b32 s29, s29, exec_lo
	s_and_saveexec_b32 s42, s41
	s_cbranch_execz .LBB6_6776
	s_branch .LBB6_6780
.LBB6_6779:                             ;   in Loop: Header=BB6_6777 Depth=2
	s_trap 2
	ds_load_b64 v[2:3], v0
	s_and_not1_b32 s41, s41, exec_lo
	s_mov_b32 s40, 0
	s_wait_storecnt_dscnt 0x0
	flat_load_b32 v1, v[2:3] scope:SCOPE_SYS
	s_wait_loadcnt_dscnt 0x0
	global_inv scope:SCOPE_SYS
	v_cmp_eq_u32_e32 vcc_lo, 0, v1
	s_and_b32 s42, vcc_lo, exec_lo
	s_delay_alu instid0(SALU_CYCLE_1)
	s_or_b32 s41, s41, s42
	s_mov_b32 s43, -1
	s_or_b32 s29, s29, exec_lo
	s_wait_xcnt 0x0
	s_and_saveexec_b32 s42, s41
	s_cbranch_execz .LBB6_6776
.LBB6_6780:                             ;   in Loop: Header=BB6_6777 Depth=2
	s_sleep 1
	s_trap 2
	ds_load_b64 v[2:3], v0
	s_wait_dscnt 0x0
	scratch_load_b64 v[6:7], off, s33 offset:204 ; 8-byte Folded Reload
	s_and_not1_b32 s29, s29, exec_lo
	s_wait_loadcnt 0x0
	v_cmp_ge_u64_e32 vcc_lo, v[2:3], v[6:7]
	s_or_not1_b32 s43, vcc_lo, exec_lo
	s_branch .LBB6_6776
.LBB6_6781:                             ;   in Loop: Header=BB6_6725 Depth=1
	s_or_b32 exec_lo, exec_lo, s27
	s_and_saveexec_b32 s27, s28
	s_delay_alu instid0(SALU_CYCLE_1)
	s_xor_b32 s27, exec_lo, s27
	s_cbranch_execz .LBB6_6783
; %bb.6782:                             ;   in Loop: Header=BB6_6725 Depth=1
	v_mov_b32_e32 v1, 1
	ds_store_b32 v0, v1
	s_trap 2
.LBB6_6783:                             ;   in Loop: Header=BB6_6725 Depth=1
	s_or_b32 exec_lo, exec_lo, s26
	;;#ASMSTART
	s_wakeup
	;;#ASMEND
.LBB6_6784:                             ;   in Loop: Header=BB6_6725 Depth=1
	s_or_b32 exec_lo, exec_lo, s11
.LBB6_6785:                             ;   in Loop: Header=BB6_6725 Depth=1
	s_and_not1_saveexec_b32 s10, s10
	s_cbranch_execz .LBB6_6787
; %bb.6786:                             ;   in Loop: Header=BB6_6725 Depth=1
	global_wb scope:SCOPE_DEV
	s_wait_storecnt 0x0
	s_wait_loadcnt_dscnt 0x0
	global_inv scope:SCOPE_DEV
	s_barrier_signal -1
	s_barrier_wait -1
.LBB6_6787:                             ;   in Loop: Header=BB6_6725 Depth=1
	s_or_b32 exec_lo, exec_lo, s10
.LBB6_6788:                             ;   in Loop: Header=BB6_6725 Depth=1
	s_delay_alu instid0(SALU_CYCLE_1)
	s_or_b32 exec_lo, exec_lo, s7
	s_trap 2
	s_wait_dscnt 0x0
	ds_load_b64 v[86:87], v0
	v_min_u32_e32 v85, v85, v84
	s_wait_dscnt 0x0
	v_cmp_eq_u64_e32 vcc_lo, 0, v[86:87]
	s_cbranch_vccnz .LBB6_6796
; %bb.6789:                             ;   in Loop: Header=BB6_6725 Depth=1
	s_trap 2
	ds_load_b64 v[96:97], v0
	s_wait_dscnt 0x0
	v_cmp_eq_u64_e32 vcc_lo, 0, v[96:97]
	s_cbranch_vccnz .LBB6_6797
; %bb.6790:                             ;   in Loop: Header=BB6_6725 Depth=1
	s_mov_b32 s7, -1
	s_and_saveexec_b32 s10, s5
	s_cbranch_execz .LBB6_6792
; %bb.6791:                             ;   in Loop: Header=BB6_6725 Depth=1
	ds_load_b32 v1, v0 offset:720
	s_wait_dscnt 0x0
	v_and_b32_e32 v1, 15, v1
	s_delay_alu instid0(VALU_DEP_1)
	v_cmp_eq_u32_e32 vcc_lo, 0, v1
	s_or_not1_b32 s7, vcc_lo, exec_lo
.LBB6_6792:                             ;   in Loop: Header=BB6_6725 Depth=1
	s_or_b32 exec_lo, exec_lo, s10
	s_and_saveexec_b32 s10, s6
	s_cbranch_execz .LBB6_6794
; %bb.6793:                             ;   in Loop: Header=BB6_6725 Depth=1
	ds_load_b32 v1, v0 offset:784
	s_wait_dscnt 0x0
	v_and_b32_e32 v1, 15, v1
	s_delay_alu instid0(VALU_DEP_1) | instskip(SKIP_3) | instid1(SALU_CYCLE_1)
	v_cmp_eq_u32_e32 vcc_lo, 0, v1
	s_and_b32 s11, s7, vcc_lo
	s_and_not1_b32 s7, s7, exec_lo
	s_and_b32 s11, s11, exec_lo
	s_or_b32 s7, s7, s11
.LBB6_6794:                             ;   in Loop: Header=BB6_6725 Depth=1
	s_or_b32 exec_lo, exec_lo, s10
	scratch_load_b32 v20, off, s33 offset:408 ; 4-byte Folded Reload
	v_cmp_eq_u32_e32 vcc_lo, 0, v0
	s_xor_b32 s7, s7, -1
	scratch_store_b32 off, v4, s33 offset:396 ; 4-byte Folded Spill
	v_cndmask_b32_e64 v1, 0, 1, s7
	v_dual_mov_b32 v2, 0 :: v_dual_cndmask_b32 v41, 0, v85
	s_mov_b32 s7, -1
	s_delay_alu instid0(VALU_DEP_2) | instskip(NEXT) | instid1(VALU_DEP_2)
	v_cmp_ne_u32_e32 vcc_lo, 0, v1
	v_mov_b32_e32 v3, v41
	s_cbranch_vccz .LBB6_6798
; %bb.6795:                             ;   in Loop: Header=BB6_6725 Depth=1
	s_wait_xcnt 0x0
	s_and_saveexec_b32 s26, s7
	s_cbranch_execz .LBB6_17933
; %bb.17975:                            ;   in Loop: Header=BB6_6725 Depth=1
	s_add_pc_i64 .LBB6_11185-.Lpost_addpc28
.Lpost_addpc28:
.LBB6_17933:                            ;   in Loop: Header=BB6_6725 Depth=1
	s_add_pc_i64 .LBB6_13313-.Lpost_addpc7
.Lpost_addpc7:
.LBB6_6796:                             ;   in Loop: Header=BB6_6725 Depth=1
	s_mov_b32 s7, 0
	s_and_saveexec_b32 s10, s2
	s_cbranch_execz .LBB6_17935
; %bb.17977:                            ;   in Loop: Header=BB6_6725 Depth=1
	s_add_pc_i64 .LBB6_13314-.Lpost_addpc29
.Lpost_addpc29:
.LBB6_17935:                            ;   in Loop: Header=BB6_6725 Depth=1
	s_add_pc_i64 .LBB6_13332-.Lpost_addpc8
.Lpost_addpc8:
.LBB6_6797:                             ;   in Loop: Header=BB6_6725 Depth=1
	scratch_load_b64 v[96:97], off, s33 offset:412 ; 8-byte Folded Reload
	s_mov_b32 s7, 0
	s_wait_xcnt 0x0
	s_and_saveexec_b32 s10, s2
	s_cbranch_execz .LBB6_17937
; %bb.17979:                            ;   in Loop: Header=BB6_6725 Depth=1
	s_add_pc_i64 .LBB6_13314-.Lpost_addpc30
.Lpost_addpc30:
.LBB6_17937:                            ;   in Loop: Header=BB6_6725 Depth=1
	s_add_pc_i64 .LBB6_13332-.Lpost_addpc9
.Lpost_addpc9:
.LBB6_6798:                             ;   in Loop: Header=BB6_6725 Depth=1
	scratch_load_b32 v1, off, s33 offset:212 ; 4-byte Folded Reload
	v_lshrrev_b32_e32 v0, 11, v41
	s_mov_b32 s10, exec_lo
	s_wait_loadcnt 0x0
	s_delay_alu instid0(VALU_DEP_1) | instskip(SKIP_1) | instid1(VALU_DEP_1)
	v_sub_nc_u32_e32 v42, v0, v1
	s_wait_xcnt 0x0
	v_cmpx_lt_i32_e32 0, v42
	s_cbranch_execz .LBB6_10298
; %bb.6799:                             ;   in Loop: Header=BB6_6725 Depth=1
	s_trap 2
	scratch_load_b64 v[2:3], off, s33 offset:224 ; 8-byte Folded Reload
	ds_load_b64 v[0:1], v0
	s_wait_dscnt 0x0
	v_readfirstlane_b32 s26, v0
	v_readfirstlane_b32 s27, v1
	s_and_b32 s7, s26, 7
	s_and_b32 s11, s26, 0x7f
	s_clz_i32_u32 s7, s7
	s_bfe_u32 s28, s26, 0x40003
	s_min_u32 s7, s7, 32
	s_delay_alu instid0(SALU_CYCLE_1)
	s_sub_co_i32 s29, s7, 28
	s_sub_co_i32 s7, 29, s7
	s_cmp_lt_u32 s11, 8
	s_cselect_b32 s7, s7, s28
	s_cselect_b32 s28, s29, 0
	s_lshl_b32 s40, s26, 24
	s_lshl_b64 s[28:29], s[26:27], s28
	s_and_b32 s27, s40, 0x80000000
	s_lshl_b32 s28, s28, 20
	s_lshl_b32 s7, s7, 23
	s_and_b32 s28, s28, 0x700000
	s_add_co_i32 s7, s7, 0x3c000000
	s_or_b32 s27, s28, s27
	s_delay_alu instid0(SALU_CYCLE_1)
	s_or_b32 s7, s7, s27
	s_cmp_lg_u32 s11, 0x7f
	s_cselect_b32 s11, s7, 0x7f800001
	s_and_b32 s27, s26, 0xff
	s_mov_b32 s26, 0
	s_and_b32 s28, 0xffff, s27
	s_wait_loadcnt 0x0
	v_add_nc_u64_e32 v[98:99], v[86:87], v[2:3]
	v_add_nc_u64_e32 v[100:101], v[96:97], v[2:3]
	;; [unrolled: 1-line block ×3, first 2 shown]
	s_branch .LBB6_6801
.LBB6_6800:                             ;   in Loop: Header=BB6_6801 Depth=2
	s_or_b32 exec_lo, exec_lo, s7
	v_lshl_or_b32 v11, v50, 8, v35
	v_dual_lshlrev_b32 v12, 16, v20 :: v_dual_lshlrev_b32 v13, 24, v21
	v_lshl_or_b32 v15, v23, 8, v22
	v_lshlrev_b32_e32 v20, 16, v34
	v_lshl_or_b32 v4, v4, 8, v26
	v_dual_lshlrev_b32 v5, 16, v5 :: v_dual_lshlrev_b32 v24, 24, v24
	v_or3_b32 v21, v11, v12, v13
	v_dual_lshlrev_b32 v11, 24, v30 :: v_dual_lshlrev_b32 v22, 24, v116
	v_lshl_or_b32 v0, v1, 8, v0
	v_dual_lshlrev_b32 v1, 16, v27 :: v_dual_lshlrev_b32 v26, 24, v64
	v_lshl_or_b32 v12, v51, 8, v31
	v_dual_lshlrev_b32 v13, 16, v65 :: v_dual_lshlrev_b32 v19, 24, v19
	v_lshlrev_b32_e32 v18, 16, v18
	v_lshl_or_b32 v23, v117, 8, v28
	v_or3_b32 v20, v15, v20, v11
	v_or3_b32 v5, v4, v5, v24
	;; [unrolled: 1-line block ×3, first 2 shown]
	v_lshl_or_b32 v0, v36, 8, v25
	v_dual_lshlrev_b32 v1, 16, v38 :: v_dual_lshlrev_b32 v11, 24, v39
	v_dual_lshlrev_b32 v9, 24, v9 :: v_dual_lshlrev_b32 v8, 16, v8
	v_lshl_or_b32 v7, v7, 8, v6
	v_or3_b32 v22, v12, v13, v22
	v_or3_b32 v23, v23, v18, v19
	v_lshl_or_b32 v12, v77, 8, v72
	v_dual_lshlrev_b32 v13, 16, v114 :: v_dual_lshlrev_b32 v15, 24, v115
	v_lshl_or_b32 v18, v45, 8, v43
	v_dual_lshlrev_b32 v19, 16, v46 :: v_dual_lshlrev_b32 v24, 24, v40
	;; [unrolled: 2-line block ×3, first 2 shown]
	v_or3_b32 v6, v0, v1, v11
	v_or3_b32 v7, v7, v8, v9
	v_dual_lshlrev_b32 v0, 24, v113 :: v_dual_lshlrev_b32 v1, 16, v112
	v_lshl_or_b32 v8, v37, 8, v121
	v_or3_b32 v25, v12, v13, v15
	v_or3_b32 v24, v18, v19, v24
	v_lshl_or_b32 v9, v60, 8, v57
	v_dual_lshlrev_b32 v11, 16, v16 :: v_dual_lshlrev_b32 v12, 24, v17
	v_lshl_or_b32 v13, v118, 8, v29
	v_dual_lshlrev_b32 v15, 16, v61 :: v_dual_lshlrev_b32 v17, 16, v59
	v_dual_lshlrev_b32 v16, 24, v73 :: v_dual_lshlrev_b32 v18, 24, v62
	v_lshl_or_b32 v2, v56, 8, v2
	v_lshlrev_b32_e32 v10, 24, v10
	v_lshlrev_b32_e32 v14, 16, v14
	v_lshl_or_b32 v3, v44, 8, v3
	v_or3_b32 v26, v26, v27, v28
	v_or3_b32 v27, v8, v1, v0
	v_sub_nc_u32_e32 v42, v42, v54
	v_or3_b32 v1, v9, v11, v12
	v_or3_b32 v0, v13, v15, v16
	;; [unrolled: 1-line block ×4, first 2 shown]
	s_clause 0x3
	global_store_b128 v[100:101], v[24:27], off th:TH_STORE_NT
	global_store_b128 v[100:101], v[4:7], off offset:512 th:TH_STORE_NT
	global_store_b128 v[100:101], v[20:23], off offset:1024 th:TH_STORE_NT
	;; [unrolled: 1-line block ×3, first 2 shown]
	v_add_nc_u64_e32 v[98:99], v[98:99], v[66:67]
	v_add_nc_u64_e32 v[102:103], v[102:103], v[66:67]
	v_cmp_gt_i32_e32 vcc_lo, 1, v42
	s_wait_xcnt 0x0
	v_add_nc_u64_e32 v[100:101], v[100:101], v[66:67]
	s_or_b32 s26, vcc_lo, s26
	s_delay_alu instid0(SALU_CYCLE_1)
	s_and_not1_b32 exec_lo, exec_lo, s26
	s_cbranch_execz .LBB6_10297
.LBB6_6801:                             ;   Parent Loop BB6_6725 Depth=1
                                        ; =>  This Inner Loop Header: Depth=2
	s_cmp_lt_i32 s27, 0x80
	s_cbranch_scc1 .LBB6_6805
; %bb.6802:                             ;   in Loop: Header=BB6_6801 Depth=2
	s_cmp_eq_u32 s28, 0x80
	s_mov_b32 s7, -1
	s_cbranch_scc0 .LBB6_6804
; %bb.6803:                             ;   in Loop: Header=BB6_6801 Depth=2
	s_mov_b32 s7, 0
.LBB6_6804:                             ;   in Loop: Header=BB6_6801 Depth=2
	s_brev_b32 s29, 1
	s_branch .LBB6_6807
.LBB6_6805:                             ;   in Loop: Header=BB6_6801 Depth=2
	s_mov_b32 s7, 0
	s_brev_b32 s29, 1
	s_cbranch_execz .LBB6_6807
; %bb.6806:                             ;   in Loop: Header=BB6_6801 Depth=2
	s_cmp_lg_u32 s28, 0
	s_mov_b32 s29, 0
	s_cselect_b32 s7, -1, 0
.LBB6_6807:                             ;   in Loop: Header=BB6_6801 Depth=2
	s_delay_alu instid0(SALU_CYCLE_1)
	s_and_not1_b32 vcc_lo, exec_lo, s7
	s_cbranch_vccnz .LBB6_6809
; %bb.6808:                             ;   in Loop: Header=BB6_6801 Depth=2
	s_mov_b32 s29, s11
.LBB6_6809:                             ;   in Loop: Header=BB6_6801 Depth=2
	global_load_b128 v[10:13], v[98:99], off th:TH_LOAD_NT
	v_mov_b32_e32 v0, 0
	s_mov_b32 s7, exec_lo
	s_wait_loadcnt 0x0
	v_and_b32_e32 v1, 0xff, v10
	s_wait_xcnt 0x0
	s_delay_alu instid0(VALU_DEP_1)
	v_cmpx_ne_u16_e32 0, v1
	s_cbranch_execz .LBB6_6815
; %bb.6810:                             ;   in Loop: Header=BB6_6801 Depth=2
	v_bfrev_b32_e32 v0, 1
	s_mov_b32 s40, exec_lo
	v_cmpx_ne_u16_e32 0x80, v1
	s_cbranch_execz .LBB6_6814
; %bb.6811:                             ;   in Loop: Header=BB6_6801 Depth=2
	v_and_b32_e32 v1, 0x7f, v10
	v_mov_b32_e32 v0, 0x7f800001
	s_mov_b32 s41, exec_lo
	s_delay_alu instid0(VALU_DEP_2)
	v_cmpx_ne_u32_e32 0x7f, v1
	s_cbranch_execz .LBB6_6813
; %bb.6812:                             ;   in Loop: Header=BB6_6801 Depth=2
	v_dual_lshrrev_b32 v2, 3, v1 :: v_dual_bitop2_b32 v0, 7, v10 bitop3:0x40
	v_cmp_gt_u32_e32 vcc_lo, 8, v1
	s_delay_alu instid0(VALU_DEP_2) | instskip(NEXT) | instid1(VALU_DEP_1)
	v_clz_i32_u32_e32 v0, v0
	v_min_u32_e32 v0, 32, v0
	s_delay_alu instid0(VALU_DEP_1) | instskip(SKIP_1) | instid1(VALU_DEP_1)
	v_subrev_nc_u32_e32 v3, 28, v0
	v_sub_nc_u32_e32 v0, 29, v0
	v_dual_cndmask_b32 v2, v2, v0, vcc_lo :: v_dual_cndmask_b32 v0, 0, v3, vcc_lo
	s_delay_alu instid0(VALU_DEP_1) | instskip(NEXT) | instid1(VALU_DEP_2)
	v_lshl_add_u32 v2, v2, 23, 0x3c000000
	v_lshlrev_b64_e32 v[0:1], v0, v[10:11]
	v_lshlrev_b32_e32 v1, 24, v10
	s_delay_alu instid0(VALU_DEP_1) | instskip(NEXT) | instid1(VALU_DEP_3)
	v_and_b32_e32 v1, 0x80000000, v1
	v_lshlrev_b32_e32 v0, 20, v0
	s_delay_alu instid0(VALU_DEP_1) | instskip(NEXT) | instid1(VALU_DEP_1)
	v_and_b32_e32 v0, 0x700000, v0
	v_or3_b32 v0, v0, v1, v2
.LBB6_6813:                             ;   in Loop: Header=BB6_6801 Depth=2
	s_or_b32 exec_lo, exec_lo, s41
.LBB6_6814:                             ;   in Loop: Header=BB6_6801 Depth=2
	s_delay_alu instid0(SALU_CYCLE_1)
	s_or_b32 exec_lo, exec_lo, s40
.LBB6_6815:                             ;   in Loop: Header=BB6_6801 Depth=2
	s_delay_alu instid0(SALU_CYCLE_1) | instskip(NEXT) | instid1(VALU_DEP_1)
	s_or_b32 exec_lo, exec_lo, s7
	v_mul_f32_e32 v1, s29, v0
                                        ; implicit-def: $vgpr112
	s_mov_b32 s7, exec_lo
	s_delay_alu instid0(VALU_DEP_1) | instskip(SKIP_1) | instid1(VALU_DEP_2)
	v_and_b32_e32 v52, 0x7f800000, v1
	v_lshrrev_b32_e32 v0, 24, v1
	v_cmpx_ne_u64_e32 0x7f800000, v[52:53]
	s_xor_b32 s40, exec_lo, s7
	s_cbranch_execz .LBB6_6829
; %bb.6816:                             ;   in Loop: Header=BB6_6801 Depth=2
	v_and_b32_e32 v52, 0x7fffffff, v1
	v_and_b32_e32 v0, 0x80, v0
                                        ; implicit-def: $vgpr112
	s_mov_b32 s7, exec_lo
	s_delay_alu instid0(VALU_DEP_2)
	v_cmpx_gt_u64_e32 0x43e00001, v[52:53]
	s_xor_b32 s41, exec_lo, s7
	s_cbranch_execz .LBB6_6826
; %bb.6817:                             ;   in Loop: Header=BB6_6801 Depth=2
	v_mov_b32_e32 v112, 0
	s_mov_b32 s42, exec_lo
	v_cmpx_ne_u32_e32 0, v1
	s_cbranch_execz .LBB6_6825
; %bb.6818:                             ;   in Loop: Header=BB6_6801 Depth=2
	v_bfe_u32 v2, v1, 23, 8
	v_and_b32_e32 v1, 0x7fffff, v1
	s_mov_b32 s43, exec_lo
	s_delay_alu instid0(VALU_DEP_2) | instskip(NEXT) | instid1(VALU_DEP_2)
	v_cmp_gt_u32_e32 vcc_lo, 0x7a, v2
	v_or_b32_e32 v6, 0x800000, v1
	v_sub_nc_u32_e32 v3, 0x79, v2
	s_delay_alu instid0(VALU_DEP_1) | instskip(SKIP_1) | instid1(VALU_DEP_2)
	v_cndmask_b32_e32 v3, 0, v3, vcc_lo
	v_cmp_eq_u32_e32 vcc_lo, 0, v2
	v_cndmask_b32_e64 v3, v3, 0x78, vcc_lo
	s_delay_alu instid0(VALU_DEP_1) | instskip(SKIP_1) | instid1(VALU_DEP_2)
	v_dual_cndmask_b32 v52, v6, v1, vcc_lo :: v_dual_add_nc_u32 v4, 20, v3
	v_add_nc_u32_e32 v7, 19, v3
	v_lshrrev_b64 v[14:15], v3, v[52:53]
	s_delay_alu instid0(VALU_DEP_3) | instskip(NEXT) | instid1(VALU_DEP_3)
	v_lshlrev_b64_e64 v[4:5], v4, -1
	v_lshlrev_b64_e64 v[6:7], v7, 1
	s_delay_alu instid0(VALU_DEP_3) | instskip(NEXT) | instid1(VALU_DEP_3)
	v_mov_b64_e32 v[16:17], v[14:15]
	v_bfi_b32 v5, v5, 0, 0
	s_delay_alu instid0(VALU_DEP_4) | instskip(NEXT) | instid1(VALU_DEP_1)
	v_bfi_b32 v4, v4, 0, v52
	v_cmpx_eq_u64_e64 v[4:5], v[6:7]
; %bb.6819:                             ;   in Loop: Header=BB6_6801 Depth=2
	v_bfe_u32 v52, v14, 20, 1
	s_delay_alu instid0(VALU_DEP_1) | instskip(NEXT) | instid1(VALU_DEP_1)
	v_add_nc_u64_e32 v[4:5], v[14:15], v[52:53]
	v_add_nc_u64_e32 v[16:17], -1, v[4:5]
; %bb.6820:                             ;   in Loop: Header=BB6_6801 Depth=2
	s_or_b32 exec_lo, exec_lo, s43
	v_add_nc_u32_e32 v1, 0xffffff81, v2
	v_lshrrev_b32_e32 v2, 23, v14
	s_mov_b32 s7, exec_lo
	s_delay_alu instid0(VALU_DEP_2) | instskip(NEXT) | instid1(VALU_DEP_1)
	v_cndmask_b32_e64 v1, v1, 0xffffff82, vcc_lo
	v_add3_u32 v2, v3, v1, v2
	v_and_b32_e32 v1, 0xfffff, v16
	s_delay_alu instid0(VALU_DEP_2) | instskip(NEXT) | instid1(VALU_DEP_2)
	v_add_nc_u32_e32 v3, 6, v2
	v_add_nc_u32_e32 v52, v1, v14
                                        ; implicit-def: $vgpr14_vgpr15
                                        ; implicit-def: $vgpr1
	s_delay_alu instid0(VALU_DEP_2)
	v_cmpx_ne_u32_e32 0, v3
	s_xor_b32 s7, exec_lo, s7
; %bb.6821:                             ;   in Loop: Header=BB6_6801 Depth=2
	s_delay_alu instid0(VALU_DEP_2) | instskip(SKIP_2) | instid1(VALU_DEP_2)
	v_cmp_lt_u64_e32 vcc_lo, 0xffffff, v[52:53]
	v_add_nc_u32_e32 v1, 7, v2
	v_cndmask_b32_e64 v2, 0, 1, vcc_lo
	v_cndmask_b32_e32 v1, v3, v1, vcc_lo
	s_delay_alu instid0(VALU_DEP_2)
	v_lshrrev_b64 v[14:15], v2, v[52:53]
; %bb.6822:                             ;   in Loop: Header=BB6_6801 Depth=2
	s_and_not1_saveexec_b32 s7, s7
; %bb.6823:                             ;   in Loop: Header=BB6_6801 Depth=2
	v_mov_b64_e32 v[14:15], v[52:53]
	v_bfe_u32 v1, v52, 23, 1
; %bb.6824:                             ;   in Loop: Header=BB6_6801 Depth=2
	s_or_b32 exec_lo, exec_lo, s7
	s_delay_alu instid0(VALU_DEP_2) | instskip(NEXT) | instid1(VALU_DEP_2)
	v_lshrrev_b64 v[2:3], 20, v[14:15]
	v_cmp_gt_i32_e32 vcc_lo, 16, v1
	v_min_i32_e32 v4, 15, v1
	v_cmp_eq_u32_e64 s7, 0, v1
	s_delay_alu instid0(VALU_DEP_2) | instskip(SKIP_1) | instid1(VALU_DEP_2)
	v_dual_cndmask_b32 v3, 0, v3 :: v_dual_lshlrev_b32 v4, 3, v4
	v_cndmask_b32_e32 v2, 7, v2, vcc_lo
	v_and_b32_e32 v4, 0xf8, v4
	s_delay_alu instid0(VALU_DEP_2) | instskip(NEXT) | instid1(VALU_DEP_2)
	v_cmp_eq_u64_e32 vcc_lo, 0, v[2:3]
	v_and_or_b32 v1, v2, 7, v4
	s_and_b32 s7, s7, vcc_lo
	s_delay_alu instid0(VALU_DEP_1) | instid1(SALU_CYCLE_1)
	v_cndmask_b32_e64 v1, v1, 0, s7
	s_delay_alu instid0(VALU_DEP_1)
	v_or_b32_e32 v112, v1, v0
.LBB6_6825:                             ;   in Loop: Header=BB6_6801 Depth=2
	s_or_b32 exec_lo, exec_lo, s42
                                        ; implicit-def: $vgpr0
.LBB6_6826:                             ;   in Loop: Header=BB6_6801 Depth=2
	s_and_not1_saveexec_b32 s7, s41
; %bb.6827:                             ;   in Loop: Header=BB6_6801 Depth=2
	v_or_b32_e32 v112, 0x7e, v0
; %bb.6828:                             ;   in Loop: Header=BB6_6801 Depth=2
	s_or_b32 exec_lo, exec_lo, s7
                                        ; implicit-def: $vgpr0
.LBB6_6829:                             ;   in Loop: Header=BB6_6801 Depth=2
	s_and_not1_saveexec_b32 s7, s40
; %bb.6830:                             ;   in Loop: Header=BB6_6801 Depth=2
	v_or_b32_e32 v112, 0x7f, v0
; %bb.6831:                             ;   in Loop: Header=BB6_6801 Depth=2
	s_or_b32 exec_lo, exec_lo, s7
	v_lshrrev_b16 v1, 8, v10
	v_mov_b32_e32 v0, 0
	s_mov_b32 s7, exec_lo
	s_delay_alu instid0(VALU_DEP_2)
	v_cmpx_ne_u16_e32 0, v1
	s_cbranch_execz .LBB6_6839
; %bb.6832:                             ;   in Loop: Header=BB6_6801 Depth=2
	v_bfrev_b32_e32 v0, 1
	s_mov_b32 s40, exec_lo
	v_cmpx_ne_u16_e32 0x80, v1
	s_cbranch_execz .LBB6_6838
; %bb.6833:                             ;   in Loop: Header=BB6_6801 Depth=2
	v_and_b32_e32 v2, 0xffff, v1
	v_mov_b32_e32 v0, 0x7f800001
	s_mov_b32 s41, exec_lo
	s_delay_alu instid0(VALU_DEP_2) | instskip(NEXT) | instid1(VALU_DEP_1)
	v_and_b32_e32 v1, 0x7f, v2
	v_cmpx_ne_u32_e32 0x7f, v1
	s_cbranch_execz .LBB6_6837
; %bb.6834:                             ;   in Loop: Header=BB6_6801 Depth=2
	v_dual_lshrrev_b32 v0, 3, v1 :: v_dual_bitop2_b32 v52, 7, v2 bitop3:0x40
	s_mov_b32 s42, exec_lo
	v_cmpx_gt_u32_e32 8, v1
; %bb.6835:                             ;   in Loop: Header=BB6_6801 Depth=2
	s_delay_alu instid0(VALU_DEP_2) | instskip(NEXT) | instid1(VALU_DEP_1)
	v_clz_i32_u32_e32 v0, v52
	v_min_u32_e32 v0, 32, v0
	s_delay_alu instid0(VALU_DEP_1) | instskip(NEXT) | instid1(VALU_DEP_1)
	v_subrev_nc_u32_e32 v1, 28, v0
	v_lshlrev_b64_e32 v[2:3], v1, v[52:53]
	s_delay_alu instid0(VALU_DEP_1)
	v_dual_sub_nc_u32 v0, 29, v0 :: v_dual_bitop2_b32 v52, 7, v2 bitop3:0x40
; %bb.6836:                             ;   in Loop: Header=BB6_6801 Depth=2
	s_or_b32 exec_lo, exec_lo, s42
	s_delay_alu instid0(VALU_DEP_1) | instskip(NEXT) | instid1(VALU_DEP_2)
	v_dual_lshlrev_b32 v1, 16, v10 :: v_dual_lshlrev_b32 v2, 20, v52
	v_lshl_add_u32 v0, v0, 23, 0x3c000000
	s_delay_alu instid0(VALU_DEP_2) | instskip(NEXT) | instid1(VALU_DEP_1)
	v_and_b32_e32 v1, 0x80000000, v1
	v_or3_b32 v0, v2, v1, v0
.LBB6_6837:                             ;   in Loop: Header=BB6_6801 Depth=2
	s_or_b32 exec_lo, exec_lo, s41
.LBB6_6838:                             ;   in Loop: Header=BB6_6801 Depth=2
	s_delay_alu instid0(SALU_CYCLE_1)
	s_or_b32 exec_lo, exec_lo, s40
.LBB6_6839:                             ;   in Loop: Header=BB6_6801 Depth=2
	s_delay_alu instid0(SALU_CYCLE_1) | instskip(NEXT) | instid1(VALU_DEP_1)
	s_or_b32 exec_lo, exec_lo, s7
	v_mul_f32_e32 v1, s29, v0
                                        ; implicit-def: $vgpr50
	s_mov_b32 s7, exec_lo
	s_delay_alu instid0(VALU_DEP_1) | instskip(SKIP_1) | instid1(VALU_DEP_2)
	v_and_b32_e32 v52, 0x7f800000, v1
	v_lshrrev_b32_e32 v0, 24, v1
	v_cmpx_ne_u64_e32 0x7f800000, v[52:53]
	s_xor_b32 s40, exec_lo, s7
	s_cbranch_execz .LBB6_6853
; %bb.6840:                             ;   in Loop: Header=BB6_6801 Depth=2
	v_and_b32_e32 v52, 0x7fffffff, v1
	v_and_b32_e32 v0, 0x80, v0
                                        ; implicit-def: $vgpr50
	s_mov_b32 s7, exec_lo
	s_delay_alu instid0(VALU_DEP_2)
	v_cmpx_gt_u64_e32 0x43e00001, v[52:53]
	s_xor_b32 s41, exec_lo, s7
	s_cbranch_execz .LBB6_6850
; %bb.6841:                             ;   in Loop: Header=BB6_6801 Depth=2
	v_mov_b32_e32 v50, 0
	s_mov_b32 s42, exec_lo
	v_cmpx_ne_u32_e32 0, v1
	s_cbranch_execz .LBB6_6849
; %bb.6842:                             ;   in Loop: Header=BB6_6801 Depth=2
	v_bfe_u32 v2, v1, 23, 8
	v_and_b32_e32 v1, 0x7fffff, v1
	s_mov_b32 s43, exec_lo
	s_delay_alu instid0(VALU_DEP_2) | instskip(NEXT) | instid1(VALU_DEP_2)
	v_cmp_gt_u32_e32 vcc_lo, 0x7a, v2
	v_or_b32_e32 v6, 0x800000, v1
	v_sub_nc_u32_e32 v3, 0x79, v2
	s_delay_alu instid0(VALU_DEP_1) | instskip(SKIP_1) | instid1(VALU_DEP_2)
	v_cndmask_b32_e32 v3, 0, v3, vcc_lo
	v_cmp_eq_u32_e32 vcc_lo, 0, v2
	v_cndmask_b32_e64 v3, v3, 0x78, vcc_lo
	s_delay_alu instid0(VALU_DEP_1) | instskip(SKIP_1) | instid1(VALU_DEP_2)
	v_dual_cndmask_b32 v52, v6, v1, vcc_lo :: v_dual_add_nc_u32 v4, 20, v3
	v_add_nc_u32_e32 v7, 19, v3
	v_lshrrev_b64 v[14:15], v3, v[52:53]
	s_delay_alu instid0(VALU_DEP_3) | instskip(NEXT) | instid1(VALU_DEP_3)
	v_lshlrev_b64_e64 v[4:5], v4, -1
	v_lshlrev_b64_e64 v[6:7], v7, 1
	s_delay_alu instid0(VALU_DEP_3) | instskip(NEXT) | instid1(VALU_DEP_3)
	v_mov_b64_e32 v[16:17], v[14:15]
	v_bfi_b32 v5, v5, 0, 0
	s_delay_alu instid0(VALU_DEP_4) | instskip(NEXT) | instid1(VALU_DEP_1)
	v_bfi_b32 v4, v4, 0, v52
	v_cmpx_eq_u64_e64 v[4:5], v[6:7]
; %bb.6843:                             ;   in Loop: Header=BB6_6801 Depth=2
	v_bfe_u32 v52, v14, 20, 1
	s_delay_alu instid0(VALU_DEP_1) | instskip(NEXT) | instid1(VALU_DEP_1)
	v_add_nc_u64_e32 v[4:5], v[14:15], v[52:53]
	v_add_nc_u64_e32 v[16:17], -1, v[4:5]
; %bb.6844:                             ;   in Loop: Header=BB6_6801 Depth=2
	s_or_b32 exec_lo, exec_lo, s43
	v_add_nc_u32_e32 v1, 0xffffff81, v2
	v_lshrrev_b32_e32 v2, 23, v14
	s_mov_b32 s7, exec_lo
	s_delay_alu instid0(VALU_DEP_2) | instskip(NEXT) | instid1(VALU_DEP_1)
	v_cndmask_b32_e64 v1, v1, 0xffffff82, vcc_lo
	v_add3_u32 v2, v3, v1, v2
	v_and_b32_e32 v1, 0xfffff, v16
	s_delay_alu instid0(VALU_DEP_2) | instskip(NEXT) | instid1(VALU_DEP_2)
	v_add_nc_u32_e32 v3, 6, v2
	v_add_nc_u32_e32 v52, v1, v14
                                        ; implicit-def: $vgpr14_vgpr15
                                        ; implicit-def: $vgpr1
	s_delay_alu instid0(VALU_DEP_2)
	v_cmpx_ne_u32_e32 0, v3
	s_xor_b32 s7, exec_lo, s7
; %bb.6845:                             ;   in Loop: Header=BB6_6801 Depth=2
	s_delay_alu instid0(VALU_DEP_2) | instskip(SKIP_2) | instid1(VALU_DEP_2)
	v_cmp_lt_u64_e32 vcc_lo, 0xffffff, v[52:53]
	v_add_nc_u32_e32 v1, 7, v2
	v_cndmask_b32_e64 v2, 0, 1, vcc_lo
	v_cndmask_b32_e32 v1, v3, v1, vcc_lo
	s_delay_alu instid0(VALU_DEP_2)
	v_lshrrev_b64 v[14:15], v2, v[52:53]
; %bb.6846:                             ;   in Loop: Header=BB6_6801 Depth=2
	s_and_not1_saveexec_b32 s7, s7
; %bb.6847:                             ;   in Loop: Header=BB6_6801 Depth=2
	v_mov_b64_e32 v[14:15], v[52:53]
	v_bfe_u32 v1, v52, 23, 1
; %bb.6848:                             ;   in Loop: Header=BB6_6801 Depth=2
	s_or_b32 exec_lo, exec_lo, s7
	s_delay_alu instid0(VALU_DEP_2) | instskip(NEXT) | instid1(VALU_DEP_2)
	v_lshrrev_b64 v[2:3], 20, v[14:15]
	v_cmp_gt_i32_e32 vcc_lo, 16, v1
	v_min_i32_e32 v4, 15, v1
	v_cmp_eq_u32_e64 s7, 0, v1
	s_delay_alu instid0(VALU_DEP_2) | instskip(SKIP_1) | instid1(VALU_DEP_2)
	v_dual_cndmask_b32 v3, 0, v3 :: v_dual_lshlrev_b32 v4, 3, v4
	v_cndmask_b32_e32 v2, 7, v2, vcc_lo
	v_and_b32_e32 v4, 0xf8, v4
	s_delay_alu instid0(VALU_DEP_2) | instskip(NEXT) | instid1(VALU_DEP_2)
	v_cmp_eq_u64_e32 vcc_lo, 0, v[2:3]
	v_and_or_b32 v1, v2, 7, v4
	s_and_b32 s7, s7, vcc_lo
	s_delay_alu instid0(VALU_DEP_1) | instid1(SALU_CYCLE_1)
	v_cndmask_b32_e64 v1, v1, 0, s7
	s_delay_alu instid0(VALU_DEP_1)
	v_or_b32_e32 v50, v1, v0
.LBB6_6849:                             ;   in Loop: Header=BB6_6801 Depth=2
	s_or_b32 exec_lo, exec_lo, s42
                                        ; implicit-def: $vgpr0
.LBB6_6850:                             ;   in Loop: Header=BB6_6801 Depth=2
	s_and_not1_saveexec_b32 s7, s41
; %bb.6851:                             ;   in Loop: Header=BB6_6801 Depth=2
	v_or_b32_e32 v50, 0x7e, v0
; %bb.6852:                             ;   in Loop: Header=BB6_6801 Depth=2
	s_or_b32 exec_lo, exec_lo, s7
                                        ; implicit-def: $vgpr0
.LBB6_6853:                             ;   in Loop: Header=BB6_6801 Depth=2
	s_and_not1_saveexec_b32 s7, s40
; %bb.6854:                             ;   in Loop: Header=BB6_6801 Depth=2
	v_or_b32_e32 v50, 0x7f, v0
; %bb.6855:                             ;   in Loop: Header=BB6_6801 Depth=2
	s_or_b32 exec_lo, exec_lo, s7
	v_dual_mov_b32 v1, 0 :: v_dual_lshrrev_b32 v0, 16, v10
	s_mov_b32 s7, exec_lo
	s_delay_alu instid0(VALU_DEP_1) | instskip(NEXT) | instid1(VALU_DEP_1)
	v_and_b32_e32 v2, 0xff, v0
	v_cmpx_ne_u16_e32 0, v2
	s_cbranch_execz .LBB6_6863
; %bb.6856:                             ;   in Loop: Header=BB6_6801 Depth=2
	v_bfrev_b32_e32 v1, 1
	s_mov_b32 s40, exec_lo
	v_cmpx_ne_u16_e32 0x80, v2
	s_cbranch_execz .LBB6_6862
; %bb.6857:                             ;   in Loop: Header=BB6_6801 Depth=2
	v_bfe_u32 v2, v10, 16, 7
	v_mov_b32_e32 v1, 0x7f800001
	s_mov_b32 s41, exec_lo
	s_delay_alu instid0(VALU_DEP_2)
	v_cmpx_ne_u32_e32 0x7f, v2
	s_cbranch_execz .LBB6_6861
; %bb.6858:                             ;   in Loop: Header=BB6_6801 Depth=2
	v_dual_lshrrev_b32 v1, 3, v2 :: v_dual_bitop2_b32 v52, 7, v0 bitop3:0x40
	s_mov_b32 s42, exec_lo
	v_cmpx_gt_u32_e32 8, v2
; %bb.6859:                             ;   in Loop: Header=BB6_6801 Depth=2
	s_delay_alu instid0(VALU_DEP_2) | instskip(NEXT) | instid1(VALU_DEP_1)
	v_clz_i32_u32_e32 v1, v52
	v_min_u32_e32 v1, 32, v1
	s_delay_alu instid0(VALU_DEP_1) | instskip(NEXT) | instid1(VALU_DEP_1)
	v_subrev_nc_u32_e32 v2, 28, v1
	v_lshlrev_b64_e32 v[2:3], v2, v[52:53]
	s_delay_alu instid0(VALU_DEP_1)
	v_dual_sub_nc_u32 v1, 29, v1 :: v_dual_bitop2_b32 v52, 7, v2 bitop3:0x40
; %bb.6860:                             ;   in Loop: Header=BB6_6801 Depth=2
	s_or_b32 exec_lo, exec_lo, s42
	v_lshlrev_b32_e32 v0, 24, v0
	s_delay_alu instid0(VALU_DEP_2) | instskip(NEXT) | instid1(VALU_DEP_3)
	v_lshlrev_b32_e32 v2, 20, v52
	v_lshl_add_u32 v1, v1, 23, 0x3c000000
	s_delay_alu instid0(VALU_DEP_3) | instskip(NEXT) | instid1(VALU_DEP_1)
	v_and_b32_e32 v0, 0x80000000, v0
	v_or3_b32 v1, v2, v0, v1
.LBB6_6861:                             ;   in Loop: Header=BB6_6801 Depth=2
	s_or_b32 exec_lo, exec_lo, s41
.LBB6_6862:                             ;   in Loop: Header=BB6_6801 Depth=2
	s_delay_alu instid0(SALU_CYCLE_1)
	s_or_b32 exec_lo, exec_lo, s40
.LBB6_6863:                             ;   in Loop: Header=BB6_6801 Depth=2
	s_delay_alu instid0(SALU_CYCLE_1) | instskip(NEXT) | instid1(VALU_DEP_1)
	s_or_b32 exec_lo, exec_lo, s7
	v_mul_f32_e32 v1, s29, v1
                                        ; implicit-def: $vgpr113
	s_mov_b32 s7, exec_lo
	s_delay_alu instid0(VALU_DEP_1) | instskip(SKIP_1) | instid1(VALU_DEP_2)
	v_and_b32_e32 v52, 0x7f800000, v1
	v_lshrrev_b32_e32 v0, 24, v1
	v_cmpx_ne_u64_e32 0x7f800000, v[52:53]
	s_xor_b32 s40, exec_lo, s7
	s_cbranch_execz .LBB6_6877
; %bb.6864:                             ;   in Loop: Header=BB6_6801 Depth=2
	v_and_b32_e32 v52, 0x7fffffff, v1
	v_and_b32_e32 v0, 0x80, v0
                                        ; implicit-def: $vgpr113
	s_mov_b32 s7, exec_lo
	s_delay_alu instid0(VALU_DEP_2)
	v_cmpx_gt_u64_e32 0x43e00001, v[52:53]
	s_xor_b32 s41, exec_lo, s7
	s_cbranch_execz .LBB6_6874
; %bb.6865:                             ;   in Loop: Header=BB6_6801 Depth=2
	v_mov_b32_e32 v113, 0
	s_mov_b32 s42, exec_lo
	v_cmpx_ne_u32_e32 0, v1
	s_cbranch_execz .LBB6_6873
; %bb.6866:                             ;   in Loop: Header=BB6_6801 Depth=2
	v_bfe_u32 v2, v1, 23, 8
	v_and_b32_e32 v1, 0x7fffff, v1
	s_mov_b32 s43, exec_lo
	s_delay_alu instid0(VALU_DEP_2) | instskip(NEXT) | instid1(VALU_DEP_2)
	v_cmp_gt_u32_e32 vcc_lo, 0x7a, v2
	v_or_b32_e32 v6, 0x800000, v1
	v_sub_nc_u32_e32 v3, 0x79, v2
	s_delay_alu instid0(VALU_DEP_1) | instskip(SKIP_1) | instid1(VALU_DEP_2)
	v_cndmask_b32_e32 v3, 0, v3, vcc_lo
	v_cmp_eq_u32_e32 vcc_lo, 0, v2
	v_cndmask_b32_e64 v3, v3, 0x78, vcc_lo
	s_delay_alu instid0(VALU_DEP_1) | instskip(SKIP_1) | instid1(VALU_DEP_2)
	v_dual_cndmask_b32 v52, v6, v1, vcc_lo :: v_dual_add_nc_u32 v4, 20, v3
	v_add_nc_u32_e32 v7, 19, v3
	v_lshrrev_b64 v[14:15], v3, v[52:53]
	s_delay_alu instid0(VALU_DEP_3) | instskip(NEXT) | instid1(VALU_DEP_3)
	v_lshlrev_b64_e64 v[4:5], v4, -1
	v_lshlrev_b64_e64 v[6:7], v7, 1
	s_delay_alu instid0(VALU_DEP_3) | instskip(NEXT) | instid1(VALU_DEP_3)
	v_mov_b64_e32 v[16:17], v[14:15]
	v_bfi_b32 v5, v5, 0, 0
	s_delay_alu instid0(VALU_DEP_4) | instskip(NEXT) | instid1(VALU_DEP_1)
	v_bfi_b32 v4, v4, 0, v52
	v_cmpx_eq_u64_e64 v[4:5], v[6:7]
; %bb.6867:                             ;   in Loop: Header=BB6_6801 Depth=2
	v_bfe_u32 v52, v14, 20, 1
	s_delay_alu instid0(VALU_DEP_1) | instskip(NEXT) | instid1(VALU_DEP_1)
	v_add_nc_u64_e32 v[4:5], v[14:15], v[52:53]
	v_add_nc_u64_e32 v[16:17], -1, v[4:5]
; %bb.6868:                             ;   in Loop: Header=BB6_6801 Depth=2
	s_or_b32 exec_lo, exec_lo, s43
	v_add_nc_u32_e32 v1, 0xffffff81, v2
	v_lshrrev_b32_e32 v2, 23, v14
	s_mov_b32 s7, exec_lo
	s_delay_alu instid0(VALU_DEP_2) | instskip(NEXT) | instid1(VALU_DEP_1)
	v_cndmask_b32_e64 v1, v1, 0xffffff82, vcc_lo
	v_add3_u32 v2, v3, v1, v2
	v_and_b32_e32 v1, 0xfffff, v16
	s_delay_alu instid0(VALU_DEP_2) | instskip(NEXT) | instid1(VALU_DEP_2)
	v_add_nc_u32_e32 v3, 6, v2
	v_add_nc_u32_e32 v52, v1, v14
                                        ; implicit-def: $vgpr14_vgpr15
                                        ; implicit-def: $vgpr1
	s_delay_alu instid0(VALU_DEP_2)
	v_cmpx_ne_u32_e32 0, v3
	s_xor_b32 s7, exec_lo, s7
; %bb.6869:                             ;   in Loop: Header=BB6_6801 Depth=2
	s_delay_alu instid0(VALU_DEP_2) | instskip(SKIP_2) | instid1(VALU_DEP_2)
	v_cmp_lt_u64_e32 vcc_lo, 0xffffff, v[52:53]
	v_add_nc_u32_e32 v1, 7, v2
	v_cndmask_b32_e64 v2, 0, 1, vcc_lo
	v_cndmask_b32_e32 v1, v3, v1, vcc_lo
	s_delay_alu instid0(VALU_DEP_2)
	v_lshrrev_b64 v[14:15], v2, v[52:53]
; %bb.6870:                             ;   in Loop: Header=BB6_6801 Depth=2
	s_and_not1_saveexec_b32 s7, s7
; %bb.6871:                             ;   in Loop: Header=BB6_6801 Depth=2
	v_mov_b64_e32 v[14:15], v[52:53]
	v_bfe_u32 v1, v52, 23, 1
; %bb.6872:                             ;   in Loop: Header=BB6_6801 Depth=2
	s_or_b32 exec_lo, exec_lo, s7
	s_delay_alu instid0(VALU_DEP_2) | instskip(NEXT) | instid1(VALU_DEP_2)
	v_lshrrev_b64 v[2:3], 20, v[14:15]
	v_cmp_gt_i32_e32 vcc_lo, 16, v1
	v_min_i32_e32 v4, 15, v1
	v_cmp_eq_u32_e64 s7, 0, v1
	s_delay_alu instid0(VALU_DEP_2) | instskip(SKIP_1) | instid1(VALU_DEP_2)
	v_dual_cndmask_b32 v3, 0, v3 :: v_dual_lshlrev_b32 v4, 3, v4
	v_cndmask_b32_e32 v2, 7, v2, vcc_lo
	v_and_b32_e32 v4, 0xf8, v4
	s_delay_alu instid0(VALU_DEP_2) | instskip(NEXT) | instid1(VALU_DEP_2)
	v_cmp_eq_u64_e32 vcc_lo, 0, v[2:3]
	v_and_or_b32 v1, v2, 7, v4
	s_and_b32 s7, s7, vcc_lo
	s_delay_alu instid0(VALU_DEP_1) | instid1(SALU_CYCLE_1)
	v_cndmask_b32_e64 v1, v1, 0, s7
	s_delay_alu instid0(VALU_DEP_1)
	v_or_b32_e32 v113, v1, v0
.LBB6_6873:                             ;   in Loop: Header=BB6_6801 Depth=2
	s_or_b32 exec_lo, exec_lo, s42
                                        ; implicit-def: $vgpr0
.LBB6_6874:                             ;   in Loop: Header=BB6_6801 Depth=2
	s_and_not1_saveexec_b32 s7, s41
; %bb.6875:                             ;   in Loop: Header=BB6_6801 Depth=2
	v_or_b32_e32 v113, 0x7e, v0
; %bb.6876:                             ;   in Loop: Header=BB6_6801 Depth=2
	s_or_b32 exec_lo, exec_lo, s7
                                        ; implicit-def: $vgpr0
.LBB6_6877:                             ;   in Loop: Header=BB6_6801 Depth=2
	s_and_not1_saveexec_b32 s7, s40
; %bb.6878:                             ;   in Loop: Header=BB6_6801 Depth=2
	v_or_b32_e32 v113, 0x7f, v0
; %bb.6879:                             ;   in Loop: Header=BB6_6801 Depth=2
	s_or_b32 exec_lo, exec_lo, s7
	v_mov_b32_e32 v1, 0
	s_mov_b32 s7, exec_lo
	v_cmpx_lt_u32_e32 0xffffff, v10
	s_cbranch_execz .LBB6_6887
; %bb.6880:                             ;   in Loop: Header=BB6_6801 Depth=2
	v_lshrrev_b32_e32 v0, 24, v10
	v_bfrev_b32_e32 v1, 1
	s_mov_b32 s40, exec_lo
	s_delay_alu instid0(VALU_DEP_2)
	v_cmpx_ne_u32_e32 0x80, v0
	s_cbranch_execz .LBB6_6886
; %bb.6881:                             ;   in Loop: Header=BB6_6801 Depth=2
	v_bfe_u32 v2, v10, 24, 7
	v_mov_b32_e32 v1, 0x7f800001
	s_mov_b32 s41, exec_lo
	s_delay_alu instid0(VALU_DEP_2)
	v_cmpx_ne_u32_e32 0x7f, v2
	s_cbranch_execz .LBB6_6885
; %bb.6882:                             ;   in Loop: Header=BB6_6801 Depth=2
	v_dual_lshrrev_b32 v1, 3, v2 :: v_dual_bitop2_b32 v52, 7, v0 bitop3:0x40
	s_mov_b32 s42, exec_lo
	v_cmpx_gt_u32_e32 8, v2
; %bb.6883:                             ;   in Loop: Header=BB6_6801 Depth=2
	s_delay_alu instid0(VALU_DEP_2) | instskip(NEXT) | instid1(VALU_DEP_1)
	v_clz_i32_u32_e32 v1, v52
	v_min_u32_e32 v1, 32, v1
	s_delay_alu instid0(VALU_DEP_1) | instskip(NEXT) | instid1(VALU_DEP_1)
	v_subrev_nc_u32_e32 v2, 28, v1
	v_lshlrev_b64_e32 v[2:3], v2, v[52:53]
	s_delay_alu instid0(VALU_DEP_1)
	v_dual_sub_nc_u32 v1, 29, v1 :: v_dual_bitop2_b32 v52, 7, v2 bitop3:0x40
; %bb.6884:                             ;   in Loop: Header=BB6_6801 Depth=2
	s_or_b32 exec_lo, exec_lo, s42
	v_lshlrev_b32_e32 v0, 24, v0
	s_delay_alu instid0(VALU_DEP_2) | instskip(NEXT) | instid1(VALU_DEP_3)
	v_lshlrev_b32_e32 v2, 20, v52
	v_lshl_add_u32 v1, v1, 23, 0x3c000000
	s_delay_alu instid0(VALU_DEP_3) | instskip(NEXT) | instid1(VALU_DEP_1)
	v_and_b32_e32 v0, 0x80000000, v0
	v_or3_b32 v1, v2, v0, v1
.LBB6_6885:                             ;   in Loop: Header=BB6_6801 Depth=2
	s_or_b32 exec_lo, exec_lo, s41
.LBB6_6886:                             ;   in Loop: Header=BB6_6801 Depth=2
	s_delay_alu instid0(SALU_CYCLE_1)
	s_or_b32 exec_lo, exec_lo, s40
.LBB6_6887:                             ;   in Loop: Header=BB6_6801 Depth=2
	s_delay_alu instid0(SALU_CYCLE_1) | instskip(NEXT) | instid1(VALU_DEP_1)
	s_or_b32 exec_lo, exec_lo, s7
	v_mul_f32_e32 v1, s29, v1
                                        ; implicit-def: $vgpr4
	s_mov_b32 s7, exec_lo
	s_delay_alu instid0(VALU_DEP_1) | instskip(SKIP_1) | instid1(VALU_DEP_2)
	v_and_b32_e32 v52, 0x7f800000, v1
	v_lshrrev_b32_e32 v0, 24, v1
	v_cmpx_ne_u64_e32 0x7f800000, v[52:53]
	s_xor_b32 s40, exec_lo, s7
	s_cbranch_execz .LBB6_6901
; %bb.6888:                             ;   in Loop: Header=BB6_6801 Depth=2
	v_and_b32_e32 v52, 0x7fffffff, v1
	v_and_b32_e32 v0, 0x80, v0
                                        ; implicit-def: $vgpr4
	s_mov_b32 s7, exec_lo
	s_delay_alu instid0(VALU_DEP_2)
	v_cmpx_gt_u64_e32 0x43e00001, v[52:53]
	s_xor_b32 s41, exec_lo, s7
	s_cbranch_execz .LBB6_6898
; %bb.6889:                             ;   in Loop: Header=BB6_6801 Depth=2
	v_mov_b32_e32 v4, 0
	s_mov_b32 s42, exec_lo
	v_cmpx_ne_u32_e32 0, v1
	s_cbranch_execz .LBB6_6897
; %bb.6890:                             ;   in Loop: Header=BB6_6801 Depth=2
	v_bfe_u32 v2, v1, 23, 8
	v_and_b32_e32 v1, 0x7fffff, v1
	s_mov_b32 s43, exec_lo
	s_delay_alu instid0(VALU_DEP_2) | instskip(NEXT) | instid1(VALU_DEP_2)
	v_cmp_gt_u32_e32 vcc_lo, 0x7a, v2
	v_or_b32_e32 v6, 0x800000, v1
	v_sub_nc_u32_e32 v3, 0x79, v2
	s_delay_alu instid0(VALU_DEP_1) | instskip(SKIP_1) | instid1(VALU_DEP_2)
	v_cndmask_b32_e32 v3, 0, v3, vcc_lo
	v_cmp_eq_u32_e32 vcc_lo, 0, v2
	v_cndmask_b32_e64 v3, v3, 0x78, vcc_lo
	s_delay_alu instid0(VALU_DEP_1) | instskip(SKIP_1) | instid1(VALU_DEP_2)
	v_dual_cndmask_b32 v52, v6, v1, vcc_lo :: v_dual_add_nc_u32 v4, 20, v3
	v_add_nc_u32_e32 v7, 19, v3
	v_lshrrev_b64 v[14:15], v3, v[52:53]
	s_delay_alu instid0(VALU_DEP_3) | instskip(NEXT) | instid1(VALU_DEP_3)
	v_lshlrev_b64_e64 v[4:5], v4, -1
	v_lshlrev_b64_e64 v[6:7], v7, 1
	s_delay_alu instid0(VALU_DEP_3) | instskip(NEXT) | instid1(VALU_DEP_3)
	v_mov_b64_e32 v[16:17], v[14:15]
	v_bfi_b32 v5, v5, 0, 0
	s_delay_alu instid0(VALU_DEP_4) | instskip(NEXT) | instid1(VALU_DEP_1)
	v_bfi_b32 v4, v4, 0, v52
	v_cmpx_eq_u64_e64 v[4:5], v[6:7]
; %bb.6891:                             ;   in Loop: Header=BB6_6801 Depth=2
	v_bfe_u32 v52, v14, 20, 1
	s_delay_alu instid0(VALU_DEP_1) | instskip(NEXT) | instid1(VALU_DEP_1)
	v_add_nc_u64_e32 v[4:5], v[14:15], v[52:53]
	v_add_nc_u64_e32 v[16:17], -1, v[4:5]
; %bb.6892:                             ;   in Loop: Header=BB6_6801 Depth=2
	s_or_b32 exec_lo, exec_lo, s43
	v_add_nc_u32_e32 v1, 0xffffff81, v2
	v_lshrrev_b32_e32 v2, 23, v14
	s_mov_b32 s7, exec_lo
	s_delay_alu instid0(VALU_DEP_2) | instskip(NEXT) | instid1(VALU_DEP_1)
	v_cndmask_b32_e64 v1, v1, 0xffffff82, vcc_lo
	v_add3_u32 v2, v3, v1, v2
	v_and_b32_e32 v1, 0xfffff, v16
	s_delay_alu instid0(VALU_DEP_2) | instskip(NEXT) | instid1(VALU_DEP_2)
	v_add_nc_u32_e32 v3, 6, v2
	v_add_nc_u32_e32 v52, v1, v14
                                        ; implicit-def: $vgpr14_vgpr15
                                        ; implicit-def: $vgpr1
	s_delay_alu instid0(VALU_DEP_2)
	v_cmpx_ne_u32_e32 0, v3
	s_xor_b32 s7, exec_lo, s7
; %bb.6893:                             ;   in Loop: Header=BB6_6801 Depth=2
	s_delay_alu instid0(VALU_DEP_2) | instskip(SKIP_2) | instid1(VALU_DEP_2)
	v_cmp_lt_u64_e32 vcc_lo, 0xffffff, v[52:53]
	v_add_nc_u32_e32 v1, 7, v2
	v_cndmask_b32_e64 v2, 0, 1, vcc_lo
	v_cndmask_b32_e32 v1, v3, v1, vcc_lo
	s_delay_alu instid0(VALU_DEP_2)
	v_lshrrev_b64 v[14:15], v2, v[52:53]
; %bb.6894:                             ;   in Loop: Header=BB6_6801 Depth=2
	s_and_not1_saveexec_b32 s7, s7
; %bb.6895:                             ;   in Loop: Header=BB6_6801 Depth=2
	v_mov_b64_e32 v[14:15], v[52:53]
	v_bfe_u32 v1, v52, 23, 1
; %bb.6896:                             ;   in Loop: Header=BB6_6801 Depth=2
	s_or_b32 exec_lo, exec_lo, s7
	s_delay_alu instid0(VALU_DEP_2) | instskip(NEXT) | instid1(VALU_DEP_2)
	v_lshrrev_b64 v[2:3], 20, v[14:15]
	v_cmp_gt_i32_e32 vcc_lo, 16, v1
	v_min_i32_e32 v4, 15, v1
	v_cmp_eq_u32_e64 s7, 0, v1
	s_delay_alu instid0(VALU_DEP_2) | instskip(SKIP_1) | instid1(VALU_DEP_2)
	v_dual_cndmask_b32 v3, 0, v3 :: v_dual_lshlrev_b32 v4, 3, v4
	v_cndmask_b32_e32 v2, 7, v2, vcc_lo
	v_and_b32_e32 v4, 0xf8, v4
	s_delay_alu instid0(VALU_DEP_2) | instskip(NEXT) | instid1(VALU_DEP_2)
	v_cmp_eq_u64_e32 vcc_lo, 0, v[2:3]
	v_and_or_b32 v1, v2, 7, v4
	s_and_b32 s7, s7, vcc_lo
	s_delay_alu instid0(VALU_DEP_1) | instid1(SALU_CYCLE_1)
	v_cndmask_b32_e64 v1, v1, 0, s7
	s_delay_alu instid0(VALU_DEP_1)
	v_or_b32_e32 v4, v1, v0
.LBB6_6897:                             ;   in Loop: Header=BB6_6801 Depth=2
	s_or_b32 exec_lo, exec_lo, s42
                                        ; implicit-def: $vgpr0
.LBB6_6898:                             ;   in Loop: Header=BB6_6801 Depth=2
	s_and_not1_saveexec_b32 s7, s41
; %bb.6899:                             ;   in Loop: Header=BB6_6801 Depth=2
	v_or_b32_e32 v4, 0x7e, v0
; %bb.6900:                             ;   in Loop: Header=BB6_6801 Depth=2
	s_or_b32 exec_lo, exec_lo, s7
                                        ; implicit-def: $vgpr0
.LBB6_6901:                             ;   in Loop: Header=BB6_6801 Depth=2
	s_and_not1_saveexec_b32 s7, s40
; %bb.6902:                             ;   in Loop: Header=BB6_6801 Depth=2
	v_or_b32_e32 v4, 0x7f, v0
; %bb.6903:                             ;   in Loop: Header=BB6_6801 Depth=2
	s_or_b32 exec_lo, exec_lo, s7
	v_and_b32_e32 v1, 0xff, v11
	v_dual_mov_b32 v52, v11 :: v_dual_mov_b32 v0, 0
	s_mov_b32 s7, exec_lo
	s_delay_alu instid0(VALU_DEP_2)
	v_cmpx_ne_u16_e32 0, v1
	s_cbranch_execz .LBB6_6909
; %bb.6904:                             ;   in Loop: Header=BB6_6801 Depth=2
	v_bfrev_b32_e32 v0, 1
	s_mov_b32 s40, exec_lo
	v_cmpx_ne_u16_e32 0x80, v1
	s_cbranch_execz .LBB6_6908
; %bb.6905:                             ;   in Loop: Header=BB6_6801 Depth=2
	v_and_b32_e32 v1, 0x7f, v11
	v_mov_b32_e32 v0, 0x7f800001
	s_mov_b32 s41, exec_lo
	s_delay_alu instid0(VALU_DEP_2)
	v_cmpx_ne_u32_e32 0x7f, v1
	s_cbranch_execz .LBB6_6907
; %bb.6906:                             ;   in Loop: Header=BB6_6801 Depth=2
	v_dual_lshrrev_b32 v2, 3, v1 :: v_dual_bitop2_b32 v0, 7, v11 bitop3:0x40
	v_cmp_gt_u32_e32 vcc_lo, 8, v1
	s_delay_alu instid0(VALU_DEP_2) | instskip(NEXT) | instid1(VALU_DEP_1)
	v_clz_i32_u32_e32 v0, v0
	v_min_u32_e32 v0, 32, v0
	s_delay_alu instid0(VALU_DEP_1) | instskip(SKIP_1) | instid1(VALU_DEP_1)
	v_subrev_nc_u32_e32 v3, 28, v0
	v_sub_nc_u32_e32 v0, 29, v0
	v_dual_cndmask_b32 v2, v2, v0, vcc_lo :: v_dual_cndmask_b32 v0, 0, v3, vcc_lo
	s_delay_alu instid0(VALU_DEP_1) | instskip(NEXT) | instid1(VALU_DEP_2)
	v_lshl_add_u32 v2, v2, 23, 0x3c000000
	v_lshlrev_b64_e32 v[0:1], v0, v[52:53]
	v_lshlrev_b32_e32 v1, 24, v52
	s_delay_alu instid0(VALU_DEP_1) | instskip(NEXT) | instid1(VALU_DEP_3)
	v_and_b32_e32 v1, 0x80000000, v1
	v_lshlrev_b32_e32 v0, 20, v0
	s_delay_alu instid0(VALU_DEP_1) | instskip(NEXT) | instid1(VALU_DEP_1)
	v_and_b32_e32 v0, 0x700000, v0
	v_or3_b32 v0, v0, v1, v2
.LBB6_6907:                             ;   in Loop: Header=BB6_6801 Depth=2
	s_or_b32 exec_lo, exec_lo, s41
.LBB6_6908:                             ;   in Loop: Header=BB6_6801 Depth=2
	s_delay_alu instid0(SALU_CYCLE_1)
	s_or_b32 exec_lo, exec_lo, s40
.LBB6_6909:                             ;   in Loop: Header=BB6_6801 Depth=2
	s_delay_alu instid0(SALU_CYCLE_1) | instskip(NEXT) | instid1(VALU_DEP_1)
	s_or_b32 exec_lo, exec_lo, s7
	v_dual_mul_f32 v1, s29, v0 :: v_dual_mov_b32 v3, v53
                                        ; implicit-def: $vgpr65
	s_mov_b32 s7, exec_lo
	s_delay_alu instid0(VALU_DEP_1) | instskip(SKIP_1) | instid1(VALU_DEP_2)
	v_and_b32_e32 v2, 0x7f800000, v1
	v_lshrrev_b32_e32 v0, 24, v1
	v_cmpx_ne_u64_e32 0x7f800000, v[2:3]
	s_xor_b32 s40, exec_lo, s7
	s_cbranch_execz .LBB6_6923
; %bb.6910:                             ;   in Loop: Header=BB6_6801 Depth=2
	v_and_b32_e32 v2, 0x7fffffff, v1
	v_mov_b32_e32 v3, v53
	v_and_b32_e32 v0, 0x80, v0
                                        ; implicit-def: $vgpr65
	s_mov_b32 s7, exec_lo
	s_delay_alu instid0(VALU_DEP_2)
	v_cmpx_gt_u64_e32 0x43e00001, v[2:3]
	s_xor_b32 s41, exec_lo, s7
	s_cbranch_execz .LBB6_6920
; %bb.6911:                             ;   in Loop: Header=BB6_6801 Depth=2
	v_mov_b32_e32 v65, 0
	s_mov_b32 s42, exec_lo
	v_cmpx_ne_u32_e32 0, v1
	s_cbranch_execz .LBB6_6919
; %bb.6912:                             ;   in Loop: Header=BB6_6801 Depth=2
	v_bfe_u32 v2, v1, 23, 8
	v_and_b32_e32 v1, 0x7fffff, v1
	v_mov_b32_e32 v9, v53
	s_delay_alu instid0(VALU_DEP_3) | instskip(NEXT) | instid1(VALU_DEP_3)
	v_cmp_gt_u32_e32 vcc_lo, 0x7a, v2
	v_or_b32_e32 v8, 0x800000, v1
	v_sub_nc_u32_e32 v3, 0x79, v2
	s_delay_alu instid0(VALU_DEP_1) | instskip(SKIP_1) | instid1(VALU_DEP_2)
	v_cndmask_b32_e32 v3, 0, v3, vcc_lo
	v_cmp_eq_u32_e32 vcc_lo, 0, v2
	v_cndmask_b32_e64 v3, v3, 0x78, vcc_lo
	s_delay_alu instid0(VALU_DEP_1) | instskip(NEXT) | instid1(VALU_DEP_1)
	v_dual_cndmask_b32 v8, v8, v1 :: v_dual_add_nc_u32 v5, 20, v3
	v_lshrrev_b64 v[14:15], v3, v[8:9]
	s_delay_alu instid0(VALU_DEP_2) | instskip(SKIP_1) | instid1(VALU_DEP_1)
	v_lshlrev_b64_e64 v[6:7], v5, -1
	v_add_nc_u32_e32 v5, 19, v3
	v_lshlrev_b64_e64 v[16:17], v5, 1
	s_delay_alu instid0(VALU_DEP_3) | instskip(NEXT) | instid1(VALU_DEP_4)
	v_bfi_b32 v7, v7, 0, 0
	v_bfi_b32 v6, v6, 0, v8
	s_delay_alu instid0(VALU_DEP_1)
	v_cmp_eq_u64_e64 s7, v[6:7], v[16:17]
	v_mov_b64_e32 v[16:17], v[14:15]
	s_and_saveexec_b32 s43, s7
; %bb.6913:                             ;   in Loop: Header=BB6_6801 Depth=2
	v_bfe_u32 v6, v14, 20, 1
	v_mov_b32_e32 v7, v53
	s_delay_alu instid0(VALU_DEP_1) | instskip(NEXT) | instid1(VALU_DEP_1)
	v_add_nc_u64_e32 v[6:7], v[14:15], v[6:7]
	v_add_nc_u64_e32 v[16:17], -1, v[6:7]
; %bb.6914:                             ;   in Loop: Header=BB6_6801 Depth=2
	s_or_b32 exec_lo, exec_lo, s43
	v_add_nc_u32_e32 v1, 0xffffff81, v2
	v_lshrrev_b32_e32 v2, 23, v14
	s_mov_b32 s7, exec_lo
	v_mov_b32_e32 v15, v53
	s_delay_alu instid0(VALU_DEP_3) | instskip(NEXT) | instid1(VALU_DEP_1)
	v_cndmask_b32_e64 v1, v1, 0xffffff82, vcc_lo
	v_add3_u32 v2, v3, v1, v2
	v_and_b32_e32 v1, 0xfffff, v16
	s_delay_alu instid0(VALU_DEP_2) | instskip(NEXT) | instid1(VALU_DEP_2)
	v_add_nc_u32_e32 v3, 6, v2
	v_add_nc_u32_e32 v14, v1, v14
                                        ; implicit-def: $vgpr1
	s_delay_alu instid0(VALU_DEP_2)
	v_cmpx_ne_u32_e32 0, v3
	s_xor_b32 s7, exec_lo, s7
; %bb.6915:                             ;   in Loop: Header=BB6_6801 Depth=2
	s_delay_alu instid0(VALU_DEP_2) | instskip(SKIP_2) | instid1(VALU_DEP_2)
	v_cmp_lt_u64_e32 vcc_lo, 0xffffff, v[14:15]
	v_add_nc_u32_e32 v1, 7, v2
	v_cndmask_b32_e64 v2, 0, 1, vcc_lo
	v_cndmask_b32_e32 v1, v3, v1, vcc_lo
	s_delay_alu instid0(VALU_DEP_2)
	v_lshrrev_b64 v[14:15], v2, v[14:15]
; %bb.6916:                             ;   in Loop: Header=BB6_6801 Depth=2
	s_and_not1_saveexec_b32 s7, s7
; %bb.6917:                             ;   in Loop: Header=BB6_6801 Depth=2
	s_delay_alu instid0(VALU_DEP_1)
	v_bfe_u32 v1, v14, 23, 1
; %bb.6918:                             ;   in Loop: Header=BB6_6801 Depth=2
	s_or_b32 exec_lo, exec_lo, s7
	s_delay_alu instid0(VALU_DEP_2) | instskip(NEXT) | instid1(VALU_DEP_2)
	v_lshrrev_b64 v[2:3], 20, v[14:15]
	v_cmp_gt_i32_e32 vcc_lo, 16, v1
	v_min_i32_e32 v5, 15, v1
	v_cmp_eq_u32_e64 s7, 0, v1
	s_delay_alu instid0(VALU_DEP_2) | instskip(SKIP_1) | instid1(VALU_DEP_2)
	v_dual_cndmask_b32 v3, 0, v3, vcc_lo :: v_dual_lshlrev_b32 v5, 3, v5
	v_cndmask_b32_e32 v2, 7, v2, vcc_lo
	v_and_b32_e32 v5, 0xf8, v5
	s_delay_alu instid0(VALU_DEP_2) | instskip(NEXT) | instid1(VALU_DEP_2)
	v_cmp_eq_u64_e32 vcc_lo, 0, v[2:3]
	v_and_or_b32 v1, v2, 7, v5
	s_and_b32 s7, s7, vcc_lo
	s_delay_alu instid0(VALU_DEP_1) | instid1(SALU_CYCLE_1)
	v_cndmask_b32_e64 v1, v1, 0, s7
	s_delay_alu instid0(VALU_DEP_1)
	v_or_b32_e32 v65, v1, v0
.LBB6_6919:                             ;   in Loop: Header=BB6_6801 Depth=2
	s_or_b32 exec_lo, exec_lo, s42
                                        ; implicit-def: $vgpr0
.LBB6_6920:                             ;   in Loop: Header=BB6_6801 Depth=2
	s_and_not1_saveexec_b32 s7, s41
; %bb.6921:                             ;   in Loop: Header=BB6_6801 Depth=2
	v_or_b32_e32 v65, 0x7e, v0
; %bb.6922:                             ;   in Loop: Header=BB6_6801 Depth=2
	s_or_b32 exec_lo, exec_lo, s7
                                        ; implicit-def: $vgpr0
.LBB6_6923:                             ;   in Loop: Header=BB6_6801 Depth=2
	s_and_not1_saveexec_b32 s7, s40
; %bb.6924:                             ;   in Loop: Header=BB6_6801 Depth=2
	v_or_b32_e32 v65, 0x7f, v0
; %bb.6925:                             ;   in Loop: Header=BB6_6801 Depth=2
	s_or_b32 exec_lo, exec_lo, s7
	v_lshrrev_b16 v1, 8, v52
	v_mov_b32_e32 v0, 0
	s_mov_b32 s7, exec_lo
	s_delay_alu instid0(VALU_DEP_2)
	v_cmpx_ne_u16_e32 0, v1
	s_cbranch_execz .LBB6_6933
; %bb.6926:                             ;   in Loop: Header=BB6_6801 Depth=2
	v_bfrev_b32_e32 v0, 1
	s_mov_b32 s40, exec_lo
	v_cmpx_ne_u16_e32 0x80, v1
	s_cbranch_execz .LBB6_6932
; %bb.6927:                             ;   in Loop: Header=BB6_6801 Depth=2
	v_and_b32_e32 v2, 0xffff, v1
	v_mov_b32_e32 v0, 0x7f800001
	s_mov_b32 s41, exec_lo
	s_delay_alu instid0(VALU_DEP_2) | instskip(NEXT) | instid1(VALU_DEP_1)
	v_and_b32_e32 v1, 0x7f, v2
	v_cmpx_ne_u32_e32 0x7f, v1
	s_cbranch_execz .LBB6_6931
; %bb.6928:                             ;   in Loop: Header=BB6_6801 Depth=2
	v_dual_mov_b32 v15, v53 :: v_dual_bitop2_b32 v14, 7, v2 bitop3:0x40
	v_lshrrev_b32_e32 v0, 3, v1
	s_mov_b32 s42, exec_lo
	v_cmpx_gt_u32_e32 8, v1
; %bb.6929:                             ;   in Loop: Header=BB6_6801 Depth=2
	s_delay_alu instid0(VALU_DEP_3) | instskip(NEXT) | instid1(VALU_DEP_1)
	v_clz_i32_u32_e32 v0, v14
	v_min_u32_e32 v0, 32, v0
	s_delay_alu instid0(VALU_DEP_1) | instskip(NEXT) | instid1(VALU_DEP_1)
	v_subrev_nc_u32_e32 v1, 28, v0
	v_lshlrev_b64_e32 v[2:3], v1, v[14:15]
	s_delay_alu instid0(VALU_DEP_1)
	v_dual_sub_nc_u32 v0, 29, v0 :: v_dual_bitop2_b32 v14, 7, v2 bitop3:0x40
; %bb.6930:                             ;   in Loop: Header=BB6_6801 Depth=2
	s_or_b32 exec_lo, exec_lo, s42
	s_delay_alu instid0(VALU_DEP_1) | instskip(NEXT) | instid1(VALU_DEP_2)
	v_dual_lshlrev_b32 v1, 16, v52 :: v_dual_lshlrev_b32 v2, 20, v14
	v_lshl_add_u32 v0, v0, 23, 0x3c000000
	s_delay_alu instid0(VALU_DEP_2) | instskip(NEXT) | instid1(VALU_DEP_1)
	v_and_b32_e32 v1, 0x80000000, v1
	v_or3_b32 v0, v2, v1, v0
.LBB6_6931:                             ;   in Loop: Header=BB6_6801 Depth=2
	s_or_b32 exec_lo, exec_lo, s41
.LBB6_6932:                             ;   in Loop: Header=BB6_6801 Depth=2
	s_delay_alu instid0(SALU_CYCLE_1)
	s_or_b32 exec_lo, exec_lo, s40
.LBB6_6933:                             ;   in Loop: Header=BB6_6801 Depth=2
	s_delay_alu instid0(SALU_CYCLE_1) | instskip(NEXT) | instid1(VALU_DEP_1)
	s_or_b32 exec_lo, exec_lo, s7
	v_mul_f32_e32 v1, s29, v0
                                        ; implicit-def: $vgpr72
	s_mov_b32 s7, exec_lo
	s_delay_alu instid0(VALU_DEP_1) | instskip(SKIP_1) | instid1(VALU_DEP_2)
	v_and_b32_e32 v52, 0x7f800000, v1
	v_lshrrev_b32_e32 v0, 24, v1
	v_cmpx_ne_u64_e32 0x7f800000, v[52:53]
	s_xor_b32 s40, exec_lo, s7
	s_cbranch_execz .LBB6_6947
; %bb.6934:                             ;   in Loop: Header=BB6_6801 Depth=2
	v_and_b32_e32 v52, 0x7fffffff, v1
	v_and_b32_e32 v0, 0x80, v0
                                        ; implicit-def: $vgpr72
	s_mov_b32 s7, exec_lo
	s_delay_alu instid0(VALU_DEP_2)
	v_cmpx_gt_u64_e32 0x43e00001, v[52:53]
	s_xor_b32 s41, exec_lo, s7
	s_cbranch_execz .LBB6_6944
; %bb.6935:                             ;   in Loop: Header=BB6_6801 Depth=2
	v_mov_b32_e32 v72, 0
	s_mov_b32 s42, exec_lo
	v_cmpx_ne_u32_e32 0, v1
	s_cbranch_execz .LBB6_6943
; %bb.6936:                             ;   in Loop: Header=BB6_6801 Depth=2
	v_bfe_u32 v2, v1, 23, 8
	v_and_b32_e32 v1, 0x7fffff, v1
	s_mov_b32 s43, exec_lo
	s_delay_alu instid0(VALU_DEP_2) | instskip(NEXT) | instid1(VALU_DEP_2)
	v_cmp_gt_u32_e32 vcc_lo, 0x7a, v2
	v_or_b32_e32 v8, 0x800000, v1
	v_sub_nc_u32_e32 v3, 0x79, v2
	s_delay_alu instid0(VALU_DEP_1) | instskip(SKIP_1) | instid1(VALU_DEP_2)
	v_cndmask_b32_e32 v3, 0, v3, vcc_lo
	v_cmp_eq_u32_e32 vcc_lo, 0, v2
	v_cndmask_b32_e64 v3, v3, 0x78, vcc_lo
	s_delay_alu instid0(VALU_DEP_1) | instskip(NEXT) | instid1(VALU_DEP_1)
	v_dual_cndmask_b32 v52, v8, v1 :: v_dual_add_nc_u32 v5, 20, v3
	v_lshrrev_b64 v[14:15], v3, v[52:53]
	s_delay_alu instid0(VALU_DEP_2) | instskip(SKIP_1) | instid1(VALU_DEP_3)
	v_lshlrev_b64_e64 v[6:7], v5, -1
	v_add_nc_u32_e32 v5, 19, v3
	v_mov_b64_e32 v[16:17], v[14:15]
	s_delay_alu instid0(VALU_DEP_2) | instskip(NEXT) | instid1(VALU_DEP_4)
	v_lshlrev_b64_e64 v[8:9], v5, 1
	v_bfi_b32 v7, v7, 0, 0
	v_bfi_b32 v6, v6, 0, v52
	s_delay_alu instid0(VALU_DEP_1)
	v_cmpx_eq_u64_e64 v[6:7], v[8:9]
; %bb.6937:                             ;   in Loop: Header=BB6_6801 Depth=2
	v_bfe_u32 v52, v14, 20, 1
	s_delay_alu instid0(VALU_DEP_1) | instskip(NEXT) | instid1(VALU_DEP_1)
	v_add_nc_u64_e32 v[6:7], v[14:15], v[52:53]
	v_add_nc_u64_e32 v[16:17], -1, v[6:7]
; %bb.6938:                             ;   in Loop: Header=BB6_6801 Depth=2
	s_or_b32 exec_lo, exec_lo, s43
	v_add_nc_u32_e32 v1, 0xffffff81, v2
	v_lshrrev_b32_e32 v2, 23, v14
	s_mov_b32 s7, exec_lo
	s_delay_alu instid0(VALU_DEP_2) | instskip(NEXT) | instid1(VALU_DEP_1)
	v_cndmask_b32_e64 v1, v1, 0xffffff82, vcc_lo
	v_add3_u32 v2, v3, v1, v2
	v_and_b32_e32 v1, 0xfffff, v16
	s_delay_alu instid0(VALU_DEP_2) | instskip(NEXT) | instid1(VALU_DEP_2)
	v_add_nc_u32_e32 v3, 6, v2
	v_add_nc_u32_e32 v52, v1, v14
                                        ; implicit-def: $vgpr14_vgpr15
                                        ; implicit-def: $vgpr1
	s_delay_alu instid0(VALU_DEP_2)
	v_cmpx_ne_u32_e32 0, v3
	s_xor_b32 s7, exec_lo, s7
; %bb.6939:                             ;   in Loop: Header=BB6_6801 Depth=2
	s_delay_alu instid0(VALU_DEP_2) | instskip(SKIP_2) | instid1(VALU_DEP_2)
	v_cmp_lt_u64_e32 vcc_lo, 0xffffff, v[52:53]
	v_add_nc_u32_e32 v1, 7, v2
	v_cndmask_b32_e64 v2, 0, 1, vcc_lo
	v_cndmask_b32_e32 v1, v3, v1, vcc_lo
	s_delay_alu instid0(VALU_DEP_2)
	v_lshrrev_b64 v[14:15], v2, v[52:53]
; %bb.6940:                             ;   in Loop: Header=BB6_6801 Depth=2
	s_and_not1_saveexec_b32 s7, s7
; %bb.6941:                             ;   in Loop: Header=BB6_6801 Depth=2
	v_mov_b64_e32 v[14:15], v[52:53]
	v_bfe_u32 v1, v52, 23, 1
; %bb.6942:                             ;   in Loop: Header=BB6_6801 Depth=2
	s_or_b32 exec_lo, exec_lo, s7
	s_delay_alu instid0(VALU_DEP_2) | instskip(NEXT) | instid1(VALU_DEP_2)
	v_lshrrev_b64 v[2:3], 20, v[14:15]
	v_cmp_gt_i32_e32 vcc_lo, 16, v1
	v_min_i32_e32 v5, 15, v1
	v_cmp_eq_u32_e64 s7, 0, v1
	s_delay_alu instid0(VALU_DEP_2) | instskip(SKIP_1) | instid1(VALU_DEP_2)
	v_dual_cndmask_b32 v3, 0, v3, vcc_lo :: v_dual_lshlrev_b32 v5, 3, v5
	v_cndmask_b32_e32 v2, 7, v2, vcc_lo
	v_and_b32_e32 v5, 0xf8, v5
	s_delay_alu instid0(VALU_DEP_2) | instskip(NEXT) | instid1(VALU_DEP_2)
	v_cmp_eq_u64_e32 vcc_lo, 0, v[2:3]
	v_and_or_b32 v1, v2, 7, v5
	s_and_b32 s7, s7, vcc_lo
	s_delay_alu instid0(VALU_DEP_1) | instid1(SALU_CYCLE_1)
	v_cndmask_b32_e64 v1, v1, 0, s7
	s_delay_alu instid0(VALU_DEP_1)
	v_or_b32_e32 v72, v1, v0
.LBB6_6943:                             ;   in Loop: Header=BB6_6801 Depth=2
	s_or_b32 exec_lo, exec_lo, s42
                                        ; implicit-def: $vgpr0
.LBB6_6944:                             ;   in Loop: Header=BB6_6801 Depth=2
	s_and_not1_saveexec_b32 s7, s41
; %bb.6945:                             ;   in Loop: Header=BB6_6801 Depth=2
	v_or_b32_e32 v72, 0x7e, v0
; %bb.6946:                             ;   in Loop: Header=BB6_6801 Depth=2
	s_or_b32 exec_lo, exec_lo, s7
                                        ; implicit-def: $vgpr0
.LBB6_6947:                             ;   in Loop: Header=BB6_6801 Depth=2
	s_and_not1_saveexec_b32 s7, s40
; %bb.6948:                             ;   in Loop: Header=BB6_6801 Depth=2
	v_or_b32_e32 v72, 0x7f, v0
; %bb.6949:                             ;   in Loop: Header=BB6_6801 Depth=2
	s_or_b32 exec_lo, exec_lo, s7
	v_dual_mov_b32 v1, 0 :: v_dual_lshrrev_b32 v0, 16, v11
	s_mov_b32 s7, exec_lo
	s_delay_alu instid0(VALU_DEP_1) | instskip(NEXT) | instid1(VALU_DEP_1)
	v_and_b32_e32 v2, 0xff, v0
	v_cmpx_ne_u16_e32 0, v2
	s_cbranch_execz .LBB6_6957
; %bb.6950:                             ;   in Loop: Header=BB6_6801 Depth=2
	v_bfrev_b32_e32 v1, 1
	s_mov_b32 s40, exec_lo
	v_cmpx_ne_u16_e32 0x80, v2
	s_cbranch_execz .LBB6_6956
; %bb.6951:                             ;   in Loop: Header=BB6_6801 Depth=2
	v_bfe_u32 v2, v11, 16, 7
	v_mov_b32_e32 v1, 0x7f800001
	s_mov_b32 s41, exec_lo
	s_delay_alu instid0(VALU_DEP_2)
	v_cmpx_ne_u32_e32 0x7f, v2
	s_cbranch_execz .LBB6_6955
; %bb.6952:                             ;   in Loop: Header=BB6_6801 Depth=2
	v_dual_lshrrev_b32 v1, 3, v2 :: v_dual_bitop2_b32 v52, 7, v0 bitop3:0x40
	s_mov_b32 s42, exec_lo
	v_cmpx_gt_u32_e32 8, v2
; %bb.6953:                             ;   in Loop: Header=BB6_6801 Depth=2
	s_delay_alu instid0(VALU_DEP_2) | instskip(NEXT) | instid1(VALU_DEP_1)
	v_clz_i32_u32_e32 v1, v52
	v_min_u32_e32 v1, 32, v1
	s_delay_alu instid0(VALU_DEP_1) | instskip(NEXT) | instid1(VALU_DEP_1)
	v_subrev_nc_u32_e32 v2, 28, v1
	v_lshlrev_b64_e32 v[2:3], v2, v[52:53]
	s_delay_alu instid0(VALU_DEP_1)
	v_dual_sub_nc_u32 v1, 29, v1 :: v_dual_bitop2_b32 v52, 7, v2 bitop3:0x40
; %bb.6954:                             ;   in Loop: Header=BB6_6801 Depth=2
	s_or_b32 exec_lo, exec_lo, s42
	v_lshlrev_b32_e32 v0, 24, v0
	s_delay_alu instid0(VALU_DEP_2) | instskip(NEXT) | instid1(VALU_DEP_3)
	v_lshlrev_b32_e32 v2, 20, v52
	v_lshl_add_u32 v1, v1, 23, 0x3c000000
	s_delay_alu instid0(VALU_DEP_3) | instskip(NEXT) | instid1(VALU_DEP_1)
	v_and_b32_e32 v0, 0x80000000, v0
	v_or3_b32 v1, v2, v0, v1
.LBB6_6955:                             ;   in Loop: Header=BB6_6801 Depth=2
	s_or_b32 exec_lo, exec_lo, s41
.LBB6_6956:                             ;   in Loop: Header=BB6_6801 Depth=2
	s_delay_alu instid0(SALU_CYCLE_1)
	s_or_b32 exec_lo, exec_lo, s40
.LBB6_6957:                             ;   in Loop: Header=BB6_6801 Depth=2
	s_delay_alu instid0(SALU_CYCLE_1) | instskip(NEXT) | instid1(VALU_DEP_1)
	s_or_b32 exec_lo, exec_lo, s7
	v_mul_f32_e32 v1, s29, v1
                                        ; implicit-def: $vgpr77
	s_mov_b32 s7, exec_lo
	s_delay_alu instid0(VALU_DEP_1) | instskip(SKIP_1) | instid1(VALU_DEP_2)
	v_and_b32_e32 v52, 0x7f800000, v1
	v_lshrrev_b32_e32 v0, 24, v1
	v_cmpx_ne_u64_e32 0x7f800000, v[52:53]
	s_xor_b32 s40, exec_lo, s7
	s_cbranch_execz .LBB6_6971
; %bb.6958:                             ;   in Loop: Header=BB6_6801 Depth=2
	v_and_b32_e32 v52, 0x7fffffff, v1
	v_and_b32_e32 v0, 0x80, v0
                                        ; implicit-def: $vgpr77
	s_mov_b32 s7, exec_lo
	s_delay_alu instid0(VALU_DEP_2)
	v_cmpx_gt_u64_e32 0x43e00001, v[52:53]
	s_xor_b32 s41, exec_lo, s7
	s_cbranch_execz .LBB6_6968
; %bb.6959:                             ;   in Loop: Header=BB6_6801 Depth=2
	v_mov_b32_e32 v77, 0
	s_mov_b32 s42, exec_lo
	v_cmpx_ne_u32_e32 0, v1
	s_cbranch_execz .LBB6_6967
; %bb.6960:                             ;   in Loop: Header=BB6_6801 Depth=2
	v_bfe_u32 v2, v1, 23, 8
	v_and_b32_e32 v1, 0x7fffff, v1
	s_mov_b32 s43, exec_lo
	s_delay_alu instid0(VALU_DEP_2) | instskip(NEXT) | instid1(VALU_DEP_2)
	v_cmp_gt_u32_e32 vcc_lo, 0x7a, v2
	v_or_b32_e32 v8, 0x800000, v1
	v_sub_nc_u32_e32 v3, 0x79, v2
	s_delay_alu instid0(VALU_DEP_1) | instskip(SKIP_1) | instid1(VALU_DEP_2)
	v_cndmask_b32_e32 v3, 0, v3, vcc_lo
	v_cmp_eq_u32_e32 vcc_lo, 0, v2
	v_cndmask_b32_e64 v3, v3, 0x78, vcc_lo
	s_delay_alu instid0(VALU_DEP_1) | instskip(NEXT) | instid1(VALU_DEP_1)
	v_dual_cndmask_b32 v52, v8, v1 :: v_dual_add_nc_u32 v5, 20, v3
	v_lshrrev_b64 v[14:15], v3, v[52:53]
	s_delay_alu instid0(VALU_DEP_2) | instskip(SKIP_1) | instid1(VALU_DEP_3)
	v_lshlrev_b64_e64 v[6:7], v5, -1
	v_add_nc_u32_e32 v5, 19, v3
	v_mov_b64_e32 v[16:17], v[14:15]
	s_delay_alu instid0(VALU_DEP_2) | instskip(NEXT) | instid1(VALU_DEP_4)
	v_lshlrev_b64_e64 v[8:9], v5, 1
	v_bfi_b32 v7, v7, 0, 0
	v_bfi_b32 v6, v6, 0, v52
	s_delay_alu instid0(VALU_DEP_1)
	v_cmpx_eq_u64_e64 v[6:7], v[8:9]
; %bb.6961:                             ;   in Loop: Header=BB6_6801 Depth=2
	v_bfe_u32 v52, v14, 20, 1
	s_delay_alu instid0(VALU_DEP_1) | instskip(NEXT) | instid1(VALU_DEP_1)
	v_add_nc_u64_e32 v[6:7], v[14:15], v[52:53]
	v_add_nc_u64_e32 v[16:17], -1, v[6:7]
; %bb.6962:                             ;   in Loop: Header=BB6_6801 Depth=2
	s_or_b32 exec_lo, exec_lo, s43
	v_add_nc_u32_e32 v1, 0xffffff81, v2
	v_lshrrev_b32_e32 v2, 23, v14
	s_mov_b32 s7, exec_lo
	s_delay_alu instid0(VALU_DEP_2) | instskip(NEXT) | instid1(VALU_DEP_1)
	v_cndmask_b32_e64 v1, v1, 0xffffff82, vcc_lo
	v_add3_u32 v2, v3, v1, v2
	v_and_b32_e32 v1, 0xfffff, v16
	s_delay_alu instid0(VALU_DEP_2) | instskip(NEXT) | instid1(VALU_DEP_2)
	v_add_nc_u32_e32 v3, 6, v2
	v_add_nc_u32_e32 v52, v1, v14
                                        ; implicit-def: $vgpr14_vgpr15
                                        ; implicit-def: $vgpr1
	s_delay_alu instid0(VALU_DEP_2)
	v_cmpx_ne_u32_e32 0, v3
	s_xor_b32 s7, exec_lo, s7
; %bb.6963:                             ;   in Loop: Header=BB6_6801 Depth=2
	s_delay_alu instid0(VALU_DEP_2) | instskip(SKIP_2) | instid1(VALU_DEP_2)
	v_cmp_lt_u64_e32 vcc_lo, 0xffffff, v[52:53]
	v_add_nc_u32_e32 v1, 7, v2
	v_cndmask_b32_e64 v2, 0, 1, vcc_lo
	v_cndmask_b32_e32 v1, v3, v1, vcc_lo
	s_delay_alu instid0(VALU_DEP_2)
	v_lshrrev_b64 v[14:15], v2, v[52:53]
; %bb.6964:                             ;   in Loop: Header=BB6_6801 Depth=2
	s_and_not1_saveexec_b32 s7, s7
; %bb.6965:                             ;   in Loop: Header=BB6_6801 Depth=2
	v_mov_b64_e32 v[14:15], v[52:53]
	v_bfe_u32 v1, v52, 23, 1
; %bb.6966:                             ;   in Loop: Header=BB6_6801 Depth=2
	s_or_b32 exec_lo, exec_lo, s7
	s_delay_alu instid0(VALU_DEP_2) | instskip(NEXT) | instid1(VALU_DEP_2)
	v_lshrrev_b64 v[2:3], 20, v[14:15]
	v_cmp_gt_i32_e32 vcc_lo, 16, v1
	v_min_i32_e32 v5, 15, v1
	v_cmp_eq_u32_e64 s7, 0, v1
	s_delay_alu instid0(VALU_DEP_2) | instskip(SKIP_1) | instid1(VALU_DEP_2)
	v_dual_cndmask_b32 v3, 0, v3, vcc_lo :: v_dual_lshlrev_b32 v5, 3, v5
	v_cndmask_b32_e32 v2, 7, v2, vcc_lo
	v_and_b32_e32 v5, 0xf8, v5
	s_delay_alu instid0(VALU_DEP_2) | instskip(NEXT) | instid1(VALU_DEP_2)
	v_cmp_eq_u64_e32 vcc_lo, 0, v[2:3]
	v_and_or_b32 v1, v2, 7, v5
	s_and_b32 s7, s7, vcc_lo
	s_delay_alu instid0(VALU_DEP_1) | instid1(SALU_CYCLE_1)
	v_cndmask_b32_e64 v1, v1, 0, s7
	s_delay_alu instid0(VALU_DEP_1)
	v_or_b32_e32 v77, v1, v0
.LBB6_6967:                             ;   in Loop: Header=BB6_6801 Depth=2
	s_or_b32 exec_lo, exec_lo, s42
                                        ; implicit-def: $vgpr0
.LBB6_6968:                             ;   in Loop: Header=BB6_6801 Depth=2
	s_and_not1_saveexec_b32 s7, s41
; %bb.6969:                             ;   in Loop: Header=BB6_6801 Depth=2
	v_or_b32_e32 v77, 0x7e, v0
; %bb.6970:                             ;   in Loop: Header=BB6_6801 Depth=2
	s_or_b32 exec_lo, exec_lo, s7
                                        ; implicit-def: $vgpr0
.LBB6_6971:                             ;   in Loop: Header=BB6_6801 Depth=2
	s_and_not1_saveexec_b32 s7, s40
; %bb.6972:                             ;   in Loop: Header=BB6_6801 Depth=2
	v_or_b32_e32 v77, 0x7f, v0
; %bb.6973:                             ;   in Loop: Header=BB6_6801 Depth=2
	s_or_b32 exec_lo, exec_lo, s7
	v_mov_b32_e32 v1, 0
	s_mov_b32 s7, exec_lo
	v_cmpx_lt_u64_e64 s[12:13], v[10:11]
	s_cbranch_execz .LBB6_6981
; %bb.6974:                             ;   in Loop: Header=BB6_6801 Depth=2
	v_lshrrev_b32_e32 v0, 24, v11
	v_bfrev_b32_e32 v1, 1
	s_mov_b32 s40, exec_lo
	s_delay_alu instid0(VALU_DEP_2)
	v_cmpx_ne_u32_e32 0x80, v0
	s_cbranch_execz .LBB6_6980
; %bb.6975:                             ;   in Loop: Header=BB6_6801 Depth=2
	v_bfe_u32 v2, v11, 24, 7
	v_mov_b32_e32 v1, 0x7f800001
	s_mov_b32 s41, exec_lo
	s_delay_alu instid0(VALU_DEP_2)
	v_cmpx_ne_u32_e32 0x7f, v2
	s_cbranch_execz .LBB6_6979
; %bb.6976:                             ;   in Loop: Header=BB6_6801 Depth=2
	v_dual_lshrrev_b32 v1, 3, v2 :: v_dual_bitop2_b32 v52, 7, v0 bitop3:0x40
	s_mov_b32 s42, exec_lo
	v_cmpx_gt_u32_e32 8, v2
; %bb.6977:                             ;   in Loop: Header=BB6_6801 Depth=2
	s_delay_alu instid0(VALU_DEP_2) | instskip(NEXT) | instid1(VALU_DEP_1)
	v_clz_i32_u32_e32 v1, v52
	v_min_u32_e32 v1, 32, v1
	s_delay_alu instid0(VALU_DEP_1) | instskip(NEXT) | instid1(VALU_DEP_1)
	v_subrev_nc_u32_e32 v2, 28, v1
	v_lshlrev_b64_e32 v[2:3], v2, v[52:53]
	s_delay_alu instid0(VALU_DEP_1)
	v_dual_sub_nc_u32 v1, 29, v1 :: v_dual_bitop2_b32 v52, 7, v2 bitop3:0x40
; %bb.6978:                             ;   in Loop: Header=BB6_6801 Depth=2
	s_or_b32 exec_lo, exec_lo, s42
	v_lshlrev_b32_e32 v0, 24, v0
	s_delay_alu instid0(VALU_DEP_2) | instskip(NEXT) | instid1(VALU_DEP_3)
	v_lshlrev_b32_e32 v2, 20, v52
	v_lshl_add_u32 v1, v1, 23, 0x3c000000
	s_delay_alu instid0(VALU_DEP_3) | instskip(NEXT) | instid1(VALU_DEP_1)
	v_and_b32_e32 v0, 0x80000000, v0
	v_or3_b32 v1, v2, v0, v1
.LBB6_6979:                             ;   in Loop: Header=BB6_6801 Depth=2
	s_or_b32 exec_lo, exec_lo, s41
.LBB6_6980:                             ;   in Loop: Header=BB6_6801 Depth=2
	s_delay_alu instid0(SALU_CYCLE_1)
	s_or_b32 exec_lo, exec_lo, s40
.LBB6_6981:                             ;   in Loop: Header=BB6_6801 Depth=2
	s_delay_alu instid0(SALU_CYCLE_1) | instskip(NEXT) | instid1(VALU_DEP_1)
	s_or_b32 exec_lo, exec_lo, s7
	v_mul_f32_e32 v1, s29, v1
                                        ; implicit-def: $vgpr51
	s_mov_b32 s7, exec_lo
	s_delay_alu instid0(VALU_DEP_1) | instskip(SKIP_1) | instid1(VALU_DEP_2)
	v_and_b32_e32 v52, 0x7f800000, v1
	v_lshrrev_b32_e32 v0, 24, v1
	v_cmpx_ne_u64_e32 0x7f800000, v[52:53]
	s_xor_b32 s40, exec_lo, s7
	s_cbranch_execz .LBB6_6995
; %bb.6982:                             ;   in Loop: Header=BB6_6801 Depth=2
	v_and_b32_e32 v52, 0x7fffffff, v1
	v_and_b32_e32 v0, 0x80, v0
                                        ; implicit-def: $vgpr51
	s_mov_b32 s7, exec_lo
	s_delay_alu instid0(VALU_DEP_2)
	v_cmpx_gt_u64_e32 0x43e00001, v[52:53]
	s_xor_b32 s41, exec_lo, s7
	s_cbranch_execz .LBB6_6992
; %bb.6983:                             ;   in Loop: Header=BB6_6801 Depth=2
	v_mov_b32_e32 v51, 0
	s_mov_b32 s42, exec_lo
	v_cmpx_ne_u32_e32 0, v1
	s_cbranch_execz .LBB6_6991
; %bb.6984:                             ;   in Loop: Header=BB6_6801 Depth=2
	v_bfe_u32 v2, v1, 23, 8
	v_and_b32_e32 v1, 0x7fffff, v1
	s_mov_b32 s43, exec_lo
	s_delay_alu instid0(VALU_DEP_2) | instskip(NEXT) | instid1(VALU_DEP_2)
	v_cmp_gt_u32_e32 vcc_lo, 0x7a, v2
	v_or_b32_e32 v8, 0x800000, v1
	v_sub_nc_u32_e32 v3, 0x79, v2
	s_delay_alu instid0(VALU_DEP_1) | instskip(SKIP_1) | instid1(VALU_DEP_2)
	v_cndmask_b32_e32 v3, 0, v3, vcc_lo
	v_cmp_eq_u32_e32 vcc_lo, 0, v2
	v_cndmask_b32_e64 v3, v3, 0x78, vcc_lo
	s_delay_alu instid0(VALU_DEP_1) | instskip(NEXT) | instid1(VALU_DEP_1)
	v_dual_cndmask_b32 v52, v8, v1 :: v_dual_add_nc_u32 v5, 20, v3
	v_lshrrev_b64 v[10:11], v3, v[52:53]
	s_delay_alu instid0(VALU_DEP_2) | instskip(SKIP_1) | instid1(VALU_DEP_3)
	v_lshlrev_b64_e64 v[6:7], v5, -1
	v_add_nc_u32_e32 v5, 19, v3
	v_mov_b64_e32 v[14:15], v[10:11]
	s_delay_alu instid0(VALU_DEP_2) | instskip(NEXT) | instid1(VALU_DEP_4)
	v_lshlrev_b64_e64 v[8:9], v5, 1
	v_bfi_b32 v7, v7, 0, 0
	v_bfi_b32 v6, v6, 0, v52
	s_delay_alu instid0(VALU_DEP_1)
	v_cmpx_eq_u64_e64 v[6:7], v[8:9]
; %bb.6985:                             ;   in Loop: Header=BB6_6801 Depth=2
	v_bfe_u32 v52, v10, 20, 1
	s_delay_alu instid0(VALU_DEP_1) | instskip(NEXT) | instid1(VALU_DEP_1)
	v_add_nc_u64_e32 v[6:7], v[10:11], v[52:53]
	v_add_nc_u64_e32 v[14:15], -1, v[6:7]
; %bb.6986:                             ;   in Loop: Header=BB6_6801 Depth=2
	s_or_b32 exec_lo, exec_lo, s43
	v_add_nc_u32_e32 v1, 0xffffff81, v2
	v_lshrrev_b32_e32 v2, 23, v10
	s_mov_b32 s7, exec_lo
	s_delay_alu instid0(VALU_DEP_2) | instskip(NEXT) | instid1(VALU_DEP_1)
	v_cndmask_b32_e64 v1, v1, 0xffffff82, vcc_lo
	v_add3_u32 v2, v3, v1, v2
	v_and_b32_e32 v1, 0xfffff, v14
	s_delay_alu instid0(VALU_DEP_2) | instskip(NEXT) | instid1(VALU_DEP_2)
	v_add_nc_u32_e32 v3, 6, v2
	v_add_nc_u32_e32 v52, v1, v10
                                        ; implicit-def: $vgpr10_vgpr11
                                        ; implicit-def: $vgpr1
	s_delay_alu instid0(VALU_DEP_2)
	v_cmpx_ne_u32_e32 0, v3
	s_xor_b32 s7, exec_lo, s7
; %bb.6987:                             ;   in Loop: Header=BB6_6801 Depth=2
	s_delay_alu instid0(VALU_DEP_2) | instskip(SKIP_2) | instid1(VALU_DEP_2)
	v_cmp_lt_u64_e32 vcc_lo, 0xffffff, v[52:53]
	v_add_nc_u32_e32 v1, 7, v2
	v_cndmask_b32_e64 v2, 0, 1, vcc_lo
	v_cndmask_b32_e32 v1, v3, v1, vcc_lo
	s_delay_alu instid0(VALU_DEP_2)
	v_lshrrev_b64 v[10:11], v2, v[52:53]
; %bb.6988:                             ;   in Loop: Header=BB6_6801 Depth=2
	s_and_not1_saveexec_b32 s7, s7
; %bb.6989:                             ;   in Loop: Header=BB6_6801 Depth=2
	v_mov_b64_e32 v[10:11], v[52:53]
	v_bfe_u32 v1, v52, 23, 1
; %bb.6990:                             ;   in Loop: Header=BB6_6801 Depth=2
	s_or_b32 exec_lo, exec_lo, s7
	s_delay_alu instid0(VALU_DEP_2) | instskip(NEXT) | instid1(VALU_DEP_2)
	v_lshrrev_b64 v[2:3], 20, v[10:11]
	v_cmp_gt_i32_e32 vcc_lo, 16, v1
	v_min_i32_e32 v5, 15, v1
	v_cmp_eq_u32_e64 s7, 0, v1
	s_delay_alu instid0(VALU_DEP_2) | instskip(SKIP_1) | instid1(VALU_DEP_2)
	v_dual_cndmask_b32 v3, 0, v3, vcc_lo :: v_dual_lshlrev_b32 v5, 3, v5
	v_cndmask_b32_e32 v2, 7, v2, vcc_lo
	v_and_b32_e32 v5, 0xf8, v5
	s_delay_alu instid0(VALU_DEP_2) | instskip(NEXT) | instid1(VALU_DEP_2)
	v_cmp_eq_u64_e32 vcc_lo, 0, v[2:3]
	v_and_or_b32 v1, v2, 7, v5
	s_and_b32 s7, s7, vcc_lo
	s_delay_alu instid0(VALU_DEP_1) | instid1(SALU_CYCLE_1)
	v_cndmask_b32_e64 v1, v1, 0, s7
	s_delay_alu instid0(VALU_DEP_1)
	v_or_b32_e32 v51, v1, v0
.LBB6_6991:                             ;   in Loop: Header=BB6_6801 Depth=2
	s_or_b32 exec_lo, exec_lo, s42
                                        ; implicit-def: $vgpr0
.LBB6_6992:                             ;   in Loop: Header=BB6_6801 Depth=2
	s_and_not1_saveexec_b32 s7, s41
; %bb.6993:                             ;   in Loop: Header=BB6_6801 Depth=2
	v_or_b32_e32 v51, 0x7e, v0
; %bb.6994:                             ;   in Loop: Header=BB6_6801 Depth=2
	s_or_b32 exec_lo, exec_lo, s7
                                        ; implicit-def: $vgpr0
.LBB6_6995:                             ;   in Loop: Header=BB6_6801 Depth=2
	s_and_not1_saveexec_b32 s7, s40
; %bb.6996:                             ;   in Loop: Header=BB6_6801 Depth=2
	v_or_b32_e32 v51, 0x7f, v0
; %bb.6997:                             ;   in Loop: Header=BB6_6801 Depth=2
	s_or_b32 exec_lo, exec_lo, s7
	v_and_b32_e32 v1, 0xff, v12
	v_mov_b32_e32 v0, 0
	s_mov_b32 s7, exec_lo
	s_delay_alu instid0(VALU_DEP_2)
	v_cmpx_ne_u16_e32 0, v1
	s_cbranch_execz .LBB6_7003
; %bb.6998:                             ;   in Loop: Header=BB6_6801 Depth=2
	v_bfrev_b32_e32 v0, 1
	s_mov_b32 s40, exec_lo
	v_cmpx_ne_u16_e32 0x80, v1
	s_cbranch_execz .LBB6_7002
; %bb.6999:                             ;   in Loop: Header=BB6_6801 Depth=2
	v_and_b32_e32 v1, 0x7f, v12
	v_mov_b32_e32 v0, 0x7f800001
	s_mov_b32 s41, exec_lo
	s_delay_alu instid0(VALU_DEP_2)
	v_cmpx_ne_u32_e32 0x7f, v1
	s_cbranch_execz .LBB6_7001
; %bb.7000:                             ;   in Loop: Header=BB6_6801 Depth=2
	v_dual_lshrrev_b32 v2, 3, v1 :: v_dual_bitop2_b32 v0, 7, v12 bitop3:0x40
	v_cmp_gt_u32_e32 vcc_lo, 8, v1
	s_delay_alu instid0(VALU_DEP_2) | instskip(NEXT) | instid1(VALU_DEP_1)
	v_clz_i32_u32_e32 v0, v0
	v_min_u32_e32 v0, 32, v0
	s_delay_alu instid0(VALU_DEP_1) | instskip(SKIP_1) | instid1(VALU_DEP_1)
	v_subrev_nc_u32_e32 v3, 28, v0
	v_sub_nc_u32_e32 v0, 29, v0
	v_dual_cndmask_b32 v2, v2, v0, vcc_lo :: v_dual_cndmask_b32 v0, 0, v3, vcc_lo
	s_delay_alu instid0(VALU_DEP_1) | instskip(NEXT) | instid1(VALU_DEP_2)
	v_lshl_add_u32 v2, v2, 23, 0x3c000000
	v_lshlrev_b64_e32 v[0:1], v0, v[12:13]
	v_lshlrev_b32_e32 v1, 24, v12
	s_delay_alu instid0(VALU_DEP_1) | instskip(NEXT) | instid1(VALU_DEP_3)
	v_and_b32_e32 v1, 0x80000000, v1
	v_lshlrev_b32_e32 v0, 20, v0
	s_delay_alu instid0(VALU_DEP_1) | instskip(NEXT) | instid1(VALU_DEP_1)
	v_and_b32_e32 v0, 0x700000, v0
	v_or3_b32 v0, v0, v1, v2
.LBB6_7001:                             ;   in Loop: Header=BB6_6801 Depth=2
	s_or_b32 exec_lo, exec_lo, s41
.LBB6_7002:                             ;   in Loop: Header=BB6_6801 Depth=2
	s_delay_alu instid0(SALU_CYCLE_1)
	s_or_b32 exec_lo, exec_lo, s40
.LBB6_7003:                             ;   in Loop: Header=BB6_6801 Depth=2
	s_delay_alu instid0(SALU_CYCLE_1) | instskip(NEXT) | instid1(VALU_DEP_1)
	s_or_b32 exec_lo, exec_lo, s7
	v_mul_f32_e32 v1, s29, v0
                                        ; implicit-def: $vgpr91
	s_mov_b32 s7, exec_lo
	s_delay_alu instid0(VALU_DEP_1) | instskip(SKIP_1) | instid1(VALU_DEP_2)
	v_and_b32_e32 v52, 0x7f800000, v1
	v_lshrrev_b32_e32 v0, 24, v1
	v_cmpx_ne_u64_e32 0x7f800000, v[52:53]
	s_xor_b32 s40, exec_lo, s7
	s_cbranch_execz .LBB6_7017
; %bb.7004:                             ;   in Loop: Header=BB6_6801 Depth=2
	v_and_b32_e32 v52, 0x7fffffff, v1
	v_and_b32_e32 v0, 0x80, v0
                                        ; implicit-def: $vgpr91
	s_mov_b32 s7, exec_lo
	s_delay_alu instid0(VALU_DEP_2)
	v_cmpx_gt_u64_e32 0x43e00001, v[52:53]
	s_xor_b32 s41, exec_lo, s7
	s_cbranch_execz .LBB6_7014
; %bb.7005:                             ;   in Loop: Header=BB6_6801 Depth=2
	v_mov_b32_e32 v91, 0
	s_mov_b32 s42, exec_lo
	v_cmpx_ne_u32_e32 0, v1
	s_cbranch_execz .LBB6_7013
; %bb.7006:                             ;   in Loop: Header=BB6_6801 Depth=2
	v_bfe_u32 v2, v1, 23, 8
	v_and_b32_e32 v1, 0x7fffff, v1
	s_mov_b32 s43, exec_lo
	s_delay_alu instid0(VALU_DEP_2) | instskip(NEXT) | instid1(VALU_DEP_2)
	v_cmp_gt_u32_e32 vcc_lo, 0x7a, v2
	v_or_b32_e32 v8, 0x800000, v1
	v_sub_nc_u32_e32 v3, 0x79, v2
	s_delay_alu instid0(VALU_DEP_1) | instskip(SKIP_1) | instid1(VALU_DEP_2)
	v_cndmask_b32_e32 v3, 0, v3, vcc_lo
	v_cmp_eq_u32_e32 vcc_lo, 0, v2
	v_cndmask_b32_e64 v3, v3, 0x78, vcc_lo
	s_delay_alu instid0(VALU_DEP_1) | instskip(NEXT) | instid1(VALU_DEP_1)
	v_dual_cndmask_b32 v52, v8, v1 :: v_dual_add_nc_u32 v5, 20, v3
	v_lshrrev_b64 v[10:11], v3, v[52:53]
	s_delay_alu instid0(VALU_DEP_2) | instskip(SKIP_1) | instid1(VALU_DEP_3)
	v_lshlrev_b64_e64 v[6:7], v5, -1
	v_add_nc_u32_e32 v5, 19, v3
	v_mov_b64_e32 v[14:15], v[10:11]
	s_delay_alu instid0(VALU_DEP_2) | instskip(NEXT) | instid1(VALU_DEP_4)
	v_lshlrev_b64_e64 v[8:9], v5, 1
	v_bfi_b32 v7, v7, 0, 0
	v_bfi_b32 v6, v6, 0, v52
	s_delay_alu instid0(VALU_DEP_1)
	v_cmpx_eq_u64_e64 v[6:7], v[8:9]
; %bb.7007:                             ;   in Loop: Header=BB6_6801 Depth=2
	v_bfe_u32 v52, v10, 20, 1
	s_delay_alu instid0(VALU_DEP_1) | instskip(NEXT) | instid1(VALU_DEP_1)
	v_add_nc_u64_e32 v[6:7], v[10:11], v[52:53]
	v_add_nc_u64_e32 v[14:15], -1, v[6:7]
; %bb.7008:                             ;   in Loop: Header=BB6_6801 Depth=2
	s_or_b32 exec_lo, exec_lo, s43
	v_add_nc_u32_e32 v1, 0xffffff81, v2
	v_lshrrev_b32_e32 v2, 23, v10
	s_mov_b32 s7, exec_lo
	s_delay_alu instid0(VALU_DEP_2) | instskip(NEXT) | instid1(VALU_DEP_1)
	v_cndmask_b32_e64 v1, v1, 0xffffff82, vcc_lo
	v_add3_u32 v2, v3, v1, v2
	v_and_b32_e32 v1, 0xfffff, v14
	s_delay_alu instid0(VALU_DEP_2) | instskip(NEXT) | instid1(VALU_DEP_2)
	v_add_nc_u32_e32 v3, 6, v2
	v_add_nc_u32_e32 v52, v1, v10
                                        ; implicit-def: $vgpr10_vgpr11
                                        ; implicit-def: $vgpr1
	s_delay_alu instid0(VALU_DEP_2)
	v_cmpx_ne_u32_e32 0, v3
	s_xor_b32 s7, exec_lo, s7
; %bb.7009:                             ;   in Loop: Header=BB6_6801 Depth=2
	s_delay_alu instid0(VALU_DEP_2) | instskip(SKIP_2) | instid1(VALU_DEP_2)
	v_cmp_lt_u64_e32 vcc_lo, 0xffffff, v[52:53]
	v_add_nc_u32_e32 v1, 7, v2
	v_cndmask_b32_e64 v2, 0, 1, vcc_lo
	v_cndmask_b32_e32 v1, v3, v1, vcc_lo
	s_delay_alu instid0(VALU_DEP_2)
	v_lshrrev_b64 v[10:11], v2, v[52:53]
; %bb.7010:                             ;   in Loop: Header=BB6_6801 Depth=2
	s_and_not1_saveexec_b32 s7, s7
; %bb.7011:                             ;   in Loop: Header=BB6_6801 Depth=2
	v_mov_b64_e32 v[10:11], v[52:53]
	v_bfe_u32 v1, v52, 23, 1
; %bb.7012:                             ;   in Loop: Header=BB6_6801 Depth=2
	s_or_b32 exec_lo, exec_lo, s7
	s_delay_alu instid0(VALU_DEP_2) | instskip(NEXT) | instid1(VALU_DEP_2)
	v_lshrrev_b64 v[2:3], 20, v[10:11]
	v_cmp_gt_i32_e32 vcc_lo, 16, v1
	v_min_i32_e32 v5, 15, v1
	v_cmp_eq_u32_e64 s7, 0, v1
	s_delay_alu instid0(VALU_DEP_2) | instskip(SKIP_1) | instid1(VALU_DEP_2)
	v_dual_cndmask_b32 v3, 0, v3, vcc_lo :: v_dual_lshlrev_b32 v5, 3, v5
	v_cndmask_b32_e32 v2, 7, v2, vcc_lo
	v_and_b32_e32 v5, 0xf8, v5
	s_delay_alu instid0(VALU_DEP_2) | instskip(NEXT) | instid1(VALU_DEP_2)
	v_cmp_eq_u64_e32 vcc_lo, 0, v[2:3]
	v_and_or_b32 v1, v2, 7, v5
	s_and_b32 s7, s7, vcc_lo
	s_delay_alu instid0(VALU_DEP_1) | instid1(SALU_CYCLE_1)
	v_cndmask_b32_e64 v1, v1, 0, s7
	s_delay_alu instid0(VALU_DEP_1)
	v_or_b32_e32 v91, v1, v0
.LBB6_7013:                             ;   in Loop: Header=BB6_6801 Depth=2
	s_or_b32 exec_lo, exec_lo, s42
                                        ; implicit-def: $vgpr0
.LBB6_7014:                             ;   in Loop: Header=BB6_6801 Depth=2
	s_and_not1_saveexec_b32 s7, s41
; %bb.7015:                             ;   in Loop: Header=BB6_6801 Depth=2
	v_or_b32_e32 v91, 0x7e, v0
; %bb.7016:                             ;   in Loop: Header=BB6_6801 Depth=2
	s_or_b32 exec_lo, exec_lo, s7
                                        ; implicit-def: $vgpr0
.LBB6_7017:                             ;   in Loop: Header=BB6_6801 Depth=2
	s_and_not1_saveexec_b32 s7, s40
; %bb.7018:                             ;   in Loop: Header=BB6_6801 Depth=2
	v_or_b32_e32 v91, 0x7f, v0
; %bb.7019:                             ;   in Loop: Header=BB6_6801 Depth=2
	s_or_b32 exec_lo, exec_lo, s7
	v_lshrrev_b16 v1, 8, v12
	v_mov_b32_e32 v0, 0
	s_mov_b32 s7, exec_lo
	s_delay_alu instid0(VALU_DEP_2)
	v_cmpx_ne_u16_e32 0, v1
	s_cbranch_execz .LBB6_7027
; %bb.7020:                             ;   in Loop: Header=BB6_6801 Depth=2
	v_bfrev_b32_e32 v0, 1
	s_mov_b32 s40, exec_lo
	v_cmpx_ne_u16_e32 0x80, v1
	s_cbranch_execz .LBB6_7026
; %bb.7021:                             ;   in Loop: Header=BB6_6801 Depth=2
	v_and_b32_e32 v2, 0xffff, v1
	v_mov_b32_e32 v0, 0x7f800001
	s_mov_b32 s41, exec_lo
	s_delay_alu instid0(VALU_DEP_2) | instskip(NEXT) | instid1(VALU_DEP_1)
	v_and_b32_e32 v1, 0x7f, v2
	v_cmpx_ne_u32_e32 0x7f, v1
	s_cbranch_execz .LBB6_7025
; %bb.7022:                             ;   in Loop: Header=BB6_6801 Depth=2
	v_dual_lshrrev_b32 v0, 3, v1 :: v_dual_bitop2_b32 v52, 7, v2 bitop3:0x40
	s_mov_b32 s42, exec_lo
	v_cmpx_gt_u32_e32 8, v1
; %bb.7023:                             ;   in Loop: Header=BB6_6801 Depth=2
	s_delay_alu instid0(VALU_DEP_2) | instskip(NEXT) | instid1(VALU_DEP_1)
	v_clz_i32_u32_e32 v0, v52
	v_min_u32_e32 v0, 32, v0
	s_delay_alu instid0(VALU_DEP_1) | instskip(NEXT) | instid1(VALU_DEP_1)
	v_subrev_nc_u32_e32 v1, 28, v0
	v_lshlrev_b64_e32 v[2:3], v1, v[52:53]
	s_delay_alu instid0(VALU_DEP_1)
	v_dual_sub_nc_u32 v0, 29, v0 :: v_dual_bitop2_b32 v52, 7, v2 bitop3:0x40
; %bb.7024:                             ;   in Loop: Header=BB6_6801 Depth=2
	s_or_b32 exec_lo, exec_lo, s42
	v_lshlrev_b32_e32 v1, 16, v12
	s_delay_alu instid0(VALU_DEP_2) | instskip(NEXT) | instid1(VALU_DEP_3)
	v_lshlrev_b32_e32 v2, 20, v52
	v_lshl_add_u32 v0, v0, 23, 0x3c000000
	s_delay_alu instid0(VALU_DEP_3) | instskip(NEXT) | instid1(VALU_DEP_1)
	v_and_b32_e32 v1, 0x80000000, v1
	v_or3_b32 v0, v2, v1, v0
.LBB6_7025:                             ;   in Loop: Header=BB6_6801 Depth=2
	s_or_b32 exec_lo, exec_lo, s41
.LBB6_7026:                             ;   in Loop: Header=BB6_6801 Depth=2
	s_delay_alu instid0(SALU_CYCLE_1)
	s_or_b32 exec_lo, exec_lo, s40
.LBB6_7027:                             ;   in Loop: Header=BB6_6801 Depth=2
	s_delay_alu instid0(SALU_CYCLE_1) | instskip(NEXT) | instid1(VALU_DEP_1)
	s_or_b32 exec_lo, exec_lo, s7
	v_mul_f32_e32 v1, s29, v0
                                        ; implicit-def: $vgpr94
	s_mov_b32 s7, exec_lo
	s_delay_alu instid0(VALU_DEP_1) | instskip(SKIP_1) | instid1(VALU_DEP_2)
	v_and_b32_e32 v52, 0x7f800000, v1
	v_lshrrev_b32_e32 v0, 24, v1
	v_cmpx_ne_u64_e32 0x7f800000, v[52:53]
	s_xor_b32 s40, exec_lo, s7
	s_cbranch_execz .LBB6_7041
; %bb.7028:                             ;   in Loop: Header=BB6_6801 Depth=2
	v_and_b32_e32 v52, 0x7fffffff, v1
	v_and_b32_e32 v0, 0x80, v0
                                        ; implicit-def: $vgpr94
	s_mov_b32 s7, exec_lo
	s_delay_alu instid0(VALU_DEP_2)
	v_cmpx_gt_u64_e32 0x43e00001, v[52:53]
	s_xor_b32 s41, exec_lo, s7
	s_cbranch_execz .LBB6_7038
; %bb.7029:                             ;   in Loop: Header=BB6_6801 Depth=2
	v_mov_b32_e32 v94, 0
	s_mov_b32 s42, exec_lo
	v_cmpx_ne_u32_e32 0, v1
	s_cbranch_execz .LBB6_7037
; %bb.7030:                             ;   in Loop: Header=BB6_6801 Depth=2
	v_bfe_u32 v2, v1, 23, 8
	v_and_b32_e32 v1, 0x7fffff, v1
	s_mov_b32 s43, exec_lo
	s_delay_alu instid0(VALU_DEP_2) | instskip(NEXT) | instid1(VALU_DEP_2)
	v_cmp_gt_u32_e32 vcc_lo, 0x7a, v2
	v_or_b32_e32 v8, 0x800000, v1
	v_sub_nc_u32_e32 v3, 0x79, v2
	s_delay_alu instid0(VALU_DEP_1) | instskip(SKIP_1) | instid1(VALU_DEP_2)
	v_cndmask_b32_e32 v3, 0, v3, vcc_lo
	v_cmp_eq_u32_e32 vcc_lo, 0, v2
	v_cndmask_b32_e64 v3, v3, 0x78, vcc_lo
	s_delay_alu instid0(VALU_DEP_1) | instskip(NEXT) | instid1(VALU_DEP_1)
	v_dual_cndmask_b32 v52, v8, v1 :: v_dual_add_nc_u32 v5, 20, v3
	v_lshrrev_b64 v[10:11], v3, v[52:53]
	s_delay_alu instid0(VALU_DEP_2) | instskip(SKIP_1) | instid1(VALU_DEP_3)
	v_lshlrev_b64_e64 v[6:7], v5, -1
	v_add_nc_u32_e32 v5, 19, v3
	v_mov_b64_e32 v[14:15], v[10:11]
	s_delay_alu instid0(VALU_DEP_2) | instskip(NEXT) | instid1(VALU_DEP_4)
	v_lshlrev_b64_e64 v[8:9], v5, 1
	v_bfi_b32 v7, v7, 0, 0
	v_bfi_b32 v6, v6, 0, v52
	s_delay_alu instid0(VALU_DEP_1)
	v_cmpx_eq_u64_e64 v[6:7], v[8:9]
; %bb.7031:                             ;   in Loop: Header=BB6_6801 Depth=2
	v_bfe_u32 v52, v10, 20, 1
	s_delay_alu instid0(VALU_DEP_1) | instskip(NEXT) | instid1(VALU_DEP_1)
	v_add_nc_u64_e32 v[6:7], v[10:11], v[52:53]
	v_add_nc_u64_e32 v[14:15], -1, v[6:7]
; %bb.7032:                             ;   in Loop: Header=BB6_6801 Depth=2
	s_or_b32 exec_lo, exec_lo, s43
	v_add_nc_u32_e32 v1, 0xffffff81, v2
	v_lshrrev_b32_e32 v2, 23, v10
	s_mov_b32 s7, exec_lo
	s_delay_alu instid0(VALU_DEP_2) | instskip(NEXT) | instid1(VALU_DEP_1)
	v_cndmask_b32_e64 v1, v1, 0xffffff82, vcc_lo
	v_add3_u32 v2, v3, v1, v2
	v_and_b32_e32 v1, 0xfffff, v14
	s_delay_alu instid0(VALU_DEP_2) | instskip(NEXT) | instid1(VALU_DEP_2)
	v_add_nc_u32_e32 v3, 6, v2
	v_add_nc_u32_e32 v52, v1, v10
                                        ; implicit-def: $vgpr10_vgpr11
                                        ; implicit-def: $vgpr1
	s_delay_alu instid0(VALU_DEP_2)
	v_cmpx_ne_u32_e32 0, v3
	s_xor_b32 s7, exec_lo, s7
; %bb.7033:                             ;   in Loop: Header=BB6_6801 Depth=2
	s_delay_alu instid0(VALU_DEP_2) | instskip(SKIP_2) | instid1(VALU_DEP_2)
	v_cmp_lt_u64_e32 vcc_lo, 0xffffff, v[52:53]
	v_add_nc_u32_e32 v1, 7, v2
	v_cndmask_b32_e64 v2, 0, 1, vcc_lo
	v_cndmask_b32_e32 v1, v3, v1, vcc_lo
	s_delay_alu instid0(VALU_DEP_2)
	v_lshrrev_b64 v[10:11], v2, v[52:53]
; %bb.7034:                             ;   in Loop: Header=BB6_6801 Depth=2
	s_and_not1_saveexec_b32 s7, s7
; %bb.7035:                             ;   in Loop: Header=BB6_6801 Depth=2
	v_mov_b64_e32 v[10:11], v[52:53]
	v_bfe_u32 v1, v52, 23, 1
; %bb.7036:                             ;   in Loop: Header=BB6_6801 Depth=2
	s_or_b32 exec_lo, exec_lo, s7
	s_delay_alu instid0(VALU_DEP_2) | instskip(NEXT) | instid1(VALU_DEP_2)
	v_lshrrev_b64 v[2:3], 20, v[10:11]
	v_cmp_gt_i32_e32 vcc_lo, 16, v1
	v_min_i32_e32 v5, 15, v1
	v_cmp_eq_u32_e64 s7, 0, v1
	s_delay_alu instid0(VALU_DEP_2) | instskip(SKIP_1) | instid1(VALU_DEP_2)
	v_dual_cndmask_b32 v3, 0, v3, vcc_lo :: v_dual_lshlrev_b32 v5, 3, v5
	v_cndmask_b32_e32 v2, 7, v2, vcc_lo
	v_and_b32_e32 v5, 0xf8, v5
	s_delay_alu instid0(VALU_DEP_2) | instskip(NEXT) | instid1(VALU_DEP_2)
	v_cmp_eq_u64_e32 vcc_lo, 0, v[2:3]
	v_and_or_b32 v1, v2, 7, v5
	s_and_b32 s7, s7, vcc_lo
	s_delay_alu instid0(VALU_DEP_1) | instid1(SALU_CYCLE_1)
	v_cndmask_b32_e64 v1, v1, 0, s7
	s_delay_alu instid0(VALU_DEP_1)
	v_or_b32_e32 v94, v1, v0
.LBB6_7037:                             ;   in Loop: Header=BB6_6801 Depth=2
	s_or_b32 exec_lo, exec_lo, s42
                                        ; implicit-def: $vgpr0
.LBB6_7038:                             ;   in Loop: Header=BB6_6801 Depth=2
	s_and_not1_saveexec_b32 s7, s41
; %bb.7039:                             ;   in Loop: Header=BB6_6801 Depth=2
	v_or_b32_e32 v94, 0x7e, v0
; %bb.7040:                             ;   in Loop: Header=BB6_6801 Depth=2
	s_or_b32 exec_lo, exec_lo, s7
                                        ; implicit-def: $vgpr0
.LBB6_7041:                             ;   in Loop: Header=BB6_6801 Depth=2
	s_and_not1_saveexec_b32 s7, s40
; %bb.7042:                             ;   in Loop: Header=BB6_6801 Depth=2
	v_or_b32_e32 v94, 0x7f, v0
; %bb.7043:                             ;   in Loop: Header=BB6_6801 Depth=2
	s_or_b32 exec_lo, exec_lo, s7
	v_dual_mov_b32 v1, 0 :: v_dual_lshrrev_b32 v0, 16, v12
	s_mov_b32 s7, exec_lo
	s_delay_alu instid0(VALU_DEP_1) | instskip(NEXT) | instid1(VALU_DEP_1)
	v_and_b32_e32 v2, 0xff, v0
	v_cmpx_ne_u16_e32 0, v2
	s_cbranch_execz .LBB6_7051
; %bb.7044:                             ;   in Loop: Header=BB6_6801 Depth=2
	v_bfrev_b32_e32 v1, 1
	s_mov_b32 s40, exec_lo
	v_cmpx_ne_u16_e32 0x80, v2
	s_cbranch_execz .LBB6_7050
; %bb.7045:                             ;   in Loop: Header=BB6_6801 Depth=2
	v_bfe_u32 v2, v12, 16, 7
	v_mov_b32_e32 v1, 0x7f800001
	s_mov_b32 s41, exec_lo
	s_delay_alu instid0(VALU_DEP_2)
	v_cmpx_ne_u32_e32 0x7f, v2
	s_cbranch_execz .LBB6_7049
; %bb.7046:                             ;   in Loop: Header=BB6_6801 Depth=2
	v_dual_lshrrev_b32 v1, 3, v2 :: v_dual_bitop2_b32 v52, 7, v0 bitop3:0x40
	s_mov_b32 s42, exec_lo
	v_cmpx_gt_u32_e32 8, v2
; %bb.7047:                             ;   in Loop: Header=BB6_6801 Depth=2
	s_delay_alu instid0(VALU_DEP_2) | instskip(NEXT) | instid1(VALU_DEP_1)
	v_clz_i32_u32_e32 v1, v52
	v_min_u32_e32 v1, 32, v1
	s_delay_alu instid0(VALU_DEP_1) | instskip(NEXT) | instid1(VALU_DEP_1)
	v_subrev_nc_u32_e32 v2, 28, v1
	v_lshlrev_b64_e32 v[2:3], v2, v[52:53]
	s_delay_alu instid0(VALU_DEP_1)
	v_dual_sub_nc_u32 v1, 29, v1 :: v_dual_bitop2_b32 v52, 7, v2 bitop3:0x40
; %bb.7048:                             ;   in Loop: Header=BB6_6801 Depth=2
	s_or_b32 exec_lo, exec_lo, s42
	v_lshlrev_b32_e32 v0, 24, v0
	s_delay_alu instid0(VALU_DEP_2) | instskip(NEXT) | instid1(VALU_DEP_3)
	v_lshlrev_b32_e32 v2, 20, v52
	v_lshl_add_u32 v1, v1, 23, 0x3c000000
	s_delay_alu instid0(VALU_DEP_3) | instskip(NEXT) | instid1(VALU_DEP_1)
	v_and_b32_e32 v0, 0x80000000, v0
	v_or3_b32 v1, v2, v0, v1
.LBB6_7049:                             ;   in Loop: Header=BB6_6801 Depth=2
	s_or_b32 exec_lo, exec_lo, s41
.LBB6_7050:                             ;   in Loop: Header=BB6_6801 Depth=2
	s_delay_alu instid0(SALU_CYCLE_1)
	s_or_b32 exec_lo, exec_lo, s40
.LBB6_7051:                             ;   in Loop: Header=BB6_6801 Depth=2
	s_delay_alu instid0(SALU_CYCLE_1) | instskip(NEXT) | instid1(VALU_DEP_1)
	s_or_b32 exec_lo, exec_lo, s7
	v_mul_f32_e32 v1, s29, v1
                                        ; implicit-def: $vgpr105
	s_mov_b32 s7, exec_lo
	s_delay_alu instid0(VALU_DEP_1) | instskip(SKIP_1) | instid1(VALU_DEP_2)
	v_and_b32_e32 v52, 0x7f800000, v1
	v_lshrrev_b32_e32 v0, 24, v1
	v_cmpx_ne_u64_e32 0x7f800000, v[52:53]
	s_xor_b32 s40, exec_lo, s7
	s_cbranch_execz .LBB6_7065
; %bb.7052:                             ;   in Loop: Header=BB6_6801 Depth=2
	v_and_b32_e32 v52, 0x7fffffff, v1
	v_and_b32_e32 v0, 0x80, v0
                                        ; implicit-def: $vgpr105
	s_mov_b32 s7, exec_lo
	s_delay_alu instid0(VALU_DEP_2)
	v_cmpx_gt_u64_e32 0x43e00001, v[52:53]
	s_xor_b32 s41, exec_lo, s7
	s_cbranch_execz .LBB6_7062
; %bb.7053:                             ;   in Loop: Header=BB6_6801 Depth=2
	v_mov_b32_e32 v105, 0
	s_mov_b32 s42, exec_lo
	v_cmpx_ne_u32_e32 0, v1
	s_cbranch_execz .LBB6_7061
; %bb.7054:                             ;   in Loop: Header=BB6_6801 Depth=2
	v_bfe_u32 v2, v1, 23, 8
	v_and_b32_e32 v1, 0x7fffff, v1
	s_mov_b32 s43, exec_lo
	s_delay_alu instid0(VALU_DEP_2) | instskip(NEXT) | instid1(VALU_DEP_2)
	v_cmp_gt_u32_e32 vcc_lo, 0x7a, v2
	v_or_b32_e32 v8, 0x800000, v1
	v_sub_nc_u32_e32 v3, 0x79, v2
	s_delay_alu instid0(VALU_DEP_1) | instskip(SKIP_1) | instid1(VALU_DEP_2)
	v_cndmask_b32_e32 v3, 0, v3, vcc_lo
	v_cmp_eq_u32_e32 vcc_lo, 0, v2
	v_cndmask_b32_e64 v3, v3, 0x78, vcc_lo
	s_delay_alu instid0(VALU_DEP_1) | instskip(NEXT) | instid1(VALU_DEP_1)
	v_dual_cndmask_b32 v52, v8, v1 :: v_dual_add_nc_u32 v5, 20, v3
	v_lshrrev_b64 v[10:11], v3, v[52:53]
	s_delay_alu instid0(VALU_DEP_2) | instskip(SKIP_1) | instid1(VALU_DEP_3)
	v_lshlrev_b64_e64 v[6:7], v5, -1
	v_add_nc_u32_e32 v5, 19, v3
	v_mov_b64_e32 v[14:15], v[10:11]
	s_delay_alu instid0(VALU_DEP_2) | instskip(NEXT) | instid1(VALU_DEP_4)
	v_lshlrev_b64_e64 v[8:9], v5, 1
	v_bfi_b32 v7, v7, 0, 0
	v_bfi_b32 v6, v6, 0, v52
	s_delay_alu instid0(VALU_DEP_1)
	v_cmpx_eq_u64_e64 v[6:7], v[8:9]
; %bb.7055:                             ;   in Loop: Header=BB6_6801 Depth=2
	v_bfe_u32 v52, v10, 20, 1
	s_delay_alu instid0(VALU_DEP_1) | instskip(NEXT) | instid1(VALU_DEP_1)
	v_add_nc_u64_e32 v[6:7], v[10:11], v[52:53]
	v_add_nc_u64_e32 v[14:15], -1, v[6:7]
; %bb.7056:                             ;   in Loop: Header=BB6_6801 Depth=2
	s_or_b32 exec_lo, exec_lo, s43
	v_add_nc_u32_e32 v1, 0xffffff81, v2
	v_lshrrev_b32_e32 v2, 23, v10
	s_mov_b32 s7, exec_lo
	s_delay_alu instid0(VALU_DEP_2) | instskip(NEXT) | instid1(VALU_DEP_1)
	v_cndmask_b32_e64 v1, v1, 0xffffff82, vcc_lo
	v_add3_u32 v2, v3, v1, v2
	v_and_b32_e32 v1, 0xfffff, v14
	s_delay_alu instid0(VALU_DEP_2) | instskip(NEXT) | instid1(VALU_DEP_2)
	v_add_nc_u32_e32 v3, 6, v2
	v_add_nc_u32_e32 v52, v1, v10
                                        ; implicit-def: $vgpr10_vgpr11
                                        ; implicit-def: $vgpr1
	s_delay_alu instid0(VALU_DEP_2)
	v_cmpx_ne_u32_e32 0, v3
	s_xor_b32 s7, exec_lo, s7
; %bb.7057:                             ;   in Loop: Header=BB6_6801 Depth=2
	s_delay_alu instid0(VALU_DEP_2) | instskip(SKIP_2) | instid1(VALU_DEP_2)
	v_cmp_lt_u64_e32 vcc_lo, 0xffffff, v[52:53]
	v_add_nc_u32_e32 v1, 7, v2
	v_cndmask_b32_e64 v2, 0, 1, vcc_lo
	v_cndmask_b32_e32 v1, v3, v1, vcc_lo
	s_delay_alu instid0(VALU_DEP_2)
	v_lshrrev_b64 v[10:11], v2, v[52:53]
; %bb.7058:                             ;   in Loop: Header=BB6_6801 Depth=2
	s_and_not1_saveexec_b32 s7, s7
; %bb.7059:                             ;   in Loop: Header=BB6_6801 Depth=2
	v_mov_b64_e32 v[10:11], v[52:53]
	v_bfe_u32 v1, v52, 23, 1
; %bb.7060:                             ;   in Loop: Header=BB6_6801 Depth=2
	s_or_b32 exec_lo, exec_lo, s7
	s_delay_alu instid0(VALU_DEP_2) | instskip(NEXT) | instid1(VALU_DEP_2)
	v_lshrrev_b64 v[2:3], 20, v[10:11]
	v_cmp_gt_i32_e32 vcc_lo, 16, v1
	v_min_i32_e32 v5, 15, v1
	v_cmp_eq_u32_e64 s7, 0, v1
	s_delay_alu instid0(VALU_DEP_2) | instskip(SKIP_1) | instid1(VALU_DEP_2)
	v_dual_cndmask_b32 v3, 0, v3, vcc_lo :: v_dual_lshlrev_b32 v5, 3, v5
	v_cndmask_b32_e32 v2, 7, v2, vcc_lo
	v_and_b32_e32 v5, 0xf8, v5
	s_delay_alu instid0(VALU_DEP_2) | instskip(NEXT) | instid1(VALU_DEP_2)
	v_cmp_eq_u64_e32 vcc_lo, 0, v[2:3]
	v_and_or_b32 v1, v2, 7, v5
	s_and_b32 s7, s7, vcc_lo
	s_delay_alu instid0(VALU_DEP_1) | instid1(SALU_CYCLE_1)
	v_cndmask_b32_e64 v1, v1, 0, s7
	s_delay_alu instid0(VALU_DEP_1)
	v_or_b32_e32 v105, v1, v0
.LBB6_7061:                             ;   in Loop: Header=BB6_6801 Depth=2
	s_or_b32 exec_lo, exec_lo, s42
                                        ; implicit-def: $vgpr0
.LBB6_7062:                             ;   in Loop: Header=BB6_6801 Depth=2
	s_and_not1_saveexec_b32 s7, s41
; %bb.7063:                             ;   in Loop: Header=BB6_6801 Depth=2
	v_or_b32_e32 v105, 0x7e, v0
; %bb.7064:                             ;   in Loop: Header=BB6_6801 Depth=2
	s_or_b32 exec_lo, exec_lo, s7
                                        ; implicit-def: $vgpr0
.LBB6_7065:                             ;   in Loop: Header=BB6_6801 Depth=2
	s_and_not1_saveexec_b32 s7, s40
; %bb.7066:                             ;   in Loop: Header=BB6_6801 Depth=2
	v_or_b32_e32 v105, 0x7f, v0
; %bb.7067:                             ;   in Loop: Header=BB6_6801 Depth=2
	s_or_b32 exec_lo, exec_lo, s7
	v_mov_b32_e32 v1, 0
	s_mov_b32 s7, exec_lo
	v_cmpx_lt_u32_e32 0xffffff, v12
	s_cbranch_execz .LBB6_7075
; %bb.7068:                             ;   in Loop: Header=BB6_6801 Depth=2
	v_lshrrev_b32_e32 v0, 24, v12
	v_bfrev_b32_e32 v1, 1
	s_mov_b32 s40, exec_lo
	s_delay_alu instid0(VALU_DEP_2)
	v_cmpx_ne_u32_e32 0x80, v0
	s_cbranch_execz .LBB6_7074
; %bb.7069:                             ;   in Loop: Header=BB6_6801 Depth=2
	v_bfe_u32 v2, v12, 24, 7
	v_mov_b32_e32 v1, 0x7f800001
	s_mov_b32 s41, exec_lo
	s_delay_alu instid0(VALU_DEP_2)
	v_cmpx_ne_u32_e32 0x7f, v2
	s_cbranch_execz .LBB6_7073
; %bb.7070:                             ;   in Loop: Header=BB6_6801 Depth=2
	v_dual_lshrrev_b32 v1, 3, v2 :: v_dual_bitop2_b32 v52, 7, v0 bitop3:0x40
	s_mov_b32 s42, exec_lo
	v_cmpx_gt_u32_e32 8, v2
; %bb.7071:                             ;   in Loop: Header=BB6_6801 Depth=2
	s_delay_alu instid0(VALU_DEP_2) | instskip(NEXT) | instid1(VALU_DEP_1)
	v_clz_i32_u32_e32 v1, v52
	v_min_u32_e32 v1, 32, v1
	s_delay_alu instid0(VALU_DEP_1) | instskip(NEXT) | instid1(VALU_DEP_1)
	v_subrev_nc_u32_e32 v2, 28, v1
	v_lshlrev_b64_e32 v[2:3], v2, v[52:53]
	s_delay_alu instid0(VALU_DEP_1)
	v_dual_sub_nc_u32 v1, 29, v1 :: v_dual_bitop2_b32 v52, 7, v2 bitop3:0x40
; %bb.7072:                             ;   in Loop: Header=BB6_6801 Depth=2
	s_or_b32 exec_lo, exec_lo, s42
	v_lshlrev_b32_e32 v0, 24, v0
	s_delay_alu instid0(VALU_DEP_2) | instskip(NEXT) | instid1(VALU_DEP_3)
	v_lshlrev_b32_e32 v2, 20, v52
	v_lshl_add_u32 v1, v1, 23, 0x3c000000
	s_delay_alu instid0(VALU_DEP_3) | instskip(NEXT) | instid1(VALU_DEP_1)
	v_and_b32_e32 v0, 0x80000000, v0
	v_or3_b32 v1, v2, v0, v1
.LBB6_7073:                             ;   in Loop: Header=BB6_6801 Depth=2
	s_or_b32 exec_lo, exec_lo, s41
.LBB6_7074:                             ;   in Loop: Header=BB6_6801 Depth=2
	s_delay_alu instid0(SALU_CYCLE_1)
	s_or_b32 exec_lo, exec_lo, s40
.LBB6_7075:                             ;   in Loop: Header=BB6_6801 Depth=2
	s_delay_alu instid0(SALU_CYCLE_1) | instskip(NEXT) | instid1(VALU_DEP_1)
	s_or_b32 exec_lo, exec_lo, s7
	v_mul_f32_e32 v1, s29, v1
                                        ; implicit-def: $vgpr110
	s_mov_b32 s7, exec_lo
	s_delay_alu instid0(VALU_DEP_1) | instskip(SKIP_1) | instid1(VALU_DEP_2)
	v_and_b32_e32 v52, 0x7f800000, v1
	v_lshrrev_b32_e32 v0, 24, v1
	v_cmpx_ne_u64_e32 0x7f800000, v[52:53]
	s_xor_b32 s40, exec_lo, s7
	s_cbranch_execz .LBB6_7089
; %bb.7076:                             ;   in Loop: Header=BB6_6801 Depth=2
	v_and_b32_e32 v52, 0x7fffffff, v1
	v_and_b32_e32 v0, 0x80, v0
                                        ; implicit-def: $vgpr110
	s_mov_b32 s7, exec_lo
	s_delay_alu instid0(VALU_DEP_2)
	v_cmpx_gt_u64_e32 0x43e00001, v[52:53]
	s_xor_b32 s41, exec_lo, s7
	s_cbranch_execz .LBB6_7086
; %bb.7077:                             ;   in Loop: Header=BB6_6801 Depth=2
	v_mov_b32_e32 v110, 0
	s_mov_b32 s42, exec_lo
	v_cmpx_ne_u32_e32 0, v1
	s_cbranch_execz .LBB6_7085
; %bb.7078:                             ;   in Loop: Header=BB6_6801 Depth=2
	v_bfe_u32 v2, v1, 23, 8
	v_and_b32_e32 v1, 0x7fffff, v1
	s_mov_b32 s43, exec_lo
	s_delay_alu instid0(VALU_DEP_2) | instskip(NEXT) | instid1(VALU_DEP_2)
	v_cmp_gt_u32_e32 vcc_lo, 0x7a, v2
	v_or_b32_e32 v8, 0x800000, v1
	v_sub_nc_u32_e32 v3, 0x79, v2
	s_delay_alu instid0(VALU_DEP_1) | instskip(SKIP_1) | instid1(VALU_DEP_2)
	v_cndmask_b32_e32 v3, 0, v3, vcc_lo
	v_cmp_eq_u32_e32 vcc_lo, 0, v2
	v_cndmask_b32_e64 v3, v3, 0x78, vcc_lo
	s_delay_alu instid0(VALU_DEP_1) | instskip(NEXT) | instid1(VALU_DEP_1)
	v_dual_cndmask_b32 v52, v8, v1 :: v_dual_add_nc_u32 v5, 20, v3
	v_lshrrev_b64 v[10:11], v3, v[52:53]
	s_delay_alu instid0(VALU_DEP_2) | instskip(SKIP_1) | instid1(VALU_DEP_3)
	v_lshlrev_b64_e64 v[6:7], v5, -1
	v_add_nc_u32_e32 v5, 19, v3
	v_mov_b64_e32 v[14:15], v[10:11]
	s_delay_alu instid0(VALU_DEP_2) | instskip(NEXT) | instid1(VALU_DEP_4)
	v_lshlrev_b64_e64 v[8:9], v5, 1
	v_bfi_b32 v7, v7, 0, 0
	v_bfi_b32 v6, v6, 0, v52
	s_delay_alu instid0(VALU_DEP_1)
	v_cmpx_eq_u64_e64 v[6:7], v[8:9]
; %bb.7079:                             ;   in Loop: Header=BB6_6801 Depth=2
	v_bfe_u32 v52, v10, 20, 1
	s_delay_alu instid0(VALU_DEP_1) | instskip(NEXT) | instid1(VALU_DEP_1)
	v_add_nc_u64_e32 v[6:7], v[10:11], v[52:53]
	v_add_nc_u64_e32 v[14:15], -1, v[6:7]
; %bb.7080:                             ;   in Loop: Header=BB6_6801 Depth=2
	s_or_b32 exec_lo, exec_lo, s43
	v_add_nc_u32_e32 v1, 0xffffff81, v2
	v_lshrrev_b32_e32 v2, 23, v10
	s_mov_b32 s7, exec_lo
	s_delay_alu instid0(VALU_DEP_2) | instskip(NEXT) | instid1(VALU_DEP_1)
	v_cndmask_b32_e64 v1, v1, 0xffffff82, vcc_lo
	v_add3_u32 v2, v3, v1, v2
	v_and_b32_e32 v1, 0xfffff, v14
	s_delay_alu instid0(VALU_DEP_2) | instskip(NEXT) | instid1(VALU_DEP_2)
	v_add_nc_u32_e32 v3, 6, v2
	v_add_nc_u32_e32 v52, v1, v10
                                        ; implicit-def: $vgpr10_vgpr11
                                        ; implicit-def: $vgpr1
	s_delay_alu instid0(VALU_DEP_2)
	v_cmpx_ne_u32_e32 0, v3
	s_xor_b32 s7, exec_lo, s7
; %bb.7081:                             ;   in Loop: Header=BB6_6801 Depth=2
	s_delay_alu instid0(VALU_DEP_2) | instskip(SKIP_2) | instid1(VALU_DEP_2)
	v_cmp_lt_u64_e32 vcc_lo, 0xffffff, v[52:53]
	v_add_nc_u32_e32 v1, 7, v2
	v_cndmask_b32_e64 v2, 0, 1, vcc_lo
	v_cndmask_b32_e32 v1, v3, v1, vcc_lo
	s_delay_alu instid0(VALU_DEP_2)
	v_lshrrev_b64 v[10:11], v2, v[52:53]
; %bb.7082:                             ;   in Loop: Header=BB6_6801 Depth=2
	s_and_not1_saveexec_b32 s7, s7
; %bb.7083:                             ;   in Loop: Header=BB6_6801 Depth=2
	v_mov_b64_e32 v[10:11], v[52:53]
	v_bfe_u32 v1, v52, 23, 1
; %bb.7084:                             ;   in Loop: Header=BB6_6801 Depth=2
	s_or_b32 exec_lo, exec_lo, s7
	s_delay_alu instid0(VALU_DEP_2) | instskip(NEXT) | instid1(VALU_DEP_2)
	v_lshrrev_b64 v[2:3], 20, v[10:11]
	v_cmp_gt_i32_e32 vcc_lo, 16, v1
	v_min_i32_e32 v5, 15, v1
	v_cmp_eq_u32_e64 s7, 0, v1
	s_delay_alu instid0(VALU_DEP_2) | instskip(SKIP_1) | instid1(VALU_DEP_2)
	v_dual_cndmask_b32 v3, 0, v3, vcc_lo :: v_dual_lshlrev_b32 v5, 3, v5
	v_cndmask_b32_e32 v2, 7, v2, vcc_lo
	v_and_b32_e32 v5, 0xf8, v5
	s_delay_alu instid0(VALU_DEP_2) | instskip(NEXT) | instid1(VALU_DEP_2)
	v_cmp_eq_u64_e32 vcc_lo, 0, v[2:3]
	v_and_or_b32 v1, v2, 7, v5
	s_and_b32 s7, s7, vcc_lo
	s_delay_alu instid0(VALU_DEP_1) | instid1(SALU_CYCLE_1)
	v_cndmask_b32_e64 v1, v1, 0, s7
	s_delay_alu instid0(VALU_DEP_1)
	v_or_b32_e32 v110, v1, v0
.LBB6_7085:                             ;   in Loop: Header=BB6_6801 Depth=2
	s_or_b32 exec_lo, exec_lo, s42
                                        ; implicit-def: $vgpr0
.LBB6_7086:                             ;   in Loop: Header=BB6_6801 Depth=2
	s_and_not1_saveexec_b32 s7, s41
; %bb.7087:                             ;   in Loop: Header=BB6_6801 Depth=2
	v_or_b32_e32 v110, 0x7e, v0
; %bb.7088:                             ;   in Loop: Header=BB6_6801 Depth=2
	s_or_b32 exec_lo, exec_lo, s7
                                        ; implicit-def: $vgpr0
.LBB6_7089:                             ;   in Loop: Header=BB6_6801 Depth=2
	s_and_not1_saveexec_b32 s7, s40
; %bb.7090:                             ;   in Loop: Header=BB6_6801 Depth=2
	v_or_b32_e32 v110, 0x7f, v0
; %bb.7091:                             ;   in Loop: Header=BB6_6801 Depth=2
	s_or_b32 exec_lo, exec_lo, s7
	v_and_b32_e32 v1, 0xff, v13
	v_dual_mov_b32 v52, v13 :: v_dual_mov_b32 v0, 0
	s_mov_b32 s7, exec_lo
	s_delay_alu instid0(VALU_DEP_2)
	v_cmpx_ne_u16_e32 0, v1
	s_cbranch_execz .LBB6_7097
; %bb.7092:                             ;   in Loop: Header=BB6_6801 Depth=2
	v_bfrev_b32_e32 v0, 1
	s_mov_b32 s40, exec_lo
	v_cmpx_ne_u16_e32 0x80, v1
	s_cbranch_execz .LBB6_7096
; %bb.7093:                             ;   in Loop: Header=BB6_6801 Depth=2
	v_and_b32_e32 v1, 0x7f, v13
	v_mov_b32_e32 v0, 0x7f800001
	s_mov_b32 s41, exec_lo
	s_delay_alu instid0(VALU_DEP_2)
	v_cmpx_ne_u32_e32 0x7f, v1
	s_cbranch_execz .LBB6_7095
; %bb.7094:                             ;   in Loop: Header=BB6_6801 Depth=2
	v_and_b32_e32 v0, 7, v13
	v_cmp_gt_u32_e32 vcc_lo, 8, v1
	s_delay_alu instid0(VALU_DEP_2) | instskip(NEXT) | instid1(VALU_DEP_1)
	v_clz_i32_u32_e32 v0, v0
	v_min_u32_e32 v0, 32, v0
	v_lshrrev_b32_e32 v2, 3, v1
	s_delay_alu instid0(VALU_DEP_2) | instskip(SKIP_1) | instid1(VALU_DEP_1)
	v_subrev_nc_u32_e32 v3, 28, v0
	v_sub_nc_u32_e32 v0, 29, v0
	v_dual_cndmask_b32 v2, v2, v0, vcc_lo :: v_dual_cndmask_b32 v0, 0, v3, vcc_lo
	s_delay_alu instid0(VALU_DEP_1) | instskip(NEXT) | instid1(VALU_DEP_2)
	v_lshl_add_u32 v2, v2, 23, 0x3c000000
	v_lshlrev_b64_e32 v[0:1], v0, v[52:53]
	v_lshlrev_b32_e32 v1, 24, v52
	s_delay_alu instid0(VALU_DEP_1) | instskip(NEXT) | instid1(VALU_DEP_3)
	v_and_b32_e32 v1, 0x80000000, v1
	v_lshlrev_b32_e32 v0, 20, v0
	s_delay_alu instid0(VALU_DEP_1) | instskip(NEXT) | instid1(VALU_DEP_1)
	v_and_b32_e32 v0, 0x700000, v0
	v_or3_b32 v0, v0, v1, v2
.LBB6_7095:                             ;   in Loop: Header=BB6_6801 Depth=2
	s_or_b32 exec_lo, exec_lo, s41
.LBB6_7096:                             ;   in Loop: Header=BB6_6801 Depth=2
	s_delay_alu instid0(SALU_CYCLE_1)
	s_or_b32 exec_lo, exec_lo, s40
.LBB6_7097:                             ;   in Loop: Header=BB6_6801 Depth=2
	s_delay_alu instid0(SALU_CYCLE_1) | instskip(NEXT) | instid1(VALU_DEP_1)
	s_or_b32 exec_lo, exec_lo, s7
	v_dual_mul_f32 v1, s29, v0 :: v_dual_mov_b32 v3, v53
                                        ; implicit-def: $vgpr37
	s_mov_b32 s7, exec_lo
	s_delay_alu instid0(VALU_DEP_1) | instskip(SKIP_1) | instid1(VALU_DEP_2)
	v_and_b32_e32 v2, 0x7f800000, v1
	v_lshrrev_b32_e32 v0, 24, v1
	v_cmpx_ne_u64_e32 0x7f800000, v[2:3]
	s_xor_b32 s40, exec_lo, s7
	s_cbranch_execz .LBB6_7111
; %bb.7098:                             ;   in Loop: Header=BB6_6801 Depth=2
	v_and_b32_e32 v2, 0x7fffffff, v1
	v_mov_b32_e32 v3, v53
	v_and_b32_e32 v0, 0x80, v0
                                        ; implicit-def: $vgpr37
	s_mov_b32 s7, exec_lo
	s_delay_alu instid0(VALU_DEP_2)
	v_cmpx_gt_u64_e32 0x43e00001, v[2:3]
	s_xor_b32 s41, exec_lo, s7
	s_cbranch_execz .LBB6_7108
; %bb.7099:                             ;   in Loop: Header=BB6_6801 Depth=2
	v_mov_b32_e32 v37, 0
	s_mov_b32 s42, exec_lo
	v_cmpx_ne_u32_e32 0, v1
	s_cbranch_execz .LBB6_7107
; %bb.7100:                             ;   in Loop: Header=BB6_6801 Depth=2
	v_bfe_u32 v2, v1, 23, 8
	v_and_b32_e32 v1, 0x7fffff, v1
	v_mov_b32_e32 v9, v53
	s_delay_alu instid0(VALU_DEP_3) | instskip(NEXT) | instid1(VALU_DEP_3)
	v_cmp_gt_u32_e32 vcc_lo, 0x7a, v2
	v_or_b32_e32 v8, 0x800000, v1
	v_sub_nc_u32_e32 v3, 0x79, v2
	s_delay_alu instid0(VALU_DEP_1) | instskip(SKIP_1) | instid1(VALU_DEP_2)
	v_cndmask_b32_e32 v3, 0, v3, vcc_lo
	v_cmp_eq_u32_e32 vcc_lo, 0, v2
	v_cndmask_b32_e64 v3, v3, 0x78, vcc_lo
	s_delay_alu instid0(VALU_DEP_1) | instskip(NEXT) | instid1(VALU_DEP_1)
	v_dual_cndmask_b32 v8, v8, v1 :: v_dual_add_nc_u32 v5, 20, v3
	v_lshrrev_b64 v[10:11], v3, v[8:9]
	s_delay_alu instid0(VALU_DEP_2) | instskip(SKIP_1) | instid1(VALU_DEP_1)
	v_lshlrev_b64_e64 v[6:7], v5, -1
	v_add_nc_u32_e32 v5, 19, v3
	v_lshlrev_b64_e64 v[14:15], v5, 1
	s_delay_alu instid0(VALU_DEP_3) | instskip(NEXT) | instid1(VALU_DEP_4)
	v_bfi_b32 v7, v7, 0, 0
	v_bfi_b32 v6, v6, 0, v8
	s_delay_alu instid0(VALU_DEP_1)
	v_cmp_eq_u64_e64 s7, v[6:7], v[14:15]
	v_mov_b64_e32 v[14:15], v[10:11]
	s_and_saveexec_b32 s43, s7
; %bb.7101:                             ;   in Loop: Header=BB6_6801 Depth=2
	v_bfe_u32 v6, v10, 20, 1
	v_mov_b32_e32 v7, v53
	s_delay_alu instid0(VALU_DEP_1) | instskip(NEXT) | instid1(VALU_DEP_1)
	v_add_nc_u64_e32 v[6:7], v[10:11], v[6:7]
	v_add_nc_u64_e32 v[14:15], -1, v[6:7]
; %bb.7102:                             ;   in Loop: Header=BB6_6801 Depth=2
	s_or_b32 exec_lo, exec_lo, s43
	v_add_nc_u32_e32 v1, 0xffffff81, v2
	v_lshrrev_b32_e32 v2, 23, v10
	s_mov_b32 s7, exec_lo
	v_mov_b32_e32 v11, v53
	s_delay_alu instid0(VALU_DEP_3) | instskip(NEXT) | instid1(VALU_DEP_1)
	v_cndmask_b32_e64 v1, v1, 0xffffff82, vcc_lo
	v_add3_u32 v2, v3, v1, v2
	v_and_b32_e32 v1, 0xfffff, v14
	s_delay_alu instid0(VALU_DEP_2) | instskip(NEXT) | instid1(VALU_DEP_2)
	v_add_nc_u32_e32 v3, 6, v2
	v_add_nc_u32_e32 v10, v1, v10
                                        ; implicit-def: $vgpr1
	s_delay_alu instid0(VALU_DEP_2)
	v_cmpx_ne_u32_e32 0, v3
	s_xor_b32 s7, exec_lo, s7
; %bb.7103:                             ;   in Loop: Header=BB6_6801 Depth=2
	s_delay_alu instid0(VALU_DEP_2) | instskip(SKIP_2) | instid1(VALU_DEP_2)
	v_cmp_lt_u64_e32 vcc_lo, 0xffffff, v[10:11]
	v_add_nc_u32_e32 v1, 7, v2
	v_cndmask_b32_e64 v2, 0, 1, vcc_lo
	v_cndmask_b32_e32 v1, v3, v1, vcc_lo
	s_delay_alu instid0(VALU_DEP_2)
	v_lshrrev_b64 v[10:11], v2, v[10:11]
; %bb.7104:                             ;   in Loop: Header=BB6_6801 Depth=2
	s_and_not1_saveexec_b32 s7, s7
; %bb.7105:                             ;   in Loop: Header=BB6_6801 Depth=2
	s_delay_alu instid0(VALU_DEP_1)
	v_bfe_u32 v1, v10, 23, 1
; %bb.7106:                             ;   in Loop: Header=BB6_6801 Depth=2
	s_or_b32 exec_lo, exec_lo, s7
	s_delay_alu instid0(VALU_DEP_2) | instskip(NEXT) | instid1(VALU_DEP_2)
	v_lshrrev_b64 v[2:3], 20, v[10:11]
	v_cmp_gt_i32_e32 vcc_lo, 16, v1
	v_min_i32_e32 v5, 15, v1
	v_cmp_eq_u32_e64 s7, 0, v1
	s_delay_alu instid0(VALU_DEP_2) | instskip(SKIP_1) | instid1(VALU_DEP_2)
	v_dual_cndmask_b32 v3, 0, v3, vcc_lo :: v_dual_lshlrev_b32 v5, 3, v5
	v_cndmask_b32_e32 v2, 7, v2, vcc_lo
	v_and_b32_e32 v5, 0xf8, v5
	s_delay_alu instid0(VALU_DEP_2) | instskip(NEXT) | instid1(VALU_DEP_2)
	v_cmp_eq_u64_e32 vcc_lo, 0, v[2:3]
	v_and_or_b32 v1, v2, 7, v5
	s_and_b32 s7, s7, vcc_lo
	s_delay_alu instid0(VALU_DEP_1) | instid1(SALU_CYCLE_1)
	v_cndmask_b32_e64 v1, v1, 0, s7
	s_delay_alu instid0(VALU_DEP_1)
	v_or_b32_e32 v37, v1, v0
.LBB6_7107:                             ;   in Loop: Header=BB6_6801 Depth=2
	s_or_b32 exec_lo, exec_lo, s42
                                        ; implicit-def: $vgpr0
.LBB6_7108:                             ;   in Loop: Header=BB6_6801 Depth=2
	s_and_not1_saveexec_b32 s7, s41
; %bb.7109:                             ;   in Loop: Header=BB6_6801 Depth=2
	v_or_b32_e32 v37, 0x7e, v0
; %bb.7110:                             ;   in Loop: Header=BB6_6801 Depth=2
	s_or_b32 exec_lo, exec_lo, s7
                                        ; implicit-def: $vgpr0
.LBB6_7111:                             ;   in Loop: Header=BB6_6801 Depth=2
	s_and_not1_saveexec_b32 s7, s40
; %bb.7112:                             ;   in Loop: Header=BB6_6801 Depth=2
	v_or_b32_e32 v37, 0x7f, v0
; %bb.7113:                             ;   in Loop: Header=BB6_6801 Depth=2
	s_or_b32 exec_lo, exec_lo, s7
	v_lshrrev_b16 v1, 8, v52
	v_mov_b32_e32 v0, 0
	s_mov_b32 s7, exec_lo
	s_delay_alu instid0(VALU_DEP_2)
	v_cmpx_ne_u16_e32 0, v1
	s_cbranch_execz .LBB6_7121
; %bb.7114:                             ;   in Loop: Header=BB6_6801 Depth=2
	v_bfrev_b32_e32 v0, 1
	s_mov_b32 s40, exec_lo
	v_cmpx_ne_u16_e32 0x80, v1
	s_cbranch_execz .LBB6_7120
; %bb.7115:                             ;   in Loop: Header=BB6_6801 Depth=2
	v_and_b32_e32 v2, 0xffff, v1
	v_mov_b32_e32 v0, 0x7f800001
	s_mov_b32 s41, exec_lo
	s_delay_alu instid0(VALU_DEP_2) | instskip(NEXT) | instid1(VALU_DEP_1)
	v_and_b32_e32 v1, 0x7f, v2
	v_cmpx_ne_u32_e32 0x7f, v1
	s_cbranch_execz .LBB6_7119
; %bb.7116:                             ;   in Loop: Header=BB6_6801 Depth=2
	v_dual_mov_b32 v11, v53 :: v_dual_bitop2_b32 v10, 7, v2 bitop3:0x40
	v_lshrrev_b32_e32 v0, 3, v1
	s_mov_b32 s42, exec_lo
	v_cmpx_gt_u32_e32 8, v1
; %bb.7117:                             ;   in Loop: Header=BB6_6801 Depth=2
	s_delay_alu instid0(VALU_DEP_3) | instskip(NEXT) | instid1(VALU_DEP_1)
	v_clz_i32_u32_e32 v0, v10
	v_min_u32_e32 v0, 32, v0
	s_delay_alu instid0(VALU_DEP_1) | instskip(NEXT) | instid1(VALU_DEP_1)
	v_subrev_nc_u32_e32 v1, 28, v0
	v_lshlrev_b64_e32 v[2:3], v1, v[10:11]
	s_delay_alu instid0(VALU_DEP_1)
	v_dual_sub_nc_u32 v0, 29, v0 :: v_dual_bitop2_b32 v10, 7, v2 bitop3:0x40
; %bb.7118:                             ;   in Loop: Header=BB6_6801 Depth=2
	s_or_b32 exec_lo, exec_lo, s42
	s_delay_alu instid0(VALU_DEP_1) | instskip(NEXT) | instid1(VALU_DEP_2)
	v_dual_lshlrev_b32 v1, 16, v52 :: v_dual_lshlrev_b32 v2, 20, v10
	v_lshl_add_u32 v0, v0, 23, 0x3c000000
	s_delay_alu instid0(VALU_DEP_2) | instskip(NEXT) | instid1(VALU_DEP_1)
	v_and_b32_e32 v1, 0x80000000, v1
	v_or3_b32 v0, v2, v1, v0
.LBB6_7119:                             ;   in Loop: Header=BB6_6801 Depth=2
	s_or_b32 exec_lo, exec_lo, s41
.LBB6_7120:                             ;   in Loop: Header=BB6_6801 Depth=2
	s_delay_alu instid0(SALU_CYCLE_1)
	s_or_b32 exec_lo, exec_lo, s40
.LBB6_7121:                             ;   in Loop: Header=BB6_6801 Depth=2
	s_delay_alu instid0(SALU_CYCLE_1) | instskip(NEXT) | instid1(VALU_DEP_1)
	s_or_b32 exec_lo, exec_lo, s7
	v_mul_f32_e32 v2, s29, v0
                                        ; implicit-def: $vgpr0
	s_mov_b32 s7, exec_lo
	s_delay_alu instid0(VALU_DEP_1) | instskip(SKIP_1) | instid1(VALU_DEP_2)
	v_and_b32_e32 v52, 0x7f800000, v2
	v_lshrrev_b32_e32 v1, 24, v2
	v_cmpx_ne_u64_e32 0x7f800000, v[52:53]
	s_xor_b32 s40, exec_lo, s7
	s_cbranch_execz .LBB6_7135
; %bb.7122:                             ;   in Loop: Header=BB6_6801 Depth=2
	v_and_b32_e32 v52, 0x7fffffff, v2
	v_and_b32_e32 v1, 0x80, v1
                                        ; implicit-def: $vgpr0
	s_mov_b32 s7, exec_lo
	s_delay_alu instid0(VALU_DEP_2)
	v_cmpx_gt_u64_e32 0x43e00001, v[52:53]
	s_xor_b32 s41, exec_lo, s7
	s_cbranch_execz .LBB6_7132
; %bb.7123:                             ;   in Loop: Header=BB6_6801 Depth=2
	v_mov_b32_e32 v0, 0
	s_mov_b32 s42, exec_lo
	v_cmpx_ne_u32_e32 0, v2
	s_cbranch_execz .LBB6_7131
; %bb.7124:                             ;   in Loop: Header=BB6_6801 Depth=2
	v_bfe_u32 v0, v2, 23, 8
	v_and_b32_e32 v2, 0x7fffff, v2
	s_mov_b32 s43, exec_lo
	s_delay_alu instid0(VALU_DEP_2) | instskip(NEXT) | instid1(VALU_DEP_2)
	v_cmp_gt_u32_e32 vcc_lo, 0x7a, v0
	v_or_b32_e32 v8, 0x800000, v2
	v_sub_nc_u32_e32 v3, 0x79, v0
	s_delay_alu instid0(VALU_DEP_1) | instskip(SKIP_1) | instid1(VALU_DEP_2)
	v_cndmask_b32_e32 v3, 0, v3, vcc_lo
	v_cmp_eq_u32_e32 vcc_lo, 0, v0
	v_cndmask_b32_e64 v3, v3, 0x78, vcc_lo
	s_delay_alu instid0(VALU_DEP_1) | instskip(NEXT) | instid1(VALU_DEP_1)
	v_dual_cndmask_b32 v52, v8, v2 :: v_dual_add_nc_u32 v5, 20, v3
	v_lshrrev_b64 v[10:11], v3, v[52:53]
	s_delay_alu instid0(VALU_DEP_2) | instskip(SKIP_1) | instid1(VALU_DEP_3)
	v_lshlrev_b64_e64 v[6:7], v5, -1
	v_add_nc_u32_e32 v5, 19, v3
	v_mov_b64_e32 v[14:15], v[10:11]
	s_delay_alu instid0(VALU_DEP_2) | instskip(NEXT) | instid1(VALU_DEP_4)
	v_lshlrev_b64_e64 v[8:9], v5, 1
	v_bfi_b32 v7, v7, 0, 0
	v_bfi_b32 v6, v6, 0, v52
	s_delay_alu instid0(VALU_DEP_1)
	v_cmpx_eq_u64_e64 v[6:7], v[8:9]
; %bb.7125:                             ;   in Loop: Header=BB6_6801 Depth=2
	v_bfe_u32 v52, v10, 20, 1
	s_delay_alu instid0(VALU_DEP_1) | instskip(NEXT) | instid1(VALU_DEP_1)
	v_add_nc_u64_e32 v[6:7], v[10:11], v[52:53]
	v_add_nc_u64_e32 v[14:15], -1, v[6:7]
; %bb.7126:                             ;   in Loop: Header=BB6_6801 Depth=2
	s_or_b32 exec_lo, exec_lo, s43
	v_add_nc_u32_e32 v0, 0xffffff81, v0
	v_lshrrev_b32_e32 v2, 23, v10
	s_mov_b32 s7, exec_lo
	s_delay_alu instid0(VALU_DEP_2) | instskip(NEXT) | instid1(VALU_DEP_1)
	v_cndmask_b32_e64 v0, v0, 0xffffff82, vcc_lo
	v_add3_u32 v2, v3, v0, v2
	v_and_b32_e32 v0, 0xfffff, v14
	s_delay_alu instid0(VALU_DEP_2) | instskip(NEXT) | instid1(VALU_DEP_2)
	v_add_nc_u32_e32 v3, 6, v2
	v_add_nc_u32_e32 v52, v0, v10
                                        ; implicit-def: $vgpr10_vgpr11
                                        ; implicit-def: $vgpr0
	s_delay_alu instid0(VALU_DEP_2)
	v_cmpx_ne_u32_e32 0, v3
	s_xor_b32 s7, exec_lo, s7
; %bb.7127:                             ;   in Loop: Header=BB6_6801 Depth=2
	s_delay_alu instid0(VALU_DEP_2) | instskip(SKIP_2) | instid1(VALU_DEP_2)
	v_cmp_lt_u64_e32 vcc_lo, 0xffffff, v[52:53]
	v_add_nc_u32_e32 v0, 7, v2
	v_cndmask_b32_e64 v2, 0, 1, vcc_lo
	v_cndmask_b32_e32 v0, v3, v0, vcc_lo
	s_delay_alu instid0(VALU_DEP_2)
	v_lshrrev_b64 v[10:11], v2, v[52:53]
; %bb.7128:                             ;   in Loop: Header=BB6_6801 Depth=2
	s_and_not1_saveexec_b32 s7, s7
; %bb.7129:                             ;   in Loop: Header=BB6_6801 Depth=2
	v_mov_b64_e32 v[10:11], v[52:53]
	v_bfe_u32 v0, v52, 23, 1
; %bb.7130:                             ;   in Loop: Header=BB6_6801 Depth=2
	s_or_b32 exec_lo, exec_lo, s7
	s_delay_alu instid0(VALU_DEP_2) | instskip(NEXT) | instid1(VALU_DEP_2)
	v_lshrrev_b64 v[2:3], 20, v[10:11]
	v_cmp_gt_i32_e32 vcc_lo, 16, v0
	v_min_i32_e32 v5, 15, v0
	v_cmp_eq_u32_e64 s7, 0, v0
	s_delay_alu instid0(VALU_DEP_2) | instskip(SKIP_1) | instid1(VALU_DEP_2)
	v_dual_cndmask_b32 v3, 0, v3, vcc_lo :: v_dual_lshlrev_b32 v5, 3, v5
	v_cndmask_b32_e32 v2, 7, v2, vcc_lo
	v_and_b32_e32 v5, 0xf8, v5
	s_delay_alu instid0(VALU_DEP_2) | instskip(NEXT) | instid1(VALU_DEP_2)
	v_cmp_eq_u64_e32 vcc_lo, 0, v[2:3]
	v_and_or_b32 v0, v2, 7, v5
	s_and_b32 s7, s7, vcc_lo
	s_delay_alu instid0(VALU_DEP_1) | instid1(SALU_CYCLE_1)
	v_cndmask_b32_e64 v0, v0, 0, s7
	s_delay_alu instid0(VALU_DEP_1)
	v_or_b32_e32 v0, v0, v1
.LBB6_7131:                             ;   in Loop: Header=BB6_6801 Depth=2
	s_or_b32 exec_lo, exec_lo, s42
                                        ; implicit-def: $vgpr1
.LBB6_7132:                             ;   in Loop: Header=BB6_6801 Depth=2
	s_and_not1_saveexec_b32 s7, s41
; %bb.7133:                             ;   in Loop: Header=BB6_6801 Depth=2
	v_or_b32_e32 v0, 0x7e, v1
; %bb.7134:                             ;   in Loop: Header=BB6_6801 Depth=2
	s_or_b32 exec_lo, exec_lo, s7
                                        ; implicit-def: $vgpr1
.LBB6_7135:                             ;   in Loop: Header=BB6_6801 Depth=2
	s_and_not1_saveexec_b32 s7, s40
; %bb.7136:                             ;   in Loop: Header=BB6_6801 Depth=2
	v_or_b32_e32 v0, 0x7f, v1
; %bb.7137:                             ;   in Loop: Header=BB6_6801 Depth=2
	s_or_b32 exec_lo, exec_lo, s7
	v_dual_mov_b32 v2, 0 :: v_dual_lshrrev_b32 v1, 16, v13
	s_mov_b32 s7, exec_lo
	s_delay_alu instid0(VALU_DEP_1) | instskip(NEXT) | instid1(VALU_DEP_1)
	v_and_b32_e32 v3, 0xff, v1
	v_cmpx_ne_u16_e32 0, v3
	s_cbranch_execz .LBB6_7145
; %bb.7138:                             ;   in Loop: Header=BB6_6801 Depth=2
	v_bfrev_b32_e32 v2, 1
	s_mov_b32 s40, exec_lo
	v_cmpx_ne_u16_e32 0x80, v3
	s_cbranch_execz .LBB6_7144
; %bb.7139:                             ;   in Loop: Header=BB6_6801 Depth=2
	v_bfe_u32 v3, v13, 16, 7
	v_mov_b32_e32 v2, 0x7f800001
	s_mov_b32 s41, exec_lo
	s_delay_alu instid0(VALU_DEP_2)
	v_cmpx_ne_u32_e32 0x7f, v3
	s_cbranch_execz .LBB6_7143
; %bb.7140:                             ;   in Loop: Header=BB6_6801 Depth=2
	v_dual_lshrrev_b32 v2, 3, v3 :: v_dual_bitop2_b32 v52, 7, v1 bitop3:0x40
	s_mov_b32 s42, exec_lo
	v_cmpx_gt_u32_e32 8, v3
; %bb.7141:                             ;   in Loop: Header=BB6_6801 Depth=2
	s_delay_alu instid0(VALU_DEP_2) | instskip(NEXT) | instid1(VALU_DEP_1)
	v_clz_i32_u32_e32 v2, v52
	v_min_u32_e32 v2, 32, v2
	s_delay_alu instid0(VALU_DEP_1) | instskip(SKIP_1) | instid1(VALU_DEP_2)
	v_subrev_nc_u32_e32 v3, 28, v2
	v_sub_nc_u32_e32 v2, 29, v2
	v_lshlrev_b64_e32 v[6:7], v3, v[52:53]
	s_delay_alu instid0(VALU_DEP_1)
	v_and_b32_e32 v52, 7, v6
; %bb.7142:                             ;   in Loop: Header=BB6_6801 Depth=2
	s_or_b32 exec_lo, exec_lo, s42
	s_delay_alu instid0(VALU_DEP_1) | instskip(SKIP_1) | instid1(VALU_DEP_2)
	v_dual_lshlrev_b32 v1, 24, v1 :: v_dual_lshlrev_b32 v3, 20, v52
	v_lshl_add_u32 v2, v2, 23, 0x3c000000
	v_and_b32_e32 v1, 0x80000000, v1
	s_delay_alu instid0(VALU_DEP_1)
	v_or3_b32 v2, v3, v1, v2
.LBB6_7143:                             ;   in Loop: Header=BB6_6801 Depth=2
	s_or_b32 exec_lo, exec_lo, s41
.LBB6_7144:                             ;   in Loop: Header=BB6_6801 Depth=2
	s_delay_alu instid0(SALU_CYCLE_1)
	s_or_b32 exec_lo, exec_lo, s40
.LBB6_7145:                             ;   in Loop: Header=BB6_6801 Depth=2
	s_delay_alu instid0(SALU_CYCLE_1) | instskip(NEXT) | instid1(VALU_DEP_1)
	s_or_b32 exec_lo, exec_lo, s7
	v_mul_f32_e32 v2, s29, v2
                                        ; implicit-def: $vgpr121
	s_mov_b32 s7, exec_lo
	s_delay_alu instid0(VALU_DEP_1) | instskip(SKIP_1) | instid1(VALU_DEP_2)
	v_and_b32_e32 v52, 0x7f800000, v2
	v_lshrrev_b32_e32 v1, 24, v2
	v_cmpx_ne_u64_e32 0x7f800000, v[52:53]
	s_xor_b32 s40, exec_lo, s7
	s_cbranch_execz .LBB6_7159
; %bb.7146:                             ;   in Loop: Header=BB6_6801 Depth=2
	v_and_b32_e32 v52, 0x7fffffff, v2
	v_and_b32_e32 v1, 0x80, v1
                                        ; implicit-def: $vgpr121
	s_mov_b32 s7, exec_lo
	s_delay_alu instid0(VALU_DEP_2)
	v_cmpx_gt_u64_e32 0x43e00001, v[52:53]
	s_xor_b32 s41, exec_lo, s7
	s_cbranch_execz .LBB6_7156
; %bb.7147:                             ;   in Loop: Header=BB6_6801 Depth=2
	v_mov_b32_e32 v121, 0
	s_mov_b32 s42, exec_lo
	v_cmpx_ne_u32_e32 0, v2
	s_cbranch_execz .LBB6_7155
; %bb.7148:                             ;   in Loop: Header=BB6_6801 Depth=2
	v_bfe_u32 v3, v2, 23, 8
	v_and_b32_e32 v2, 0x7fffff, v2
	s_mov_b32 s43, exec_lo
	s_delay_alu instid0(VALU_DEP_2) | instskip(NEXT) | instid1(VALU_DEP_2)
	v_cmp_gt_u32_e32 vcc_lo, 0x7a, v3
	v_or_b32_e32 v8, 0x800000, v2
	v_sub_nc_u32_e32 v5, 0x79, v3
	s_delay_alu instid0(VALU_DEP_1) | instskip(SKIP_1) | instid1(VALU_DEP_2)
	v_cndmask_b32_e32 v5, 0, v5, vcc_lo
	v_cmp_eq_u32_e32 vcc_lo, 0, v3
	v_cndmask_b32_e64 v5, v5, 0x78, vcc_lo
	s_delay_alu instid0(VALU_DEP_1) | instskip(SKIP_1) | instid1(VALU_DEP_2)
	v_dual_cndmask_b32 v52, v8, v2, vcc_lo :: v_dual_add_nc_u32 v6, 20, v5
	v_add_nc_u32_e32 v9, 19, v5
	v_lshrrev_b64 v[10:11], v5, v[52:53]
	s_delay_alu instid0(VALU_DEP_3) | instskip(NEXT) | instid1(VALU_DEP_3)
	v_lshlrev_b64_e64 v[6:7], v6, -1
	v_lshlrev_b64_e64 v[8:9], v9, 1
	s_delay_alu instid0(VALU_DEP_3) | instskip(NEXT) | instid1(VALU_DEP_3)
	v_mov_b64_e32 v[14:15], v[10:11]
	v_bfi_b32 v7, v7, 0, 0
	s_delay_alu instid0(VALU_DEP_4) | instskip(NEXT) | instid1(VALU_DEP_1)
	v_bfi_b32 v6, v6, 0, v52
	v_cmpx_eq_u64_e64 v[6:7], v[8:9]
; %bb.7149:                             ;   in Loop: Header=BB6_6801 Depth=2
	v_bfe_u32 v52, v10, 20, 1
	s_delay_alu instid0(VALU_DEP_1) | instskip(NEXT) | instid1(VALU_DEP_1)
	v_add_nc_u64_e32 v[6:7], v[10:11], v[52:53]
	v_add_nc_u64_e32 v[14:15], -1, v[6:7]
; %bb.7150:                             ;   in Loop: Header=BB6_6801 Depth=2
	s_or_b32 exec_lo, exec_lo, s43
	v_add_nc_u32_e32 v2, 0xffffff81, v3
	v_lshrrev_b32_e32 v3, 23, v10
	s_mov_b32 s7, exec_lo
	s_delay_alu instid0(VALU_DEP_2) | instskip(NEXT) | instid1(VALU_DEP_1)
	v_cndmask_b32_e64 v2, v2, 0xffffff82, vcc_lo
	v_add3_u32 v3, v5, v2, v3
	v_and_b32_e32 v2, 0xfffff, v14
	s_delay_alu instid0(VALU_DEP_1) | instskip(NEXT) | instid1(VALU_DEP_1)
	v_dual_add_nc_u32 v5, 6, v3 :: v_dual_add_nc_u32 v52, v2, v10
                                        ; implicit-def: $vgpr10_vgpr11
                                        ; implicit-def: $vgpr2
	v_cmpx_ne_u32_e32 0, v5
	s_xor_b32 s7, exec_lo, s7
; %bb.7151:                             ;   in Loop: Header=BB6_6801 Depth=2
	s_delay_alu instid0(VALU_DEP_2) | instskip(SKIP_2) | instid1(VALU_DEP_2)
	v_cmp_lt_u64_e32 vcc_lo, 0xffffff, v[52:53]
	v_add_nc_u32_e32 v2, 7, v3
	v_cndmask_b32_e64 v3, 0, 1, vcc_lo
	v_cndmask_b32_e32 v2, v5, v2, vcc_lo
	s_delay_alu instid0(VALU_DEP_2)
	v_lshrrev_b64 v[10:11], v3, v[52:53]
; %bb.7152:                             ;   in Loop: Header=BB6_6801 Depth=2
	s_and_not1_saveexec_b32 s7, s7
; %bb.7153:                             ;   in Loop: Header=BB6_6801 Depth=2
	v_mov_b64_e32 v[10:11], v[52:53]
	v_bfe_u32 v2, v52, 23, 1
; %bb.7154:                             ;   in Loop: Header=BB6_6801 Depth=2
	s_or_b32 exec_lo, exec_lo, s7
	s_delay_alu instid0(VALU_DEP_2) | instskip(NEXT) | instid1(VALU_DEP_2)
	v_lshrrev_b64 v[6:7], 20, v[10:11]
	v_cmp_gt_i32_e32 vcc_lo, 16, v2
	v_min_i32_e32 v3, 15, v2
	v_cmp_eq_u32_e64 s7, 0, v2
	s_delay_alu instid0(VALU_DEP_4) | instskip(NEXT) | instid1(VALU_DEP_3)
	v_cndmask_b32_e32 v7, 0, v7, vcc_lo
	v_dual_cndmask_b32 v6, 7, v6 :: v_dual_lshlrev_b32 v3, 3, v3
	s_delay_alu instid0(VALU_DEP_1) | instskip(NEXT) | instid1(VALU_DEP_2)
	v_and_b32_e32 v3, 0xf8, v3
	v_cmp_eq_u64_e32 vcc_lo, 0, v[6:7]
	s_delay_alu instid0(VALU_DEP_2)
	v_and_or_b32 v2, v6, 7, v3
	s_and_b32 s7, s7, vcc_lo
	s_delay_alu instid0(VALU_DEP_1) | instid1(SALU_CYCLE_1)
	v_cndmask_b32_e64 v2, v2, 0, s7
	s_delay_alu instid0(VALU_DEP_1)
	v_or_b32_e32 v121, v2, v1
.LBB6_7155:                             ;   in Loop: Header=BB6_6801 Depth=2
	s_or_b32 exec_lo, exec_lo, s42
                                        ; implicit-def: $vgpr1
.LBB6_7156:                             ;   in Loop: Header=BB6_6801 Depth=2
	s_and_not1_saveexec_b32 s7, s41
; %bb.7157:                             ;   in Loop: Header=BB6_6801 Depth=2
	v_or_b32_e32 v121, 0x7e, v1
; %bb.7158:                             ;   in Loop: Header=BB6_6801 Depth=2
	s_or_b32 exec_lo, exec_lo, s7
                                        ; implicit-def: $vgpr1
.LBB6_7159:                             ;   in Loop: Header=BB6_6801 Depth=2
	s_and_not1_saveexec_b32 s7, s40
; %bb.7160:                             ;   in Loop: Header=BB6_6801 Depth=2
	v_or_b32_e32 v121, 0x7f, v1
; %bb.7161:                             ;   in Loop: Header=BB6_6801 Depth=2
	s_or_b32 exec_lo, exec_lo, s7
	v_mov_b32_e32 v2, 0
	s_mov_b32 s7, exec_lo
	v_cmpx_lt_u64_e64 s[12:13], v[12:13]
	s_cbranch_execz .LBB6_7169
; %bb.7162:                             ;   in Loop: Header=BB6_6801 Depth=2
	v_lshrrev_b32_e32 v1, 24, v13
	v_bfrev_b32_e32 v2, 1
	s_mov_b32 s40, exec_lo
	s_delay_alu instid0(VALU_DEP_2)
	v_cmpx_ne_u32_e32 0x80, v1
	s_cbranch_execz .LBB6_7168
; %bb.7163:                             ;   in Loop: Header=BB6_6801 Depth=2
	v_bfe_u32 v3, v13, 24, 7
	v_mov_b32_e32 v2, 0x7f800001
	s_mov_b32 s41, exec_lo
	s_delay_alu instid0(VALU_DEP_2)
	v_cmpx_ne_u32_e32 0x7f, v3
	s_cbranch_execz .LBB6_7167
; %bb.7164:                             ;   in Loop: Header=BB6_6801 Depth=2
	v_dual_lshrrev_b32 v2, 3, v3 :: v_dual_bitop2_b32 v52, 7, v1 bitop3:0x40
	s_mov_b32 s42, exec_lo
	v_cmpx_gt_u32_e32 8, v3
; %bb.7165:                             ;   in Loop: Header=BB6_6801 Depth=2
	s_delay_alu instid0(VALU_DEP_2) | instskip(NEXT) | instid1(VALU_DEP_1)
	v_clz_i32_u32_e32 v2, v52
	v_min_u32_e32 v2, 32, v2
	s_delay_alu instid0(VALU_DEP_1) | instskip(SKIP_1) | instid1(VALU_DEP_2)
	v_subrev_nc_u32_e32 v3, 28, v2
	v_sub_nc_u32_e32 v2, 29, v2
	v_lshlrev_b64_e32 v[6:7], v3, v[52:53]
	s_delay_alu instid0(VALU_DEP_1)
	v_and_b32_e32 v52, 7, v6
; %bb.7166:                             ;   in Loop: Header=BB6_6801 Depth=2
	s_or_b32 exec_lo, exec_lo, s42
	s_delay_alu instid0(VALU_DEP_1) | instskip(SKIP_1) | instid1(VALU_DEP_2)
	v_dual_lshlrev_b32 v1, 24, v1 :: v_dual_lshlrev_b32 v3, 20, v52
	v_lshl_add_u32 v2, v2, 23, 0x3c000000
	v_and_b32_e32 v1, 0x80000000, v1
	s_delay_alu instid0(VALU_DEP_1)
	v_or3_b32 v2, v3, v1, v2
.LBB6_7167:                             ;   in Loop: Header=BB6_6801 Depth=2
	s_or_b32 exec_lo, exec_lo, s41
.LBB6_7168:                             ;   in Loop: Header=BB6_6801 Depth=2
	s_delay_alu instid0(SALU_CYCLE_1)
	s_or_b32 exec_lo, exec_lo, s40
.LBB6_7169:                             ;   in Loop: Header=BB6_6801 Depth=2
	s_delay_alu instid0(SALU_CYCLE_1) | instskip(NEXT) | instid1(VALU_DEP_1)
	s_or_b32 exec_lo, exec_lo, s7
	v_mul_f32_e32 v2, s29, v2
                                        ; implicit-def: $vgpr64
	s_mov_b32 s7, exec_lo
	s_delay_alu instid0(VALU_DEP_1) | instskip(SKIP_1) | instid1(VALU_DEP_2)
	v_and_b32_e32 v52, 0x7f800000, v2
	v_lshrrev_b32_e32 v1, 24, v2
	v_cmpx_ne_u64_e32 0x7f800000, v[52:53]
	s_xor_b32 s40, exec_lo, s7
	s_cbranch_execz .LBB6_7183
; %bb.7170:                             ;   in Loop: Header=BB6_6801 Depth=2
	v_and_b32_e32 v52, 0x7fffffff, v2
	v_and_b32_e32 v1, 0x80, v1
                                        ; implicit-def: $vgpr64
	s_mov_b32 s7, exec_lo
	s_delay_alu instid0(VALU_DEP_2)
	v_cmpx_gt_u64_e32 0x43e00001, v[52:53]
	s_xor_b32 s41, exec_lo, s7
	s_cbranch_execz .LBB6_7180
; %bb.7171:                             ;   in Loop: Header=BB6_6801 Depth=2
	v_mov_b32_e32 v64, 0
	s_mov_b32 s42, exec_lo
	v_cmpx_ne_u32_e32 0, v2
	s_cbranch_execz .LBB6_7179
; %bb.7172:                             ;   in Loop: Header=BB6_6801 Depth=2
	v_bfe_u32 v3, v2, 23, 8
	v_and_b32_e32 v2, 0x7fffff, v2
	s_mov_b32 s43, exec_lo
	s_delay_alu instid0(VALU_DEP_2) | instskip(NEXT) | instid1(VALU_DEP_2)
	v_cmp_gt_u32_e32 vcc_lo, 0x7a, v3
	v_or_b32_e32 v8, 0x800000, v2
	v_sub_nc_u32_e32 v5, 0x79, v3
	s_delay_alu instid0(VALU_DEP_1) | instskip(SKIP_1) | instid1(VALU_DEP_2)
	v_cndmask_b32_e32 v5, 0, v5, vcc_lo
	v_cmp_eq_u32_e32 vcc_lo, 0, v3
	v_cndmask_b32_e64 v5, v5, 0x78, vcc_lo
	s_delay_alu instid0(VALU_DEP_1) | instskip(SKIP_1) | instid1(VALU_DEP_2)
	v_dual_cndmask_b32 v52, v8, v2, vcc_lo :: v_dual_add_nc_u32 v6, 20, v5
	v_add_nc_u32_e32 v9, 19, v5
	v_lshrrev_b64 v[10:11], v5, v[52:53]
	s_delay_alu instid0(VALU_DEP_3) | instskip(NEXT) | instid1(VALU_DEP_3)
	v_lshlrev_b64_e64 v[6:7], v6, -1
	v_lshlrev_b64_e64 v[8:9], v9, 1
	s_delay_alu instid0(VALU_DEP_3) | instskip(NEXT) | instid1(VALU_DEP_3)
	v_mov_b64_e32 v[12:13], v[10:11]
	v_bfi_b32 v7, v7, 0, 0
	s_delay_alu instid0(VALU_DEP_4) | instskip(NEXT) | instid1(VALU_DEP_1)
	v_bfi_b32 v6, v6, 0, v52
	v_cmpx_eq_u64_e64 v[6:7], v[8:9]
; %bb.7173:                             ;   in Loop: Header=BB6_6801 Depth=2
	v_bfe_u32 v52, v10, 20, 1
	s_delay_alu instid0(VALU_DEP_1) | instskip(NEXT) | instid1(VALU_DEP_1)
	v_add_nc_u64_e32 v[6:7], v[10:11], v[52:53]
	v_add_nc_u64_e32 v[12:13], -1, v[6:7]
; %bb.7174:                             ;   in Loop: Header=BB6_6801 Depth=2
	s_or_b32 exec_lo, exec_lo, s43
	v_add_nc_u32_e32 v2, 0xffffff81, v3
	v_lshrrev_b32_e32 v3, 23, v10
	s_mov_b32 s7, exec_lo
	s_delay_alu instid0(VALU_DEP_2) | instskip(NEXT) | instid1(VALU_DEP_1)
	v_cndmask_b32_e64 v2, v2, 0xffffff82, vcc_lo
	v_add3_u32 v3, v5, v2, v3
	v_and_b32_e32 v2, 0xfffff, v12
	s_delay_alu instid0(VALU_DEP_1) | instskip(NEXT) | instid1(VALU_DEP_1)
	v_dual_add_nc_u32 v5, 6, v3 :: v_dual_add_nc_u32 v52, v2, v10
                                        ; implicit-def: $vgpr10_vgpr11
                                        ; implicit-def: $vgpr2
	v_cmpx_ne_u32_e32 0, v5
	s_xor_b32 s7, exec_lo, s7
; %bb.7175:                             ;   in Loop: Header=BB6_6801 Depth=2
	s_delay_alu instid0(VALU_DEP_2) | instskip(SKIP_2) | instid1(VALU_DEP_2)
	v_cmp_lt_u64_e32 vcc_lo, 0xffffff, v[52:53]
	v_add_nc_u32_e32 v2, 7, v3
	v_cndmask_b32_e64 v3, 0, 1, vcc_lo
	v_cndmask_b32_e32 v2, v5, v2, vcc_lo
	s_delay_alu instid0(VALU_DEP_2)
	v_lshrrev_b64 v[10:11], v3, v[52:53]
; %bb.7176:                             ;   in Loop: Header=BB6_6801 Depth=2
	s_and_not1_saveexec_b32 s7, s7
; %bb.7177:                             ;   in Loop: Header=BB6_6801 Depth=2
	v_mov_b64_e32 v[10:11], v[52:53]
	v_bfe_u32 v2, v52, 23, 1
; %bb.7178:                             ;   in Loop: Header=BB6_6801 Depth=2
	s_or_b32 exec_lo, exec_lo, s7
	s_delay_alu instid0(VALU_DEP_2) | instskip(NEXT) | instid1(VALU_DEP_2)
	v_lshrrev_b64 v[6:7], 20, v[10:11]
	v_cmp_gt_i32_e32 vcc_lo, 16, v2
	v_min_i32_e32 v3, 15, v2
	v_cmp_eq_u32_e64 s7, 0, v2
	s_delay_alu instid0(VALU_DEP_4) | instskip(NEXT) | instid1(VALU_DEP_3)
	v_cndmask_b32_e32 v7, 0, v7, vcc_lo
	v_dual_cndmask_b32 v6, 7, v6 :: v_dual_lshlrev_b32 v3, 3, v3
	s_delay_alu instid0(VALU_DEP_1) | instskip(NEXT) | instid1(VALU_DEP_2)
	v_and_b32_e32 v3, 0xf8, v3
	v_cmp_eq_u64_e32 vcc_lo, 0, v[6:7]
	s_delay_alu instid0(VALU_DEP_2)
	v_and_or_b32 v2, v6, 7, v3
	s_and_b32 s7, s7, vcc_lo
	s_delay_alu instid0(VALU_DEP_1) | instid1(SALU_CYCLE_1)
	v_cndmask_b32_e64 v2, v2, 0, s7
	s_delay_alu instid0(VALU_DEP_1)
	v_or_b32_e32 v64, v2, v1
.LBB6_7179:                             ;   in Loop: Header=BB6_6801 Depth=2
	s_or_b32 exec_lo, exec_lo, s42
                                        ; implicit-def: $vgpr1
.LBB6_7180:                             ;   in Loop: Header=BB6_6801 Depth=2
	s_and_not1_saveexec_b32 s7, s41
; %bb.7181:                             ;   in Loop: Header=BB6_6801 Depth=2
	v_or_b32_e32 v64, 0x7e, v1
; %bb.7182:                             ;   in Loop: Header=BB6_6801 Depth=2
	s_or_b32 exec_lo, exec_lo, s7
                                        ; implicit-def: $vgpr1
.LBB6_7183:                             ;   in Loop: Header=BB6_6801 Depth=2
	s_and_not1_saveexec_b32 s7, s40
; %bb.7184:                             ;   in Loop: Header=BB6_6801 Depth=2
	v_or_b32_e32 v64, 0x7f, v1
; %bb.7185:                             ;   in Loop: Header=BB6_6801 Depth=2
	s_or_b32 exec_lo, exec_lo, s7
	global_load_b128 v[10:13], v[98:99], off offset:512 th:TH_LOAD_NT
	v_mov_b32_e32 v1, 0
	s_mov_b32 s7, exec_lo
	s_wait_loadcnt 0x0
	v_and_b32_e32 v2, 0xff, v10
	s_wait_xcnt 0x0
	s_delay_alu instid0(VALU_DEP_1)
	v_cmpx_ne_u16_e32 0, v2
	s_cbranch_execz .LBB6_7191
; %bb.7186:                             ;   in Loop: Header=BB6_6801 Depth=2
	v_bfrev_b32_e32 v1, 1
	s_mov_b32 s40, exec_lo
	v_cmpx_ne_u16_e32 0x80, v2
	s_cbranch_execz .LBB6_7190
; %bb.7187:                             ;   in Loop: Header=BB6_6801 Depth=2
	v_and_b32_e32 v2, 0x7f, v10
	v_mov_b32_e32 v1, 0x7f800001
	s_mov_b32 s41, exec_lo
	s_delay_alu instid0(VALU_DEP_2)
	v_cmpx_ne_u32_e32 0x7f, v2
	s_cbranch_execz .LBB6_7189
; %bb.7188:                             ;   in Loop: Header=BB6_6801 Depth=2
	v_cmp_gt_u32_e32 vcc_lo, 8, v2
	v_and_b32_e32 v1, 7, v10
	s_delay_alu instid0(VALU_DEP_1) | instskip(NEXT) | instid1(VALU_DEP_1)
	v_clz_i32_u32_e32 v1, v1
	v_min_u32_e32 v1, 32, v1
	v_lshrrev_b32_e32 v3, 3, v2
	s_delay_alu instid0(VALU_DEP_2) | instskip(SKIP_1) | instid1(VALU_DEP_2)
	v_subrev_nc_u32_e32 v5, 28, v1
	v_sub_nc_u32_e32 v1, 29, v1
	v_cndmask_b32_e32 v2, 0, v5, vcc_lo
	s_delay_alu instid0(VALU_DEP_2) | instskip(NEXT) | instid1(VALU_DEP_2)
	v_cndmask_b32_e32 v1, v3, v1, vcc_lo
	v_lshlrev_b64_e32 v[2:3], v2, v[10:11]
	v_lshlrev_b32_e32 v3, 24, v10
	s_delay_alu instid0(VALU_DEP_3) | instskip(NEXT) | instid1(VALU_DEP_2)
	v_lshl_add_u32 v1, v1, 23, 0x3c000000
	v_and_b32_e32 v3, 0x80000000, v3
	s_delay_alu instid0(VALU_DEP_4) | instskip(NEXT) | instid1(VALU_DEP_1)
	v_lshlrev_b32_e32 v2, 20, v2
	v_and_b32_e32 v2, 0x700000, v2
	s_delay_alu instid0(VALU_DEP_1)
	v_or3_b32 v1, v2, v3, v1
.LBB6_7189:                             ;   in Loop: Header=BB6_6801 Depth=2
	s_or_b32 exec_lo, exec_lo, s41
.LBB6_7190:                             ;   in Loop: Header=BB6_6801 Depth=2
	s_delay_alu instid0(SALU_CYCLE_1)
	s_or_b32 exec_lo, exec_lo, s40
.LBB6_7191:                             ;   in Loop: Header=BB6_6801 Depth=2
	s_delay_alu instid0(SALU_CYCLE_1) | instskip(NEXT) | instid1(VALU_DEP_1)
	s_or_b32 exec_lo, exec_lo, s7
	v_mul_f32_e32 v2, s29, v1
                                        ; implicit-def: $vgpr118
	s_mov_b32 s7, exec_lo
	s_delay_alu instid0(VALU_DEP_1) | instskip(SKIP_1) | instid1(VALU_DEP_2)
	v_and_b32_e32 v52, 0x7f800000, v2
	v_lshrrev_b32_e32 v1, 24, v2
	v_cmpx_ne_u64_e32 0x7f800000, v[52:53]
	s_xor_b32 s40, exec_lo, s7
	s_cbranch_execz .LBB6_7205
; %bb.7192:                             ;   in Loop: Header=BB6_6801 Depth=2
	v_and_b32_e32 v52, 0x7fffffff, v2
	v_and_b32_e32 v1, 0x80, v1
                                        ; implicit-def: $vgpr118
	s_mov_b32 s7, exec_lo
	s_delay_alu instid0(VALU_DEP_2)
	v_cmpx_gt_u64_e32 0x43e00001, v[52:53]
	s_xor_b32 s41, exec_lo, s7
	s_cbranch_execz .LBB6_7202
; %bb.7193:                             ;   in Loop: Header=BB6_6801 Depth=2
	v_mov_b32_e32 v118, 0
	s_mov_b32 s42, exec_lo
	v_cmpx_ne_u32_e32 0, v2
	s_cbranch_execz .LBB6_7201
; %bb.7194:                             ;   in Loop: Header=BB6_6801 Depth=2
	v_bfe_u32 v3, v2, 23, 8
	v_and_b32_e32 v2, 0x7fffff, v2
	s_mov_b32 s43, exec_lo
	s_delay_alu instid0(VALU_DEP_2) | instskip(NEXT) | instid1(VALU_DEP_2)
	v_cmp_gt_u32_e32 vcc_lo, 0x7a, v3
	v_or_b32_e32 v8, 0x800000, v2
	v_sub_nc_u32_e32 v5, 0x79, v3
	s_delay_alu instid0(VALU_DEP_1) | instskip(SKIP_1) | instid1(VALU_DEP_2)
	v_cndmask_b32_e32 v5, 0, v5, vcc_lo
	v_cmp_eq_u32_e32 vcc_lo, 0, v3
	v_cndmask_b32_e64 v5, v5, 0x78, vcc_lo
	s_delay_alu instid0(VALU_DEP_1) | instskip(SKIP_1) | instid1(VALU_DEP_2)
	v_dual_cndmask_b32 v52, v8, v2, vcc_lo :: v_dual_add_nc_u32 v6, 20, v5
	v_add_nc_u32_e32 v9, 19, v5
	v_lshrrev_b64 v[14:15], v5, v[52:53]
	s_delay_alu instid0(VALU_DEP_3) | instskip(NEXT) | instid1(VALU_DEP_3)
	v_lshlrev_b64_e64 v[6:7], v6, -1
	v_lshlrev_b64_e64 v[8:9], v9, 1
	s_delay_alu instid0(VALU_DEP_3) | instskip(NEXT) | instid1(VALU_DEP_3)
	v_mov_b64_e32 v[16:17], v[14:15]
	v_bfi_b32 v7, v7, 0, 0
	s_delay_alu instid0(VALU_DEP_4) | instskip(NEXT) | instid1(VALU_DEP_1)
	v_bfi_b32 v6, v6, 0, v52
	v_cmpx_eq_u64_e64 v[6:7], v[8:9]
; %bb.7195:                             ;   in Loop: Header=BB6_6801 Depth=2
	v_bfe_u32 v52, v14, 20, 1
	s_delay_alu instid0(VALU_DEP_1) | instskip(NEXT) | instid1(VALU_DEP_1)
	v_add_nc_u64_e32 v[6:7], v[14:15], v[52:53]
	v_add_nc_u64_e32 v[16:17], -1, v[6:7]
; %bb.7196:                             ;   in Loop: Header=BB6_6801 Depth=2
	s_or_b32 exec_lo, exec_lo, s43
	v_add_nc_u32_e32 v2, 0xffffff81, v3
	v_lshrrev_b32_e32 v3, 23, v14
	s_mov_b32 s7, exec_lo
	s_delay_alu instid0(VALU_DEP_2) | instskip(NEXT) | instid1(VALU_DEP_1)
	v_cndmask_b32_e64 v2, v2, 0xffffff82, vcc_lo
	v_add3_u32 v3, v5, v2, v3
	v_and_b32_e32 v2, 0xfffff, v16
	s_delay_alu instid0(VALU_DEP_1) | instskip(NEXT) | instid1(VALU_DEP_1)
	v_dual_add_nc_u32 v5, 6, v3 :: v_dual_add_nc_u32 v52, v2, v14
                                        ; implicit-def: $vgpr14_vgpr15
                                        ; implicit-def: $vgpr2
	v_cmpx_ne_u32_e32 0, v5
	s_xor_b32 s7, exec_lo, s7
; %bb.7197:                             ;   in Loop: Header=BB6_6801 Depth=2
	s_delay_alu instid0(VALU_DEP_2) | instskip(SKIP_2) | instid1(VALU_DEP_2)
	v_cmp_lt_u64_e32 vcc_lo, 0xffffff, v[52:53]
	v_add_nc_u32_e32 v2, 7, v3
	v_cndmask_b32_e64 v3, 0, 1, vcc_lo
	v_cndmask_b32_e32 v2, v5, v2, vcc_lo
	s_delay_alu instid0(VALU_DEP_2)
	v_lshrrev_b64 v[14:15], v3, v[52:53]
; %bb.7198:                             ;   in Loop: Header=BB6_6801 Depth=2
	s_and_not1_saveexec_b32 s7, s7
; %bb.7199:                             ;   in Loop: Header=BB6_6801 Depth=2
	v_mov_b64_e32 v[14:15], v[52:53]
	v_bfe_u32 v2, v52, 23, 1
; %bb.7200:                             ;   in Loop: Header=BB6_6801 Depth=2
	s_or_b32 exec_lo, exec_lo, s7
	s_delay_alu instid0(VALU_DEP_2) | instskip(NEXT) | instid1(VALU_DEP_2)
	v_lshrrev_b64 v[6:7], 20, v[14:15]
	v_cmp_gt_i32_e32 vcc_lo, 16, v2
	v_min_i32_e32 v3, 15, v2
	v_cmp_eq_u32_e64 s7, 0, v2
	s_delay_alu instid0(VALU_DEP_4) | instskip(NEXT) | instid1(VALU_DEP_3)
	v_cndmask_b32_e32 v7, 0, v7, vcc_lo
	v_dual_cndmask_b32 v6, 7, v6 :: v_dual_lshlrev_b32 v3, 3, v3
	s_delay_alu instid0(VALU_DEP_1) | instskip(NEXT) | instid1(VALU_DEP_2)
	v_and_b32_e32 v3, 0xf8, v3
	v_cmp_eq_u64_e32 vcc_lo, 0, v[6:7]
	s_delay_alu instid0(VALU_DEP_2)
	v_and_or_b32 v2, v6, 7, v3
	s_and_b32 s7, s7, vcc_lo
	s_delay_alu instid0(VALU_DEP_1) | instid1(SALU_CYCLE_1)
	v_cndmask_b32_e64 v2, v2, 0, s7
	s_delay_alu instid0(VALU_DEP_1)
	v_or_b32_e32 v118, v2, v1
.LBB6_7201:                             ;   in Loop: Header=BB6_6801 Depth=2
	s_or_b32 exec_lo, exec_lo, s42
                                        ; implicit-def: $vgpr1
.LBB6_7202:                             ;   in Loop: Header=BB6_6801 Depth=2
	s_and_not1_saveexec_b32 s7, s41
; %bb.7203:                             ;   in Loop: Header=BB6_6801 Depth=2
	v_or_b32_e32 v118, 0x7e, v1
; %bb.7204:                             ;   in Loop: Header=BB6_6801 Depth=2
	s_or_b32 exec_lo, exec_lo, s7
                                        ; implicit-def: $vgpr1
.LBB6_7205:                             ;   in Loop: Header=BB6_6801 Depth=2
	s_and_not1_saveexec_b32 s7, s40
; %bb.7206:                             ;   in Loop: Header=BB6_6801 Depth=2
	v_or_b32_e32 v118, 0x7f, v1
; %bb.7207:                             ;   in Loop: Header=BB6_6801 Depth=2
	s_or_b32 exec_lo, exec_lo, s7
	v_lshrrev_b16 v2, 8, v10
	v_mov_b32_e32 v1, 0
	s_mov_b32 s7, exec_lo
	s_delay_alu instid0(VALU_DEP_2)
	v_cmpx_ne_u16_e32 0, v2
	s_cbranch_execz .LBB6_7215
; %bb.7208:                             ;   in Loop: Header=BB6_6801 Depth=2
	v_bfrev_b32_e32 v1, 1
	s_mov_b32 s40, exec_lo
	v_cmpx_ne_u16_e32 0x80, v2
	s_cbranch_execz .LBB6_7214
; %bb.7209:                             ;   in Loop: Header=BB6_6801 Depth=2
	v_and_b32_e32 v3, 0xffff, v2
	v_mov_b32_e32 v1, 0x7f800001
	s_mov_b32 s41, exec_lo
	s_delay_alu instid0(VALU_DEP_2) | instskip(NEXT) | instid1(VALU_DEP_1)
	v_and_b32_e32 v2, 0x7f, v3
	v_cmpx_ne_u32_e32 0x7f, v2
	s_cbranch_execz .LBB6_7213
; %bb.7210:                             ;   in Loop: Header=BB6_6801 Depth=2
	v_dual_lshrrev_b32 v1, 3, v2 :: v_dual_bitop2_b32 v52, 7, v3 bitop3:0x40
	s_mov_b32 s42, exec_lo
	v_cmpx_gt_u32_e32 8, v2
; %bb.7211:                             ;   in Loop: Header=BB6_6801 Depth=2
	s_delay_alu instid0(VALU_DEP_2) | instskip(NEXT) | instid1(VALU_DEP_1)
	v_clz_i32_u32_e32 v1, v52
	v_min_u32_e32 v1, 32, v1
	s_delay_alu instid0(VALU_DEP_1) | instskip(NEXT) | instid1(VALU_DEP_1)
	v_subrev_nc_u32_e32 v2, 28, v1
	v_lshlrev_b64_e32 v[2:3], v2, v[52:53]
	s_delay_alu instid0(VALU_DEP_1)
	v_dual_sub_nc_u32 v1, 29, v1 :: v_dual_bitop2_b32 v52, 7, v2 bitop3:0x40
; %bb.7212:                             ;   in Loop: Header=BB6_6801 Depth=2
	s_or_b32 exec_lo, exec_lo, s42
	s_delay_alu instid0(VALU_DEP_1) | instskip(NEXT) | instid1(VALU_DEP_2)
	v_dual_lshlrev_b32 v2, 16, v10 :: v_dual_lshlrev_b32 v3, 20, v52
	v_lshl_add_u32 v1, v1, 23, 0x3c000000
	s_delay_alu instid0(VALU_DEP_2) | instskip(NEXT) | instid1(VALU_DEP_1)
	v_and_b32_e32 v2, 0x80000000, v2
	v_or3_b32 v1, v3, v2, v1
.LBB6_7213:                             ;   in Loop: Header=BB6_6801 Depth=2
	s_or_b32 exec_lo, exec_lo, s41
.LBB6_7214:                             ;   in Loop: Header=BB6_6801 Depth=2
	s_delay_alu instid0(SALU_CYCLE_1)
	s_or_b32 exec_lo, exec_lo, s40
.LBB6_7215:                             ;   in Loop: Header=BB6_6801 Depth=2
	s_delay_alu instid0(SALU_CYCLE_1) | instskip(NEXT) | instid1(VALU_DEP_1)
	s_or_b32 exec_lo, exec_lo, s7
	v_mul_f32_e32 v2, s29, v1
                                        ; implicit-def: $vgpr27
	s_mov_b32 s7, exec_lo
	s_delay_alu instid0(VALU_DEP_1) | instskip(SKIP_1) | instid1(VALU_DEP_2)
	v_and_b32_e32 v52, 0x7f800000, v2
	v_lshrrev_b32_e32 v1, 24, v2
	v_cmpx_ne_u64_e32 0x7f800000, v[52:53]
	s_xor_b32 s40, exec_lo, s7
	s_cbranch_execz .LBB6_7229
; %bb.7216:                             ;   in Loop: Header=BB6_6801 Depth=2
	v_and_b32_e32 v52, 0x7fffffff, v2
	v_and_b32_e32 v1, 0x80, v1
                                        ; implicit-def: $vgpr27
	s_mov_b32 s7, exec_lo
	s_delay_alu instid0(VALU_DEP_2)
	v_cmpx_gt_u64_e32 0x43e00001, v[52:53]
	s_xor_b32 s41, exec_lo, s7
	s_cbranch_execz .LBB6_7226
; %bb.7217:                             ;   in Loop: Header=BB6_6801 Depth=2
	v_mov_b32_e32 v27, 0
	s_mov_b32 s42, exec_lo
	v_cmpx_ne_u32_e32 0, v2
	s_cbranch_execz .LBB6_7225
; %bb.7218:                             ;   in Loop: Header=BB6_6801 Depth=2
	v_bfe_u32 v3, v2, 23, 8
	v_and_b32_e32 v2, 0x7fffff, v2
	s_mov_b32 s43, exec_lo
	s_delay_alu instid0(VALU_DEP_2) | instskip(NEXT) | instid1(VALU_DEP_2)
	v_cmp_gt_u32_e32 vcc_lo, 0x7a, v3
	v_or_b32_e32 v8, 0x800000, v2
	v_sub_nc_u32_e32 v5, 0x79, v3
	s_delay_alu instid0(VALU_DEP_1) | instskip(SKIP_1) | instid1(VALU_DEP_2)
	v_cndmask_b32_e32 v5, 0, v5, vcc_lo
	v_cmp_eq_u32_e32 vcc_lo, 0, v3
	v_cndmask_b32_e64 v5, v5, 0x78, vcc_lo
	s_delay_alu instid0(VALU_DEP_1) | instskip(SKIP_1) | instid1(VALU_DEP_2)
	v_dual_cndmask_b32 v52, v8, v2, vcc_lo :: v_dual_add_nc_u32 v6, 20, v5
	v_add_nc_u32_e32 v9, 19, v5
	v_lshrrev_b64 v[14:15], v5, v[52:53]
	s_delay_alu instid0(VALU_DEP_3) | instskip(NEXT) | instid1(VALU_DEP_3)
	v_lshlrev_b64_e64 v[6:7], v6, -1
	v_lshlrev_b64_e64 v[8:9], v9, 1
	s_delay_alu instid0(VALU_DEP_3) | instskip(NEXT) | instid1(VALU_DEP_3)
	v_mov_b64_e32 v[16:17], v[14:15]
	v_bfi_b32 v7, v7, 0, 0
	s_delay_alu instid0(VALU_DEP_4) | instskip(NEXT) | instid1(VALU_DEP_1)
	v_bfi_b32 v6, v6, 0, v52
	v_cmpx_eq_u64_e64 v[6:7], v[8:9]
; %bb.7219:                             ;   in Loop: Header=BB6_6801 Depth=2
	v_bfe_u32 v52, v14, 20, 1
	s_delay_alu instid0(VALU_DEP_1) | instskip(NEXT) | instid1(VALU_DEP_1)
	v_add_nc_u64_e32 v[6:7], v[14:15], v[52:53]
	v_add_nc_u64_e32 v[16:17], -1, v[6:7]
; %bb.7220:                             ;   in Loop: Header=BB6_6801 Depth=2
	s_or_b32 exec_lo, exec_lo, s43
	v_add_nc_u32_e32 v2, 0xffffff81, v3
	v_lshrrev_b32_e32 v3, 23, v14
	s_mov_b32 s7, exec_lo
	s_delay_alu instid0(VALU_DEP_2) | instskip(NEXT) | instid1(VALU_DEP_1)
	v_cndmask_b32_e64 v2, v2, 0xffffff82, vcc_lo
	v_add3_u32 v3, v5, v2, v3
	v_and_b32_e32 v2, 0xfffff, v16
	s_delay_alu instid0(VALU_DEP_1) | instskip(NEXT) | instid1(VALU_DEP_1)
	v_dual_add_nc_u32 v5, 6, v3 :: v_dual_add_nc_u32 v52, v2, v14
                                        ; implicit-def: $vgpr14_vgpr15
                                        ; implicit-def: $vgpr2
	v_cmpx_ne_u32_e32 0, v5
	s_xor_b32 s7, exec_lo, s7
; %bb.7221:                             ;   in Loop: Header=BB6_6801 Depth=2
	s_delay_alu instid0(VALU_DEP_2) | instskip(SKIP_2) | instid1(VALU_DEP_2)
	v_cmp_lt_u64_e32 vcc_lo, 0xffffff, v[52:53]
	v_add_nc_u32_e32 v2, 7, v3
	v_cndmask_b32_e64 v3, 0, 1, vcc_lo
	v_cndmask_b32_e32 v2, v5, v2, vcc_lo
	s_delay_alu instid0(VALU_DEP_2)
	v_lshrrev_b64 v[14:15], v3, v[52:53]
; %bb.7222:                             ;   in Loop: Header=BB6_6801 Depth=2
	s_and_not1_saveexec_b32 s7, s7
; %bb.7223:                             ;   in Loop: Header=BB6_6801 Depth=2
	v_mov_b64_e32 v[14:15], v[52:53]
	v_bfe_u32 v2, v52, 23, 1
; %bb.7224:                             ;   in Loop: Header=BB6_6801 Depth=2
	s_or_b32 exec_lo, exec_lo, s7
	s_delay_alu instid0(VALU_DEP_2) | instskip(NEXT) | instid1(VALU_DEP_2)
	v_lshrrev_b64 v[6:7], 20, v[14:15]
	v_cmp_gt_i32_e32 vcc_lo, 16, v2
	v_min_i32_e32 v3, 15, v2
	v_cmp_eq_u32_e64 s7, 0, v2
	s_delay_alu instid0(VALU_DEP_4) | instskip(NEXT) | instid1(VALU_DEP_3)
	v_cndmask_b32_e32 v7, 0, v7, vcc_lo
	v_dual_cndmask_b32 v6, 7, v6 :: v_dual_lshlrev_b32 v3, 3, v3
	s_delay_alu instid0(VALU_DEP_1) | instskip(NEXT) | instid1(VALU_DEP_2)
	v_and_b32_e32 v3, 0xf8, v3
	v_cmp_eq_u64_e32 vcc_lo, 0, v[6:7]
	s_delay_alu instid0(VALU_DEP_2)
	v_and_or_b32 v2, v6, 7, v3
	s_and_b32 s7, s7, vcc_lo
	s_delay_alu instid0(VALU_DEP_1) | instid1(SALU_CYCLE_1)
	v_cndmask_b32_e64 v2, v2, 0, s7
	s_delay_alu instid0(VALU_DEP_1)
	v_or_b32_e32 v27, v2, v1
.LBB6_7225:                             ;   in Loop: Header=BB6_6801 Depth=2
	s_or_b32 exec_lo, exec_lo, s42
                                        ; implicit-def: $vgpr1
.LBB6_7226:                             ;   in Loop: Header=BB6_6801 Depth=2
	s_and_not1_saveexec_b32 s7, s41
; %bb.7227:                             ;   in Loop: Header=BB6_6801 Depth=2
	v_or_b32_e32 v27, 0x7e, v1
; %bb.7228:                             ;   in Loop: Header=BB6_6801 Depth=2
	s_or_b32 exec_lo, exec_lo, s7
                                        ; implicit-def: $vgpr1
.LBB6_7229:                             ;   in Loop: Header=BB6_6801 Depth=2
	s_and_not1_saveexec_b32 s7, s40
; %bb.7230:                             ;   in Loop: Header=BB6_6801 Depth=2
	v_or_b32_e32 v27, 0x7f, v1
; %bb.7231:                             ;   in Loop: Header=BB6_6801 Depth=2
	s_or_b32 exec_lo, exec_lo, s7
	v_dual_mov_b32 v2, 0 :: v_dual_lshrrev_b32 v1, 16, v10
	s_mov_b32 s7, exec_lo
	s_delay_alu instid0(VALU_DEP_1) | instskip(NEXT) | instid1(VALU_DEP_1)
	v_and_b32_e32 v3, 0xff, v1
	v_cmpx_ne_u16_e32 0, v3
	s_cbranch_execz .LBB6_7239
; %bb.7232:                             ;   in Loop: Header=BB6_6801 Depth=2
	v_bfrev_b32_e32 v2, 1
	s_mov_b32 s40, exec_lo
	v_cmpx_ne_u16_e32 0x80, v3
	s_cbranch_execz .LBB6_7238
; %bb.7233:                             ;   in Loop: Header=BB6_6801 Depth=2
	v_bfe_u32 v3, v10, 16, 7
	v_mov_b32_e32 v2, 0x7f800001
	s_mov_b32 s41, exec_lo
	s_delay_alu instid0(VALU_DEP_2)
	v_cmpx_ne_u32_e32 0x7f, v3
	s_cbranch_execz .LBB6_7237
; %bb.7234:                             ;   in Loop: Header=BB6_6801 Depth=2
	v_dual_lshrrev_b32 v2, 3, v3 :: v_dual_bitop2_b32 v52, 7, v1 bitop3:0x40
	s_mov_b32 s42, exec_lo
	v_cmpx_gt_u32_e32 8, v3
; %bb.7235:                             ;   in Loop: Header=BB6_6801 Depth=2
	s_delay_alu instid0(VALU_DEP_2) | instskip(NEXT) | instid1(VALU_DEP_1)
	v_clz_i32_u32_e32 v2, v52
	v_min_u32_e32 v2, 32, v2
	s_delay_alu instid0(VALU_DEP_1) | instskip(SKIP_1) | instid1(VALU_DEP_2)
	v_subrev_nc_u32_e32 v3, 28, v2
	v_sub_nc_u32_e32 v2, 29, v2
	v_lshlrev_b64_e32 v[6:7], v3, v[52:53]
	s_delay_alu instid0(VALU_DEP_1)
	v_and_b32_e32 v52, 7, v6
; %bb.7236:                             ;   in Loop: Header=BB6_6801 Depth=2
	s_or_b32 exec_lo, exec_lo, s42
	s_delay_alu instid0(VALU_DEP_1) | instskip(SKIP_1) | instid1(VALU_DEP_2)
	v_dual_lshlrev_b32 v1, 24, v1 :: v_dual_lshlrev_b32 v3, 20, v52
	v_lshl_add_u32 v2, v2, 23, 0x3c000000
	v_and_b32_e32 v1, 0x80000000, v1
	s_delay_alu instid0(VALU_DEP_1)
	v_or3_b32 v2, v3, v1, v2
.LBB6_7237:                             ;   in Loop: Header=BB6_6801 Depth=2
	s_or_b32 exec_lo, exec_lo, s41
.LBB6_7238:                             ;   in Loop: Header=BB6_6801 Depth=2
	s_delay_alu instid0(SALU_CYCLE_1)
	s_or_b32 exec_lo, exec_lo, s40
.LBB6_7239:                             ;   in Loop: Header=BB6_6801 Depth=2
	s_delay_alu instid0(SALU_CYCLE_1) | instskip(NEXT) | instid1(VALU_DEP_1)
	s_or_b32 exec_lo, exec_lo, s7
	v_mul_f32_e32 v2, s29, v2
                                        ; implicit-def: $vgpr117
	s_mov_b32 s7, exec_lo
	s_delay_alu instid0(VALU_DEP_1) | instskip(SKIP_1) | instid1(VALU_DEP_2)
	v_and_b32_e32 v52, 0x7f800000, v2
	v_lshrrev_b32_e32 v1, 24, v2
	v_cmpx_ne_u64_e32 0x7f800000, v[52:53]
	s_xor_b32 s40, exec_lo, s7
	s_cbranch_execz .LBB6_7253
; %bb.7240:                             ;   in Loop: Header=BB6_6801 Depth=2
	v_and_b32_e32 v52, 0x7fffffff, v2
	v_and_b32_e32 v1, 0x80, v1
                                        ; implicit-def: $vgpr117
	s_mov_b32 s7, exec_lo
	s_delay_alu instid0(VALU_DEP_2)
	v_cmpx_gt_u64_e32 0x43e00001, v[52:53]
	s_xor_b32 s41, exec_lo, s7
	s_cbranch_execz .LBB6_7250
; %bb.7241:                             ;   in Loop: Header=BB6_6801 Depth=2
	v_mov_b32_e32 v117, 0
	s_mov_b32 s42, exec_lo
	v_cmpx_ne_u32_e32 0, v2
	s_cbranch_execz .LBB6_7249
; %bb.7242:                             ;   in Loop: Header=BB6_6801 Depth=2
	v_bfe_u32 v3, v2, 23, 8
	v_and_b32_e32 v2, 0x7fffff, v2
	s_mov_b32 s43, exec_lo
	s_delay_alu instid0(VALU_DEP_2) | instskip(NEXT) | instid1(VALU_DEP_2)
	v_cmp_gt_u32_e32 vcc_lo, 0x7a, v3
	v_or_b32_e32 v8, 0x800000, v2
	v_sub_nc_u32_e32 v5, 0x79, v3
	s_delay_alu instid0(VALU_DEP_1) | instskip(SKIP_1) | instid1(VALU_DEP_2)
	v_cndmask_b32_e32 v5, 0, v5, vcc_lo
	v_cmp_eq_u32_e32 vcc_lo, 0, v3
	v_cndmask_b32_e64 v5, v5, 0x78, vcc_lo
	s_delay_alu instid0(VALU_DEP_1) | instskip(SKIP_1) | instid1(VALU_DEP_2)
	v_dual_cndmask_b32 v52, v8, v2, vcc_lo :: v_dual_add_nc_u32 v6, 20, v5
	v_add_nc_u32_e32 v9, 19, v5
	v_lshrrev_b64 v[14:15], v5, v[52:53]
	s_delay_alu instid0(VALU_DEP_3) | instskip(NEXT) | instid1(VALU_DEP_3)
	v_lshlrev_b64_e64 v[6:7], v6, -1
	v_lshlrev_b64_e64 v[8:9], v9, 1
	s_delay_alu instid0(VALU_DEP_3) | instskip(NEXT) | instid1(VALU_DEP_3)
	v_mov_b64_e32 v[16:17], v[14:15]
	v_bfi_b32 v7, v7, 0, 0
	s_delay_alu instid0(VALU_DEP_4) | instskip(NEXT) | instid1(VALU_DEP_1)
	v_bfi_b32 v6, v6, 0, v52
	v_cmpx_eq_u64_e64 v[6:7], v[8:9]
; %bb.7243:                             ;   in Loop: Header=BB6_6801 Depth=2
	v_bfe_u32 v52, v14, 20, 1
	s_delay_alu instid0(VALU_DEP_1) | instskip(NEXT) | instid1(VALU_DEP_1)
	v_add_nc_u64_e32 v[6:7], v[14:15], v[52:53]
	v_add_nc_u64_e32 v[16:17], -1, v[6:7]
; %bb.7244:                             ;   in Loop: Header=BB6_6801 Depth=2
	s_or_b32 exec_lo, exec_lo, s43
	v_add_nc_u32_e32 v2, 0xffffff81, v3
	v_lshrrev_b32_e32 v3, 23, v14
	s_mov_b32 s7, exec_lo
	s_delay_alu instid0(VALU_DEP_2) | instskip(NEXT) | instid1(VALU_DEP_1)
	v_cndmask_b32_e64 v2, v2, 0xffffff82, vcc_lo
	v_add3_u32 v3, v5, v2, v3
	v_and_b32_e32 v2, 0xfffff, v16
	s_delay_alu instid0(VALU_DEP_1) | instskip(NEXT) | instid1(VALU_DEP_1)
	v_dual_add_nc_u32 v5, 6, v3 :: v_dual_add_nc_u32 v52, v2, v14
                                        ; implicit-def: $vgpr14_vgpr15
                                        ; implicit-def: $vgpr2
	v_cmpx_ne_u32_e32 0, v5
	s_xor_b32 s7, exec_lo, s7
; %bb.7245:                             ;   in Loop: Header=BB6_6801 Depth=2
	s_delay_alu instid0(VALU_DEP_2) | instskip(SKIP_2) | instid1(VALU_DEP_2)
	v_cmp_lt_u64_e32 vcc_lo, 0xffffff, v[52:53]
	v_add_nc_u32_e32 v2, 7, v3
	v_cndmask_b32_e64 v3, 0, 1, vcc_lo
	v_cndmask_b32_e32 v2, v5, v2, vcc_lo
	s_delay_alu instid0(VALU_DEP_2)
	v_lshrrev_b64 v[14:15], v3, v[52:53]
; %bb.7246:                             ;   in Loop: Header=BB6_6801 Depth=2
	s_and_not1_saveexec_b32 s7, s7
; %bb.7247:                             ;   in Loop: Header=BB6_6801 Depth=2
	v_mov_b64_e32 v[14:15], v[52:53]
	v_bfe_u32 v2, v52, 23, 1
; %bb.7248:                             ;   in Loop: Header=BB6_6801 Depth=2
	s_or_b32 exec_lo, exec_lo, s7
	s_delay_alu instid0(VALU_DEP_2) | instskip(NEXT) | instid1(VALU_DEP_2)
	v_lshrrev_b64 v[6:7], 20, v[14:15]
	v_cmp_gt_i32_e32 vcc_lo, 16, v2
	v_min_i32_e32 v3, 15, v2
	v_cmp_eq_u32_e64 s7, 0, v2
	s_delay_alu instid0(VALU_DEP_4) | instskip(NEXT) | instid1(VALU_DEP_3)
	v_cndmask_b32_e32 v7, 0, v7, vcc_lo
	v_dual_cndmask_b32 v6, 7, v6 :: v_dual_lshlrev_b32 v3, 3, v3
	s_delay_alu instid0(VALU_DEP_1) | instskip(NEXT) | instid1(VALU_DEP_2)
	v_and_b32_e32 v3, 0xf8, v3
	v_cmp_eq_u64_e32 vcc_lo, 0, v[6:7]
	s_delay_alu instid0(VALU_DEP_2)
	v_and_or_b32 v2, v6, 7, v3
	s_and_b32 s7, s7, vcc_lo
	s_delay_alu instid0(VALU_DEP_1) | instid1(SALU_CYCLE_1)
	v_cndmask_b32_e64 v2, v2, 0, s7
	s_delay_alu instid0(VALU_DEP_1)
	v_or_b32_e32 v117, v2, v1
.LBB6_7249:                             ;   in Loop: Header=BB6_6801 Depth=2
	s_or_b32 exec_lo, exec_lo, s42
                                        ; implicit-def: $vgpr1
.LBB6_7250:                             ;   in Loop: Header=BB6_6801 Depth=2
	s_and_not1_saveexec_b32 s7, s41
; %bb.7251:                             ;   in Loop: Header=BB6_6801 Depth=2
	v_or_b32_e32 v117, 0x7e, v1
; %bb.7252:                             ;   in Loop: Header=BB6_6801 Depth=2
	s_or_b32 exec_lo, exec_lo, s7
                                        ; implicit-def: $vgpr1
.LBB6_7253:                             ;   in Loop: Header=BB6_6801 Depth=2
	s_and_not1_saveexec_b32 s7, s40
; %bb.7254:                             ;   in Loop: Header=BB6_6801 Depth=2
	v_or_b32_e32 v117, 0x7f, v1
; %bb.7255:                             ;   in Loop: Header=BB6_6801 Depth=2
	s_or_b32 exec_lo, exec_lo, s7
	v_mov_b32_e32 v2, 0
	s_mov_b32 s7, exec_lo
	v_cmpx_lt_u32_e32 0xffffff, v10
	s_cbranch_execz .LBB6_7263
; %bb.7256:                             ;   in Loop: Header=BB6_6801 Depth=2
	v_lshrrev_b32_e32 v1, 24, v10
	v_bfrev_b32_e32 v2, 1
	s_mov_b32 s40, exec_lo
	s_delay_alu instid0(VALU_DEP_2)
	v_cmpx_ne_u32_e32 0x80, v1
	s_cbranch_execz .LBB6_7262
; %bb.7257:                             ;   in Loop: Header=BB6_6801 Depth=2
	v_bfe_u32 v3, v10, 24, 7
	v_mov_b32_e32 v2, 0x7f800001
	s_mov_b32 s41, exec_lo
	s_delay_alu instid0(VALU_DEP_2)
	v_cmpx_ne_u32_e32 0x7f, v3
	s_cbranch_execz .LBB6_7261
; %bb.7258:                             ;   in Loop: Header=BB6_6801 Depth=2
	v_dual_lshrrev_b32 v2, 3, v3 :: v_dual_bitop2_b32 v52, 7, v1 bitop3:0x40
	s_mov_b32 s42, exec_lo
	v_cmpx_gt_u32_e32 8, v3
; %bb.7259:                             ;   in Loop: Header=BB6_6801 Depth=2
	s_delay_alu instid0(VALU_DEP_2) | instskip(NEXT) | instid1(VALU_DEP_1)
	v_clz_i32_u32_e32 v2, v52
	v_min_u32_e32 v2, 32, v2
	s_delay_alu instid0(VALU_DEP_1) | instskip(SKIP_1) | instid1(VALU_DEP_2)
	v_subrev_nc_u32_e32 v3, 28, v2
	v_sub_nc_u32_e32 v2, 29, v2
	v_lshlrev_b64_e32 v[6:7], v3, v[52:53]
	s_delay_alu instid0(VALU_DEP_1)
	v_and_b32_e32 v52, 7, v6
; %bb.7260:                             ;   in Loop: Header=BB6_6801 Depth=2
	s_or_b32 exec_lo, exec_lo, s42
	s_delay_alu instid0(VALU_DEP_1) | instskip(SKIP_1) | instid1(VALU_DEP_2)
	v_dual_lshlrev_b32 v1, 24, v1 :: v_dual_lshlrev_b32 v3, 20, v52
	v_lshl_add_u32 v2, v2, 23, 0x3c000000
	v_and_b32_e32 v1, 0x80000000, v1
	s_delay_alu instid0(VALU_DEP_1)
	v_or3_b32 v2, v3, v1, v2
.LBB6_7261:                             ;   in Loop: Header=BB6_6801 Depth=2
	s_or_b32 exec_lo, exec_lo, s41
.LBB6_7262:                             ;   in Loop: Header=BB6_6801 Depth=2
	s_delay_alu instid0(SALU_CYCLE_1)
	s_or_b32 exec_lo, exec_lo, s40
.LBB6_7263:                             ;   in Loop: Header=BB6_6801 Depth=2
	s_delay_alu instid0(SALU_CYCLE_1) | instskip(NEXT) | instid1(VALU_DEP_1)
	s_or_b32 exec_lo, exec_lo, s7
	v_mul_f32_e32 v3, s29, v2
                                        ; implicit-def: $vgpr1
	s_mov_b32 s7, exec_lo
	s_delay_alu instid0(VALU_DEP_1) | instskip(SKIP_1) | instid1(VALU_DEP_2)
	v_and_b32_e32 v52, 0x7f800000, v3
	v_lshrrev_b32_e32 v2, 24, v3
	v_cmpx_ne_u64_e32 0x7f800000, v[52:53]
	s_xor_b32 s40, exec_lo, s7
	s_cbranch_execz .LBB6_7277
; %bb.7264:                             ;   in Loop: Header=BB6_6801 Depth=2
	v_and_b32_e32 v52, 0x7fffffff, v3
	v_and_b32_e32 v2, 0x80, v2
                                        ; implicit-def: $vgpr1
	s_mov_b32 s7, exec_lo
	s_delay_alu instid0(VALU_DEP_2)
	v_cmpx_gt_u64_e32 0x43e00001, v[52:53]
	s_xor_b32 s41, exec_lo, s7
	s_cbranch_execz .LBB6_7274
; %bb.7265:                             ;   in Loop: Header=BB6_6801 Depth=2
	v_mov_b32_e32 v1, 0
	s_mov_b32 s42, exec_lo
	v_cmpx_ne_u32_e32 0, v3
	s_cbranch_execz .LBB6_7273
; %bb.7266:                             ;   in Loop: Header=BB6_6801 Depth=2
	v_bfe_u32 v1, v3, 23, 8
	v_and_b32_e32 v3, 0x7fffff, v3
	s_mov_b32 s43, exec_lo
	s_delay_alu instid0(VALU_DEP_2) | instskip(NEXT) | instid1(VALU_DEP_2)
	v_cmp_gt_u32_e32 vcc_lo, 0x7a, v1
	v_or_b32_e32 v8, 0x800000, v3
	v_sub_nc_u32_e32 v5, 0x79, v1
	s_delay_alu instid0(VALU_DEP_1) | instskip(SKIP_1) | instid1(VALU_DEP_2)
	v_cndmask_b32_e32 v5, 0, v5, vcc_lo
	v_cmp_eq_u32_e32 vcc_lo, 0, v1
	v_cndmask_b32_e64 v5, v5, 0x78, vcc_lo
	s_delay_alu instid0(VALU_DEP_1) | instskip(SKIP_1) | instid1(VALU_DEP_2)
	v_dual_cndmask_b32 v52, v8, v3, vcc_lo :: v_dual_add_nc_u32 v6, 20, v5
	v_add_nc_u32_e32 v9, 19, v5
	v_lshrrev_b64 v[14:15], v5, v[52:53]
	s_delay_alu instid0(VALU_DEP_3) | instskip(NEXT) | instid1(VALU_DEP_3)
	v_lshlrev_b64_e64 v[6:7], v6, -1
	v_lshlrev_b64_e64 v[8:9], v9, 1
	s_delay_alu instid0(VALU_DEP_3) | instskip(NEXT) | instid1(VALU_DEP_3)
	v_mov_b64_e32 v[16:17], v[14:15]
	v_bfi_b32 v7, v7, 0, 0
	s_delay_alu instid0(VALU_DEP_4) | instskip(NEXT) | instid1(VALU_DEP_1)
	v_bfi_b32 v6, v6, 0, v52
	v_cmpx_eq_u64_e64 v[6:7], v[8:9]
; %bb.7267:                             ;   in Loop: Header=BB6_6801 Depth=2
	v_bfe_u32 v52, v14, 20, 1
	s_delay_alu instid0(VALU_DEP_1) | instskip(NEXT) | instid1(VALU_DEP_1)
	v_add_nc_u64_e32 v[6:7], v[14:15], v[52:53]
	v_add_nc_u64_e32 v[16:17], -1, v[6:7]
; %bb.7268:                             ;   in Loop: Header=BB6_6801 Depth=2
	s_or_b32 exec_lo, exec_lo, s43
	v_add_nc_u32_e32 v1, 0xffffff81, v1
	v_lshrrev_b32_e32 v3, 23, v14
	s_mov_b32 s7, exec_lo
	s_delay_alu instid0(VALU_DEP_2) | instskip(NEXT) | instid1(VALU_DEP_1)
	v_cndmask_b32_e64 v1, v1, 0xffffff82, vcc_lo
	v_add3_u32 v3, v5, v1, v3
	v_and_b32_e32 v1, 0xfffff, v16
	s_delay_alu instid0(VALU_DEP_1) | instskip(NEXT) | instid1(VALU_DEP_1)
	v_dual_add_nc_u32 v5, 6, v3 :: v_dual_add_nc_u32 v52, v1, v14
                                        ; implicit-def: $vgpr14_vgpr15
                                        ; implicit-def: $vgpr1
	v_cmpx_ne_u32_e32 0, v5
	s_xor_b32 s7, exec_lo, s7
; %bb.7269:                             ;   in Loop: Header=BB6_6801 Depth=2
	s_delay_alu instid0(VALU_DEP_2) | instskip(SKIP_2) | instid1(VALU_DEP_2)
	v_cmp_lt_u64_e32 vcc_lo, 0xffffff, v[52:53]
	v_add_nc_u32_e32 v1, 7, v3
	v_cndmask_b32_e64 v3, 0, 1, vcc_lo
	v_cndmask_b32_e32 v1, v5, v1, vcc_lo
	s_delay_alu instid0(VALU_DEP_2)
	v_lshrrev_b64 v[14:15], v3, v[52:53]
; %bb.7270:                             ;   in Loop: Header=BB6_6801 Depth=2
	s_and_not1_saveexec_b32 s7, s7
; %bb.7271:                             ;   in Loop: Header=BB6_6801 Depth=2
	v_mov_b64_e32 v[14:15], v[52:53]
	v_bfe_u32 v1, v52, 23, 1
; %bb.7272:                             ;   in Loop: Header=BB6_6801 Depth=2
	s_or_b32 exec_lo, exec_lo, s7
	s_delay_alu instid0(VALU_DEP_2) | instskip(NEXT) | instid1(VALU_DEP_2)
	v_lshrrev_b64 v[6:7], 20, v[14:15]
	v_cmp_gt_i32_e32 vcc_lo, 16, v1
	v_min_i32_e32 v3, 15, v1
	v_cmp_eq_u32_e64 s7, 0, v1
	s_delay_alu instid0(VALU_DEP_4) | instskip(NEXT) | instid1(VALU_DEP_3)
	v_cndmask_b32_e32 v7, 0, v7, vcc_lo
	v_dual_cndmask_b32 v6, 7, v6 :: v_dual_lshlrev_b32 v3, 3, v3
	s_delay_alu instid0(VALU_DEP_1) | instskip(NEXT) | instid1(VALU_DEP_2)
	v_and_b32_e32 v3, 0xf8, v3
	v_cmp_eq_u64_e32 vcc_lo, 0, v[6:7]
	s_delay_alu instid0(VALU_DEP_2)
	v_and_or_b32 v1, v6, 7, v3
	s_and_b32 s7, s7, vcc_lo
	s_delay_alu instid0(VALU_DEP_1) | instid1(SALU_CYCLE_1)
	v_cndmask_b32_e64 v1, v1, 0, s7
	s_delay_alu instid0(VALU_DEP_1)
	v_or_b32_e32 v1, v1, v2
.LBB6_7273:                             ;   in Loop: Header=BB6_6801 Depth=2
	s_or_b32 exec_lo, exec_lo, s42
                                        ; implicit-def: $vgpr2
.LBB6_7274:                             ;   in Loop: Header=BB6_6801 Depth=2
	s_and_not1_saveexec_b32 s7, s41
; %bb.7275:                             ;   in Loop: Header=BB6_6801 Depth=2
	v_or_b32_e32 v1, 0x7e, v2
; %bb.7276:                             ;   in Loop: Header=BB6_6801 Depth=2
	s_or_b32 exec_lo, exec_lo, s7
                                        ; implicit-def: $vgpr2
.LBB6_7277:                             ;   in Loop: Header=BB6_6801 Depth=2
	s_and_not1_saveexec_b32 s7, s40
; %bb.7278:                             ;   in Loop: Header=BB6_6801 Depth=2
	v_or_b32_e32 v1, 0x7f, v2
; %bb.7279:                             ;   in Loop: Header=BB6_6801 Depth=2
	s_or_b32 exec_lo, exec_lo, s7
	v_and_b32_e32 v3, 0xff, v11
	v_dual_mov_b32 v52, v11 :: v_dual_mov_b32 v2, 0
	s_mov_b32 s7, exec_lo
	s_delay_alu instid0(VALU_DEP_2)
	v_cmpx_ne_u16_e32 0, v3
	s_cbranch_execz .LBB6_7285
; %bb.7280:                             ;   in Loop: Header=BB6_6801 Depth=2
	v_bfrev_b32_e32 v2, 1
	s_mov_b32 s40, exec_lo
	v_cmpx_ne_u16_e32 0x80, v3
	s_cbranch_execz .LBB6_7284
; %bb.7281:                             ;   in Loop: Header=BB6_6801 Depth=2
	v_and_b32_e32 v3, 0x7f, v11
	v_mov_b32_e32 v2, 0x7f800001
	s_mov_b32 s41, exec_lo
	s_delay_alu instid0(VALU_DEP_2)
	v_cmpx_ne_u32_e32 0x7f, v3
	s_cbranch_execz .LBB6_7283
; %bb.7282:                             ;   in Loop: Header=BB6_6801 Depth=2
	v_and_b32_e32 v2, 7, v11
	v_cmp_gt_u32_e32 vcc_lo, 8, v3
	s_delay_alu instid0(VALU_DEP_2) | instskip(NEXT) | instid1(VALU_DEP_1)
	v_clz_i32_u32_e32 v2, v2
	v_min_u32_e32 v2, 32, v2
	v_lshrrev_b32_e32 v5, 3, v3
	s_delay_alu instid0(VALU_DEP_2) | instskip(SKIP_1) | instid1(VALU_DEP_1)
	v_subrev_nc_u32_e32 v6, 28, v2
	v_sub_nc_u32_e32 v2, 29, v2
	v_cndmask_b32_e32 v5, v5, v2, vcc_lo
	s_delay_alu instid0(VALU_DEP_3) | instskip(NEXT) | instid1(VALU_DEP_1)
	v_cndmask_b32_e32 v2, 0, v6, vcc_lo
	v_lshlrev_b64_e32 v[2:3], v2, v[52:53]
	v_lshlrev_b32_e32 v3, 24, v52
	s_delay_alu instid0(VALU_DEP_1) | instskip(NEXT) | instid1(VALU_DEP_3)
	v_and_b32_e32 v3, 0x80000000, v3
	v_lshlrev_b32_e32 v2, 20, v2
	v_lshl_add_u32 v5, v5, 23, 0x3c000000
	s_delay_alu instid0(VALU_DEP_2) | instskip(NEXT) | instid1(VALU_DEP_1)
	v_and_b32_e32 v2, 0x700000, v2
	v_or3_b32 v2, v2, v3, v5
.LBB6_7283:                             ;   in Loop: Header=BB6_6801 Depth=2
	s_or_b32 exec_lo, exec_lo, s41
.LBB6_7284:                             ;   in Loop: Header=BB6_6801 Depth=2
	s_delay_alu instid0(SALU_CYCLE_1)
	s_or_b32 exec_lo, exec_lo, s40
.LBB6_7285:                             ;   in Loop: Header=BB6_6801 Depth=2
	s_delay_alu instid0(SALU_CYCLE_1) | instskip(NEXT) | instid1(VALU_DEP_1)
	s_or_b32 exec_lo, exec_lo, s7
	v_dual_mul_f32 v3, s29, v2 :: v_dual_mov_b32 v7, v53
                                        ; implicit-def: $vgpr124
	s_mov_b32 s7, exec_lo
	s_delay_alu instid0(VALU_DEP_1) | instskip(SKIP_1) | instid1(VALU_DEP_2)
	v_and_b32_e32 v6, 0x7f800000, v3
	v_lshrrev_b32_e32 v2, 24, v3
	v_cmpx_ne_u64_e32 0x7f800000, v[6:7]
	s_xor_b32 s40, exec_lo, s7
	s_cbranch_execz .LBB6_7299
; %bb.7286:                             ;   in Loop: Header=BB6_6801 Depth=2
	v_and_b32_e32 v6, 0x7fffffff, v3
	v_mov_b32_e32 v7, v53
	v_and_b32_e32 v2, 0x80, v2
                                        ; implicit-def: $vgpr124
	s_mov_b32 s7, exec_lo
	s_delay_alu instid0(VALU_DEP_2)
	v_cmpx_gt_u64_e32 0x43e00001, v[6:7]
	s_xor_b32 s41, exec_lo, s7
	s_cbranch_execz .LBB6_7296
; %bb.7287:                             ;   in Loop: Header=BB6_6801 Depth=2
	v_mov_b32_e32 v124, 0
	s_mov_b32 s42, exec_lo
	v_cmpx_ne_u32_e32 0, v3
	s_cbranch_execz .LBB6_7295
; %bb.7288:                             ;   in Loop: Header=BB6_6801 Depth=2
	v_bfe_u32 v5, v3, 23, 8
	v_and_b32_e32 v3, 0x7fffff, v3
	s_delay_alu instid0(VALU_DEP_2) | instskip(SKIP_1) | instid1(VALU_DEP_3)
	v_dual_mov_b32 v15, v53 :: v_dual_sub_nc_u32 v6, 0x79, v5
	v_cmp_gt_u32_e32 vcc_lo, 0x7a, v5
	v_or_b32_e32 v14, 0x800000, v3
	s_delay_alu instid0(VALU_DEP_3) | instskip(SKIP_1) | instid1(VALU_DEP_3)
	v_cndmask_b32_e32 v6, 0, v6, vcc_lo
	v_cmp_eq_u32_e32 vcc_lo, 0, v5
	v_cndmask_b32_e32 v14, v14, v3, vcc_lo
	s_delay_alu instid0(VALU_DEP_3) | instskip(NEXT) | instid1(VALU_DEP_1)
	v_cndmask_b32_e64 v6, v6, 0x78, vcc_lo
	v_add_nc_u32_e32 v7, 20, v6
	s_delay_alu instid0(VALU_DEP_1) | instskip(SKIP_1) | instid1(VALU_DEP_1)
	v_lshlrev_b64_e64 v[8:9], v7, -1
	v_add_nc_u32_e32 v7, 19, v6
	v_lshlrev_b64_e64 v[16:17], v7, 1
	s_delay_alu instid0(VALU_DEP_3) | instskip(SKIP_2) | instid1(VALU_DEP_1)
	v_bfi_b32 v8, v8, 0, v14
	v_lshrrev_b64 v[14:15], v6, v[14:15]
	v_bfi_b32 v9, v9, 0, 0
	v_cmp_eq_u64_e64 s7, v[8:9], v[16:17]
	s_delay_alu instid0(VALU_DEP_3)
	v_mov_b64_e32 v[16:17], v[14:15]
	s_and_saveexec_b32 s43, s7
; %bb.7289:                             ;   in Loop: Header=BB6_6801 Depth=2
	v_bfe_u32 v8, v14, 20, 1
	v_mov_b32_e32 v9, v53
	s_delay_alu instid0(VALU_DEP_1) | instskip(NEXT) | instid1(VALU_DEP_1)
	v_add_nc_u64_e32 v[8:9], v[14:15], v[8:9]
	v_add_nc_u64_e32 v[16:17], -1, v[8:9]
; %bb.7290:                             ;   in Loop: Header=BB6_6801 Depth=2
	s_or_b32 exec_lo, exec_lo, s43
	v_add_nc_u32_e32 v3, 0xffffff81, v5
	v_lshrrev_b32_e32 v5, 23, v14
	s_mov_b32 s7, exec_lo
	v_mov_b32_e32 v15, v53
	s_delay_alu instid0(VALU_DEP_3) | instskip(NEXT) | instid1(VALU_DEP_1)
	v_cndmask_b32_e64 v3, v3, 0xffffff82, vcc_lo
	v_add3_u32 v5, v6, v3, v5
	v_and_b32_e32 v3, 0xfffff, v16
	s_delay_alu instid0(VALU_DEP_1) | instskip(NEXT) | instid1(VALU_DEP_1)
	v_dual_add_nc_u32 v6, 6, v5 :: v_dual_add_nc_u32 v14, v3, v14
                                        ; implicit-def: $vgpr3
	v_cmpx_ne_u32_e32 0, v6
	s_xor_b32 s7, exec_lo, s7
; %bb.7291:                             ;   in Loop: Header=BB6_6801 Depth=2
	s_delay_alu instid0(VALU_DEP_2) | instskip(SKIP_2) | instid1(VALU_DEP_2)
	v_cmp_lt_u64_e32 vcc_lo, 0xffffff, v[14:15]
	v_add_nc_u32_e32 v3, 7, v5
	v_cndmask_b32_e64 v5, 0, 1, vcc_lo
	v_cndmask_b32_e32 v3, v6, v3, vcc_lo
	s_delay_alu instid0(VALU_DEP_2)
	v_lshrrev_b64 v[14:15], v5, v[14:15]
; %bb.7292:                             ;   in Loop: Header=BB6_6801 Depth=2
	s_and_not1_saveexec_b32 s7, s7
; %bb.7293:                             ;   in Loop: Header=BB6_6801 Depth=2
	s_delay_alu instid0(VALU_DEP_1)
	v_bfe_u32 v3, v14, 23, 1
; %bb.7294:                             ;   in Loop: Header=BB6_6801 Depth=2
	s_or_b32 exec_lo, exec_lo, s7
	s_delay_alu instid0(VALU_DEP_2) | instskip(NEXT) | instid1(VALU_DEP_2)
	v_lshrrev_b64 v[6:7], 20, v[14:15]
	v_cmp_gt_i32_e32 vcc_lo, 16, v3
	v_min_i32_e32 v5, 15, v3
	v_cmp_eq_u32_e64 s7, 0, v3
	s_delay_alu instid0(VALU_DEP_2) | instskip(SKIP_1) | instid1(VALU_DEP_2)
	v_dual_cndmask_b32 v6, 7, v6 :: v_dual_lshlrev_b32 v5, 3, v5
	v_cndmask_b32_e32 v7, 0, v7, vcc_lo
	v_and_b32_e32 v5, 0xf8, v5
	s_delay_alu instid0(VALU_DEP_2) | instskip(NEXT) | instid1(VALU_DEP_2)
	v_cmp_eq_u64_e32 vcc_lo, 0, v[6:7]
	v_and_or_b32 v3, v6, 7, v5
	s_and_b32 s7, s7, vcc_lo
	s_delay_alu instid0(VALU_DEP_1) | instid1(SALU_CYCLE_1)
	v_cndmask_b32_e64 v3, v3, 0, s7
	s_delay_alu instid0(VALU_DEP_1)
	v_or_b32_e32 v124, v3, v2
.LBB6_7295:                             ;   in Loop: Header=BB6_6801 Depth=2
	s_or_b32 exec_lo, exec_lo, s42
                                        ; implicit-def: $vgpr2
.LBB6_7296:                             ;   in Loop: Header=BB6_6801 Depth=2
	s_and_not1_saveexec_b32 s7, s41
; %bb.7297:                             ;   in Loop: Header=BB6_6801 Depth=2
	v_or_b32_e32 v124, 0x7e, v2
; %bb.7298:                             ;   in Loop: Header=BB6_6801 Depth=2
	s_or_b32 exec_lo, exec_lo, s7
                                        ; implicit-def: $vgpr2
.LBB6_7299:                             ;   in Loop: Header=BB6_6801 Depth=2
	s_and_not1_saveexec_b32 s7, s40
; %bb.7300:                             ;   in Loop: Header=BB6_6801 Depth=2
	v_or_b32_e32 v124, 0x7f, v2
; %bb.7301:                             ;   in Loop: Header=BB6_6801 Depth=2
	s_or_b32 exec_lo, exec_lo, s7
	v_lshrrev_b16 v3, 8, v52
	v_mov_b32_e32 v2, 0
	s_mov_b32 s7, exec_lo
	s_delay_alu instid0(VALU_DEP_2)
	v_cmpx_ne_u16_e32 0, v3
	s_cbranch_execz .LBB6_7309
; %bb.7302:                             ;   in Loop: Header=BB6_6801 Depth=2
	v_bfrev_b32_e32 v2, 1
	s_mov_b32 s40, exec_lo
	v_cmpx_ne_u16_e32 0x80, v3
	s_cbranch_execz .LBB6_7308
; %bb.7303:                             ;   in Loop: Header=BB6_6801 Depth=2
	v_and_b32_e32 v5, 0xffff, v3
	v_mov_b32_e32 v2, 0x7f800001
	s_mov_b32 s41, exec_lo
	s_delay_alu instid0(VALU_DEP_2) | instskip(NEXT) | instid1(VALU_DEP_1)
	v_and_b32_e32 v3, 0x7f, v5
	v_cmpx_ne_u32_e32 0x7f, v3
	s_cbranch_execz .LBB6_7307
; %bb.7304:                             ;   in Loop: Header=BB6_6801 Depth=2
	v_dual_mov_b32 v15, v53 :: v_dual_bitop2_b32 v14, 7, v5 bitop3:0x40
	v_lshrrev_b32_e32 v2, 3, v3
	s_mov_b32 s42, exec_lo
	v_cmpx_gt_u32_e32 8, v3
; %bb.7305:                             ;   in Loop: Header=BB6_6801 Depth=2
	s_delay_alu instid0(VALU_DEP_3) | instskip(NEXT) | instid1(VALU_DEP_1)
	v_clz_i32_u32_e32 v2, v14
	v_min_u32_e32 v2, 32, v2
	s_delay_alu instid0(VALU_DEP_1) | instskip(SKIP_1) | instid1(VALU_DEP_2)
	v_subrev_nc_u32_e32 v3, 28, v2
	v_sub_nc_u32_e32 v2, 29, v2
	v_lshlrev_b64_e32 v[6:7], v3, v[14:15]
	s_delay_alu instid0(VALU_DEP_1)
	v_and_b32_e32 v14, 7, v6
; %bb.7306:                             ;   in Loop: Header=BB6_6801 Depth=2
	s_or_b32 exec_lo, exec_lo, s42
	s_delay_alu instid0(VALU_DEP_1) | instskip(SKIP_1) | instid1(VALU_DEP_2)
	v_dual_lshlrev_b32 v3, 16, v52 :: v_dual_lshlrev_b32 v5, 20, v14
	v_lshl_add_u32 v2, v2, 23, 0x3c000000
	v_and_b32_e32 v3, 0x80000000, v3
	s_delay_alu instid0(VALU_DEP_1)
	v_or3_b32 v2, v5, v3, v2
.LBB6_7307:                             ;   in Loop: Header=BB6_6801 Depth=2
	s_or_b32 exec_lo, exec_lo, s41
.LBB6_7308:                             ;   in Loop: Header=BB6_6801 Depth=2
	s_delay_alu instid0(SALU_CYCLE_1)
	s_or_b32 exec_lo, exec_lo, s40
.LBB6_7309:                             ;   in Loop: Header=BB6_6801 Depth=2
	s_delay_alu instid0(SALU_CYCLE_1) | instskip(NEXT) | instid1(VALU_DEP_1)
	s_or_b32 exec_lo, exec_lo, s7
	v_mul_f32_e32 v3, s29, v2
                                        ; implicit-def: $vgpr125
	s_mov_b32 s7, exec_lo
	s_delay_alu instid0(VALU_DEP_1) | instskip(SKIP_1) | instid1(VALU_DEP_2)
	v_and_b32_e32 v52, 0x7f800000, v3
	v_lshrrev_b32_e32 v2, 24, v3
	v_cmpx_ne_u64_e32 0x7f800000, v[52:53]
	s_xor_b32 s40, exec_lo, s7
	s_cbranch_execz .LBB6_7323
; %bb.7310:                             ;   in Loop: Header=BB6_6801 Depth=2
	v_and_b32_e32 v52, 0x7fffffff, v3
	v_and_b32_e32 v2, 0x80, v2
                                        ; implicit-def: $vgpr125
	s_mov_b32 s7, exec_lo
	s_delay_alu instid0(VALU_DEP_2)
	v_cmpx_gt_u64_e32 0x43e00001, v[52:53]
	s_xor_b32 s41, exec_lo, s7
	s_cbranch_execz .LBB6_7320
; %bb.7311:                             ;   in Loop: Header=BB6_6801 Depth=2
	v_mov_b32_e32 v125, 0
	s_mov_b32 s42, exec_lo
	v_cmpx_ne_u32_e32 0, v3
	s_cbranch_execz .LBB6_7319
; %bb.7312:                             ;   in Loop: Header=BB6_6801 Depth=2
	v_bfe_u32 v5, v3, 23, 8
	v_and_b32_e32 v3, 0x7fffff, v3
	s_delay_alu instid0(VALU_DEP_2) | instskip(SKIP_1) | instid1(VALU_DEP_3)
	v_sub_nc_u32_e32 v6, 0x79, v5
	v_cmp_gt_u32_e32 vcc_lo, 0x7a, v5
	v_or_b32_e32 v14, 0x800000, v3
	s_delay_alu instid0(VALU_DEP_3) | instskip(SKIP_1) | instid1(VALU_DEP_3)
	v_cndmask_b32_e32 v6, 0, v6, vcc_lo
	v_cmp_eq_u32_e32 vcc_lo, 0, v5
	v_cndmask_b32_e32 v52, v14, v3, vcc_lo
	s_delay_alu instid0(VALU_DEP_3) | instskip(NEXT) | instid1(VALU_DEP_1)
	v_cndmask_b32_e64 v6, v6, 0x78, vcc_lo
	v_add_nc_u32_e32 v7, 20, v6
	s_delay_alu instid0(VALU_DEP_3) | instskip(NEXT) | instid1(VALU_DEP_2)
	v_lshrrev_b64 v[14:15], v6, v[52:53]
	v_lshlrev_b64_e64 v[8:9], v7, -1
	v_add_nc_u32_e32 v7, 19, v6
	s_delay_alu instid0(VALU_DEP_1) | instskip(NEXT) | instid1(VALU_DEP_3)
	v_lshlrev_b64_e64 v[16:17], v7, 1
	v_bfi_b32 v9, v9, 0, 0
	s_delay_alu instid0(VALU_DEP_4) | instskip(NEXT) | instid1(VALU_DEP_1)
	v_bfi_b32 v8, v8, 0, v52
	v_cmp_eq_u64_e64 s7, v[8:9], v[16:17]
	v_mov_b64_e32 v[16:17], v[14:15]
	s_and_saveexec_b32 s43, s7
; %bb.7313:                             ;   in Loop: Header=BB6_6801 Depth=2
	v_bfe_u32 v52, v14, 20, 1
	s_delay_alu instid0(VALU_DEP_1) | instskip(NEXT) | instid1(VALU_DEP_1)
	v_add_nc_u64_e32 v[8:9], v[14:15], v[52:53]
	v_add_nc_u64_e32 v[16:17], -1, v[8:9]
; %bb.7314:                             ;   in Loop: Header=BB6_6801 Depth=2
	s_or_b32 exec_lo, exec_lo, s43
	v_add_nc_u32_e32 v3, 0xffffff81, v5
	v_lshrrev_b32_e32 v5, 23, v14
	s_mov_b32 s7, exec_lo
	s_delay_alu instid0(VALU_DEP_2) | instskip(NEXT) | instid1(VALU_DEP_1)
	v_cndmask_b32_e64 v3, v3, 0xffffff82, vcc_lo
	v_add3_u32 v5, v6, v3, v5
	v_and_b32_e32 v3, 0xfffff, v16
	s_delay_alu instid0(VALU_DEP_1) | instskip(NEXT) | instid1(VALU_DEP_1)
	v_dual_add_nc_u32 v6, 6, v5 :: v_dual_add_nc_u32 v52, v3, v14
                                        ; implicit-def: $vgpr14_vgpr15
                                        ; implicit-def: $vgpr3
	v_cmpx_ne_u32_e32 0, v6
	s_xor_b32 s7, exec_lo, s7
; %bb.7315:                             ;   in Loop: Header=BB6_6801 Depth=2
	s_delay_alu instid0(VALU_DEP_2) | instskip(SKIP_2) | instid1(VALU_DEP_2)
	v_cmp_lt_u64_e32 vcc_lo, 0xffffff, v[52:53]
	v_add_nc_u32_e32 v3, 7, v5
	v_cndmask_b32_e64 v5, 0, 1, vcc_lo
	v_cndmask_b32_e32 v3, v6, v3, vcc_lo
	s_delay_alu instid0(VALU_DEP_2)
	v_lshrrev_b64 v[14:15], v5, v[52:53]
; %bb.7316:                             ;   in Loop: Header=BB6_6801 Depth=2
	s_and_not1_saveexec_b32 s7, s7
; %bb.7317:                             ;   in Loop: Header=BB6_6801 Depth=2
	v_mov_b64_e32 v[14:15], v[52:53]
	v_bfe_u32 v3, v52, 23, 1
; %bb.7318:                             ;   in Loop: Header=BB6_6801 Depth=2
	s_or_b32 exec_lo, exec_lo, s7
	s_delay_alu instid0(VALU_DEP_2) | instskip(NEXT) | instid1(VALU_DEP_2)
	v_lshrrev_b64 v[6:7], 20, v[14:15]
	v_cmp_gt_i32_e32 vcc_lo, 16, v3
	v_min_i32_e32 v5, 15, v3
	v_cmp_eq_u32_e64 s7, 0, v3
	s_delay_alu instid0(VALU_DEP_2) | instskip(SKIP_1) | instid1(VALU_DEP_2)
	v_dual_cndmask_b32 v6, 7, v6 :: v_dual_lshlrev_b32 v5, 3, v5
	v_cndmask_b32_e32 v7, 0, v7, vcc_lo
	v_and_b32_e32 v5, 0xf8, v5
	s_delay_alu instid0(VALU_DEP_2) | instskip(NEXT) | instid1(VALU_DEP_2)
	v_cmp_eq_u64_e32 vcc_lo, 0, v[6:7]
	v_and_or_b32 v3, v6, 7, v5
	s_and_b32 s7, s7, vcc_lo
	s_delay_alu instid0(VALU_DEP_1) | instid1(SALU_CYCLE_1)
	v_cndmask_b32_e64 v3, v3, 0, s7
	s_delay_alu instid0(VALU_DEP_1)
	v_or_b32_e32 v125, v3, v2
.LBB6_7319:                             ;   in Loop: Header=BB6_6801 Depth=2
	s_or_b32 exec_lo, exec_lo, s42
                                        ; implicit-def: $vgpr2
.LBB6_7320:                             ;   in Loop: Header=BB6_6801 Depth=2
	s_and_not1_saveexec_b32 s7, s41
; %bb.7321:                             ;   in Loop: Header=BB6_6801 Depth=2
	v_or_b32_e32 v125, 0x7e, v2
; %bb.7322:                             ;   in Loop: Header=BB6_6801 Depth=2
	s_or_b32 exec_lo, exec_lo, s7
                                        ; implicit-def: $vgpr2
.LBB6_7323:                             ;   in Loop: Header=BB6_6801 Depth=2
	s_and_not1_saveexec_b32 s7, s40
; %bb.7324:                             ;   in Loop: Header=BB6_6801 Depth=2
	v_or_b32_e32 v125, 0x7f, v2
; %bb.7325:                             ;   in Loop: Header=BB6_6801 Depth=2
	s_or_b32 exec_lo, exec_lo, s7
	v_dual_mov_b32 v3, 0 :: v_dual_lshrrev_b32 v2, 16, v11
	s_mov_b32 s7, exec_lo
	s_delay_alu instid0(VALU_DEP_1) | instskip(NEXT) | instid1(VALU_DEP_1)
	v_and_b32_e32 v5, 0xff, v2
	v_cmpx_ne_u16_e32 0, v5
	s_cbranch_execz .LBB6_7333
; %bb.7326:                             ;   in Loop: Header=BB6_6801 Depth=2
	v_bfrev_b32_e32 v3, 1
	s_mov_b32 s40, exec_lo
	v_cmpx_ne_u16_e32 0x80, v5
	s_cbranch_execz .LBB6_7332
; %bb.7327:                             ;   in Loop: Header=BB6_6801 Depth=2
	v_bfe_u32 v5, v11, 16, 7
	v_mov_b32_e32 v3, 0x7f800001
	s_mov_b32 s41, exec_lo
	s_delay_alu instid0(VALU_DEP_2)
	v_cmpx_ne_u32_e32 0x7f, v5
	s_cbranch_execz .LBB6_7331
; %bb.7328:                             ;   in Loop: Header=BB6_6801 Depth=2
	v_dual_lshrrev_b32 v3, 3, v5 :: v_dual_bitop2_b32 v52, 7, v2 bitop3:0x40
	s_mov_b32 s42, exec_lo
	v_cmpx_gt_u32_e32 8, v5
; %bb.7329:                             ;   in Loop: Header=BB6_6801 Depth=2
	s_delay_alu instid0(VALU_DEP_2) | instskip(NEXT) | instid1(VALU_DEP_1)
	v_clz_i32_u32_e32 v3, v52
	v_min_u32_e32 v3, 32, v3
	s_delay_alu instid0(VALU_DEP_1) | instskip(NEXT) | instid1(VALU_DEP_1)
	v_subrev_nc_u32_e32 v5, 28, v3
	v_lshlrev_b64_e32 v[6:7], v5, v[52:53]
	s_delay_alu instid0(VALU_DEP_1)
	v_dual_sub_nc_u32 v3, 29, v3 :: v_dual_bitop2_b32 v52, 7, v6 bitop3:0x40
; %bb.7330:                             ;   in Loop: Header=BB6_6801 Depth=2
	s_or_b32 exec_lo, exec_lo, s42
	s_delay_alu instid0(VALU_DEP_1) | instskip(NEXT) | instid1(VALU_DEP_2)
	v_dual_lshlrev_b32 v2, 24, v2 :: v_dual_lshlrev_b32 v5, 20, v52
	v_lshl_add_u32 v3, v3, 23, 0x3c000000
	s_delay_alu instid0(VALU_DEP_2) | instskip(NEXT) | instid1(VALU_DEP_1)
	v_and_b32_e32 v2, 0x80000000, v2
	v_or3_b32 v3, v5, v2, v3
.LBB6_7331:                             ;   in Loop: Header=BB6_6801 Depth=2
	s_or_b32 exec_lo, exec_lo, s41
.LBB6_7332:                             ;   in Loop: Header=BB6_6801 Depth=2
	s_delay_alu instid0(SALU_CYCLE_1)
	s_or_b32 exec_lo, exec_lo, s40
.LBB6_7333:                             ;   in Loop: Header=BB6_6801 Depth=2
	s_delay_alu instid0(SALU_CYCLE_1) | instskip(NEXT) | instid1(VALU_DEP_1)
	s_or_b32 exec_lo, exec_lo, s7
	v_mul_f32_e32 v3, s29, v3
                                        ; implicit-def: $vgpr26
	s_mov_b32 s7, exec_lo
	s_delay_alu instid0(VALU_DEP_1) | instskip(SKIP_1) | instid1(VALU_DEP_2)
	v_and_b32_e32 v52, 0x7f800000, v3
	v_lshrrev_b32_e32 v2, 24, v3
	v_cmpx_ne_u64_e32 0x7f800000, v[52:53]
	s_xor_b32 s40, exec_lo, s7
	s_cbranch_execz .LBB6_7347
; %bb.7334:                             ;   in Loop: Header=BB6_6801 Depth=2
	v_and_b32_e32 v52, 0x7fffffff, v3
	v_and_b32_e32 v2, 0x80, v2
                                        ; implicit-def: $vgpr26
	s_mov_b32 s7, exec_lo
	s_delay_alu instid0(VALU_DEP_2)
	v_cmpx_gt_u64_e32 0x43e00001, v[52:53]
	s_xor_b32 s41, exec_lo, s7
	s_cbranch_execz .LBB6_7344
; %bb.7335:                             ;   in Loop: Header=BB6_6801 Depth=2
	v_mov_b32_e32 v26, 0
	s_mov_b32 s42, exec_lo
	v_cmpx_ne_u32_e32 0, v3
	s_cbranch_execz .LBB6_7343
; %bb.7336:                             ;   in Loop: Header=BB6_6801 Depth=2
	v_bfe_u32 v5, v3, 23, 8
	v_and_b32_e32 v3, 0x7fffff, v3
	s_delay_alu instid0(VALU_DEP_2) | instskip(SKIP_1) | instid1(VALU_DEP_3)
	v_sub_nc_u32_e32 v6, 0x79, v5
	v_cmp_gt_u32_e32 vcc_lo, 0x7a, v5
	v_or_b32_e32 v14, 0x800000, v3
	s_delay_alu instid0(VALU_DEP_3) | instskip(SKIP_1) | instid1(VALU_DEP_3)
	v_cndmask_b32_e32 v6, 0, v6, vcc_lo
	v_cmp_eq_u32_e32 vcc_lo, 0, v5
	v_cndmask_b32_e32 v52, v14, v3, vcc_lo
	s_delay_alu instid0(VALU_DEP_3) | instskip(NEXT) | instid1(VALU_DEP_1)
	v_cndmask_b32_e64 v6, v6, 0x78, vcc_lo
	v_add_nc_u32_e32 v7, 20, v6
	s_delay_alu instid0(VALU_DEP_3) | instskip(NEXT) | instid1(VALU_DEP_2)
	v_lshrrev_b64 v[14:15], v6, v[52:53]
	v_lshlrev_b64_e64 v[8:9], v7, -1
	v_add_nc_u32_e32 v7, 19, v6
	s_delay_alu instid0(VALU_DEP_1) | instskip(NEXT) | instid1(VALU_DEP_3)
	v_lshlrev_b64_e64 v[16:17], v7, 1
	v_bfi_b32 v9, v9, 0, 0
	s_delay_alu instid0(VALU_DEP_4) | instskip(NEXT) | instid1(VALU_DEP_1)
	v_bfi_b32 v8, v8, 0, v52
	v_cmp_eq_u64_e64 s7, v[8:9], v[16:17]
	v_mov_b64_e32 v[16:17], v[14:15]
	s_and_saveexec_b32 s43, s7
; %bb.7337:                             ;   in Loop: Header=BB6_6801 Depth=2
	v_bfe_u32 v52, v14, 20, 1
	s_delay_alu instid0(VALU_DEP_1) | instskip(NEXT) | instid1(VALU_DEP_1)
	v_add_nc_u64_e32 v[8:9], v[14:15], v[52:53]
	v_add_nc_u64_e32 v[16:17], -1, v[8:9]
; %bb.7338:                             ;   in Loop: Header=BB6_6801 Depth=2
	s_or_b32 exec_lo, exec_lo, s43
	v_add_nc_u32_e32 v3, 0xffffff81, v5
	v_lshrrev_b32_e32 v5, 23, v14
	s_mov_b32 s7, exec_lo
	s_delay_alu instid0(VALU_DEP_2) | instskip(NEXT) | instid1(VALU_DEP_1)
	v_cndmask_b32_e64 v3, v3, 0xffffff82, vcc_lo
	v_add3_u32 v5, v6, v3, v5
	v_and_b32_e32 v3, 0xfffff, v16
	s_delay_alu instid0(VALU_DEP_1) | instskip(NEXT) | instid1(VALU_DEP_1)
	v_dual_add_nc_u32 v6, 6, v5 :: v_dual_add_nc_u32 v52, v3, v14
                                        ; implicit-def: $vgpr14_vgpr15
                                        ; implicit-def: $vgpr3
	v_cmpx_ne_u32_e32 0, v6
	s_xor_b32 s7, exec_lo, s7
; %bb.7339:                             ;   in Loop: Header=BB6_6801 Depth=2
	s_delay_alu instid0(VALU_DEP_2) | instskip(SKIP_2) | instid1(VALU_DEP_2)
	v_cmp_lt_u64_e32 vcc_lo, 0xffffff, v[52:53]
	v_add_nc_u32_e32 v3, 7, v5
	v_cndmask_b32_e64 v5, 0, 1, vcc_lo
	v_cndmask_b32_e32 v3, v6, v3, vcc_lo
	s_delay_alu instid0(VALU_DEP_2)
	v_lshrrev_b64 v[14:15], v5, v[52:53]
; %bb.7340:                             ;   in Loop: Header=BB6_6801 Depth=2
	s_and_not1_saveexec_b32 s7, s7
; %bb.7341:                             ;   in Loop: Header=BB6_6801 Depth=2
	v_mov_b64_e32 v[14:15], v[52:53]
	v_bfe_u32 v3, v52, 23, 1
; %bb.7342:                             ;   in Loop: Header=BB6_6801 Depth=2
	s_or_b32 exec_lo, exec_lo, s7
	s_delay_alu instid0(VALU_DEP_2) | instskip(NEXT) | instid1(VALU_DEP_2)
	v_lshrrev_b64 v[6:7], 20, v[14:15]
	v_cmp_gt_i32_e32 vcc_lo, 16, v3
	v_min_i32_e32 v5, 15, v3
	v_cmp_eq_u32_e64 s7, 0, v3
	s_delay_alu instid0(VALU_DEP_2) | instskip(SKIP_1) | instid1(VALU_DEP_2)
	v_dual_cndmask_b32 v6, 7, v6 :: v_dual_lshlrev_b32 v5, 3, v5
	v_cndmask_b32_e32 v7, 0, v7, vcc_lo
	v_and_b32_e32 v5, 0xf8, v5
	s_delay_alu instid0(VALU_DEP_2) | instskip(NEXT) | instid1(VALU_DEP_2)
	v_cmp_eq_u64_e32 vcc_lo, 0, v[6:7]
	v_and_or_b32 v3, v6, 7, v5
	s_and_b32 s7, s7, vcc_lo
	s_delay_alu instid0(VALU_DEP_1) | instid1(SALU_CYCLE_1)
	v_cndmask_b32_e64 v3, v3, 0, s7
	s_delay_alu instid0(VALU_DEP_1)
	v_or_b32_e32 v26, v3, v2
.LBB6_7343:                             ;   in Loop: Header=BB6_6801 Depth=2
	s_or_b32 exec_lo, exec_lo, s42
                                        ; implicit-def: $vgpr2
.LBB6_7344:                             ;   in Loop: Header=BB6_6801 Depth=2
	s_and_not1_saveexec_b32 s7, s41
; %bb.7345:                             ;   in Loop: Header=BB6_6801 Depth=2
	v_or_b32_e32 v26, 0x7e, v2
; %bb.7346:                             ;   in Loop: Header=BB6_6801 Depth=2
	s_or_b32 exec_lo, exec_lo, s7
                                        ; implicit-def: $vgpr2
.LBB6_7347:                             ;   in Loop: Header=BB6_6801 Depth=2
	s_and_not1_saveexec_b32 s7, s40
; %bb.7348:                             ;   in Loop: Header=BB6_6801 Depth=2
	v_or_b32_e32 v26, 0x7f, v2
; %bb.7349:                             ;   in Loop: Header=BB6_6801 Depth=2
	s_or_b32 exec_lo, exec_lo, s7
	v_mov_b32_e32 v3, 0
	s_mov_b32 s7, exec_lo
	v_cmpx_lt_u64_e64 s[12:13], v[10:11]
	s_cbranch_execz .LBB6_7357
; %bb.7350:                             ;   in Loop: Header=BB6_6801 Depth=2
	v_lshrrev_b32_e32 v2, 24, v11
	v_bfrev_b32_e32 v3, 1
	s_mov_b32 s40, exec_lo
	s_delay_alu instid0(VALU_DEP_2)
	v_cmpx_ne_u32_e32 0x80, v2
	s_cbranch_execz .LBB6_7356
; %bb.7351:                             ;   in Loop: Header=BB6_6801 Depth=2
	v_bfe_u32 v5, v11, 24, 7
	v_mov_b32_e32 v3, 0x7f800001
	s_mov_b32 s41, exec_lo
	s_delay_alu instid0(VALU_DEP_2)
	v_cmpx_ne_u32_e32 0x7f, v5
	s_cbranch_execz .LBB6_7355
; %bb.7352:                             ;   in Loop: Header=BB6_6801 Depth=2
	v_dual_lshrrev_b32 v3, 3, v5 :: v_dual_bitop2_b32 v52, 7, v2 bitop3:0x40
	s_mov_b32 s42, exec_lo
	v_cmpx_gt_u32_e32 8, v5
; %bb.7353:                             ;   in Loop: Header=BB6_6801 Depth=2
	s_delay_alu instid0(VALU_DEP_2) | instskip(NEXT) | instid1(VALU_DEP_1)
	v_clz_i32_u32_e32 v3, v52
	v_min_u32_e32 v3, 32, v3
	s_delay_alu instid0(VALU_DEP_1) | instskip(NEXT) | instid1(VALU_DEP_1)
	v_subrev_nc_u32_e32 v5, 28, v3
	v_lshlrev_b64_e32 v[6:7], v5, v[52:53]
	s_delay_alu instid0(VALU_DEP_1)
	v_dual_sub_nc_u32 v3, 29, v3 :: v_dual_bitop2_b32 v52, 7, v6 bitop3:0x40
; %bb.7354:                             ;   in Loop: Header=BB6_6801 Depth=2
	s_or_b32 exec_lo, exec_lo, s42
	s_delay_alu instid0(VALU_DEP_1) | instskip(NEXT) | instid1(VALU_DEP_2)
	v_dual_lshlrev_b32 v2, 24, v2 :: v_dual_lshlrev_b32 v5, 20, v52
	v_lshl_add_u32 v3, v3, 23, 0x3c000000
	s_delay_alu instid0(VALU_DEP_2) | instskip(NEXT) | instid1(VALU_DEP_1)
	v_and_b32_e32 v2, 0x80000000, v2
	v_or3_b32 v3, v5, v2, v3
.LBB6_7355:                             ;   in Loop: Header=BB6_6801 Depth=2
	s_or_b32 exec_lo, exec_lo, s41
.LBB6_7356:                             ;   in Loop: Header=BB6_6801 Depth=2
	s_delay_alu instid0(SALU_CYCLE_1)
	s_or_b32 exec_lo, exec_lo, s40
.LBB6_7357:                             ;   in Loop: Header=BB6_6801 Depth=2
	s_delay_alu instid0(SALU_CYCLE_1) | instskip(NEXT) | instid1(VALU_DEP_1)
	s_or_b32 exec_lo, exec_lo, s7
	v_mul_f32_e32 v3, s29, v3
                                        ; implicit-def: $vgpr116
	s_mov_b32 s7, exec_lo
	s_delay_alu instid0(VALU_DEP_1) | instskip(SKIP_1) | instid1(VALU_DEP_2)
	v_and_b32_e32 v52, 0x7f800000, v3
	v_lshrrev_b32_e32 v2, 24, v3
	v_cmpx_ne_u64_e32 0x7f800000, v[52:53]
	s_xor_b32 s40, exec_lo, s7
	s_cbranch_execz .LBB6_7371
; %bb.7358:                             ;   in Loop: Header=BB6_6801 Depth=2
	v_and_b32_e32 v52, 0x7fffffff, v3
	v_and_b32_e32 v2, 0x80, v2
                                        ; implicit-def: $vgpr116
	s_mov_b32 s7, exec_lo
	s_delay_alu instid0(VALU_DEP_2)
	v_cmpx_gt_u64_e32 0x43e00001, v[52:53]
	s_xor_b32 s41, exec_lo, s7
	s_cbranch_execz .LBB6_7368
; %bb.7359:                             ;   in Loop: Header=BB6_6801 Depth=2
	v_mov_b32_e32 v116, 0
	s_mov_b32 s42, exec_lo
	v_cmpx_ne_u32_e32 0, v3
	s_cbranch_execz .LBB6_7367
; %bb.7360:                             ;   in Loop: Header=BB6_6801 Depth=2
	v_bfe_u32 v5, v3, 23, 8
	v_and_b32_e32 v3, 0x7fffff, v3
	s_delay_alu instid0(VALU_DEP_2) | instskip(SKIP_1) | instid1(VALU_DEP_3)
	v_sub_nc_u32_e32 v6, 0x79, v5
	v_cmp_gt_u32_e32 vcc_lo, 0x7a, v5
	v_or_b32_e32 v10, 0x800000, v3
	s_delay_alu instid0(VALU_DEP_3) | instskip(SKIP_1) | instid1(VALU_DEP_3)
	v_cndmask_b32_e32 v6, 0, v6, vcc_lo
	v_cmp_eq_u32_e32 vcc_lo, 0, v5
	v_cndmask_b32_e32 v52, v10, v3, vcc_lo
	s_delay_alu instid0(VALU_DEP_3) | instskip(NEXT) | instid1(VALU_DEP_1)
	v_cndmask_b32_e64 v6, v6, 0x78, vcc_lo
	v_add_nc_u32_e32 v7, 20, v6
	s_delay_alu instid0(VALU_DEP_3) | instskip(NEXT) | instid1(VALU_DEP_2)
	v_lshrrev_b64 v[10:11], v6, v[52:53]
	v_lshlrev_b64_e64 v[8:9], v7, -1
	v_add_nc_u32_e32 v7, 19, v6
	s_delay_alu instid0(VALU_DEP_1) | instskip(NEXT) | instid1(VALU_DEP_3)
	v_lshlrev_b64_e64 v[14:15], v7, 1
	v_bfi_b32 v9, v9, 0, 0
	s_delay_alu instid0(VALU_DEP_4) | instskip(NEXT) | instid1(VALU_DEP_1)
	v_bfi_b32 v8, v8, 0, v52
	v_cmp_eq_u64_e64 s7, v[8:9], v[14:15]
	v_mov_b64_e32 v[14:15], v[10:11]
	s_and_saveexec_b32 s43, s7
; %bb.7361:                             ;   in Loop: Header=BB6_6801 Depth=2
	v_bfe_u32 v52, v10, 20, 1
	s_delay_alu instid0(VALU_DEP_1) | instskip(NEXT) | instid1(VALU_DEP_1)
	v_add_nc_u64_e32 v[8:9], v[10:11], v[52:53]
	v_add_nc_u64_e32 v[14:15], -1, v[8:9]
; %bb.7362:                             ;   in Loop: Header=BB6_6801 Depth=2
	s_or_b32 exec_lo, exec_lo, s43
	v_add_nc_u32_e32 v3, 0xffffff81, v5
	v_lshrrev_b32_e32 v5, 23, v10
	s_mov_b32 s7, exec_lo
	s_delay_alu instid0(VALU_DEP_2) | instskip(NEXT) | instid1(VALU_DEP_1)
	v_cndmask_b32_e64 v3, v3, 0xffffff82, vcc_lo
	v_add3_u32 v5, v6, v3, v5
	v_and_b32_e32 v3, 0xfffff, v14
	s_delay_alu instid0(VALU_DEP_1) | instskip(NEXT) | instid1(VALU_DEP_1)
	v_dual_add_nc_u32 v6, 6, v5 :: v_dual_add_nc_u32 v52, v3, v10
                                        ; implicit-def: $vgpr10_vgpr11
                                        ; implicit-def: $vgpr3
	v_cmpx_ne_u32_e32 0, v6
	s_xor_b32 s7, exec_lo, s7
; %bb.7363:                             ;   in Loop: Header=BB6_6801 Depth=2
	s_delay_alu instid0(VALU_DEP_2) | instskip(SKIP_2) | instid1(VALU_DEP_2)
	v_cmp_lt_u64_e32 vcc_lo, 0xffffff, v[52:53]
	v_add_nc_u32_e32 v3, 7, v5
	v_cndmask_b32_e64 v5, 0, 1, vcc_lo
	v_cndmask_b32_e32 v3, v6, v3, vcc_lo
	s_delay_alu instid0(VALU_DEP_2)
	v_lshrrev_b64 v[10:11], v5, v[52:53]
; %bb.7364:                             ;   in Loop: Header=BB6_6801 Depth=2
	s_and_not1_saveexec_b32 s7, s7
; %bb.7365:                             ;   in Loop: Header=BB6_6801 Depth=2
	v_mov_b64_e32 v[10:11], v[52:53]
	v_bfe_u32 v3, v52, 23, 1
; %bb.7366:                             ;   in Loop: Header=BB6_6801 Depth=2
	s_or_b32 exec_lo, exec_lo, s7
	s_delay_alu instid0(VALU_DEP_2) | instskip(NEXT) | instid1(VALU_DEP_2)
	v_lshrrev_b64 v[6:7], 20, v[10:11]
	v_cmp_gt_i32_e32 vcc_lo, 16, v3
	v_min_i32_e32 v5, 15, v3
	v_cmp_eq_u32_e64 s7, 0, v3
	s_delay_alu instid0(VALU_DEP_2) | instskip(SKIP_1) | instid1(VALU_DEP_2)
	v_dual_cndmask_b32 v6, 7, v6 :: v_dual_lshlrev_b32 v5, 3, v5
	v_cndmask_b32_e32 v7, 0, v7, vcc_lo
	v_and_b32_e32 v5, 0xf8, v5
	s_delay_alu instid0(VALU_DEP_2) | instskip(NEXT) | instid1(VALU_DEP_2)
	v_cmp_eq_u64_e32 vcc_lo, 0, v[6:7]
	v_and_or_b32 v3, v6, 7, v5
	s_and_b32 s7, s7, vcc_lo
	s_delay_alu instid0(VALU_DEP_1) | instid1(SALU_CYCLE_1)
	v_cndmask_b32_e64 v3, v3, 0, s7
	s_delay_alu instid0(VALU_DEP_1)
	v_or_b32_e32 v116, v3, v2
.LBB6_7367:                             ;   in Loop: Header=BB6_6801 Depth=2
	s_or_b32 exec_lo, exec_lo, s42
                                        ; implicit-def: $vgpr2
.LBB6_7368:                             ;   in Loop: Header=BB6_6801 Depth=2
	s_and_not1_saveexec_b32 s7, s41
; %bb.7369:                             ;   in Loop: Header=BB6_6801 Depth=2
	v_or_b32_e32 v116, 0x7e, v2
; %bb.7370:                             ;   in Loop: Header=BB6_6801 Depth=2
	s_or_b32 exec_lo, exec_lo, s7
                                        ; implicit-def: $vgpr2
.LBB6_7371:                             ;   in Loop: Header=BB6_6801 Depth=2
	s_and_not1_saveexec_b32 s7, s40
; %bb.7372:                             ;   in Loop: Header=BB6_6801 Depth=2
	v_or_b32_e32 v116, 0x7f, v2
; %bb.7373:                             ;   in Loop: Header=BB6_6801 Depth=2
	s_or_b32 exec_lo, exec_lo, s7
	v_and_b32_e32 v3, 0xff, v12
	v_mov_b32_e32 v2, 0
	s_mov_b32 s7, exec_lo
	s_delay_alu instid0(VALU_DEP_2)
	v_cmpx_ne_u16_e32 0, v3
	s_cbranch_execz .LBB6_7379
; %bb.7374:                             ;   in Loop: Header=BB6_6801 Depth=2
	v_bfrev_b32_e32 v2, 1
	s_mov_b32 s40, exec_lo
	v_cmpx_ne_u16_e32 0x80, v3
	s_cbranch_execz .LBB6_7378
; %bb.7375:                             ;   in Loop: Header=BB6_6801 Depth=2
	v_and_b32_e32 v3, 0x7f, v12
	v_mov_b32_e32 v2, 0x7f800001
	s_mov_b32 s41, exec_lo
	s_delay_alu instid0(VALU_DEP_2)
	v_cmpx_ne_u32_e32 0x7f, v3
	s_cbranch_execz .LBB6_7377
; %bb.7376:                             ;   in Loop: Header=BB6_6801 Depth=2
	v_dual_lshrrev_b32 v5, 3, v3 :: v_dual_bitop2_b32 v2, 7, v12 bitop3:0x40
	v_cmp_gt_u32_e32 vcc_lo, 8, v3
	s_delay_alu instid0(VALU_DEP_2) | instskip(NEXT) | instid1(VALU_DEP_1)
	v_clz_i32_u32_e32 v2, v2
	v_min_u32_e32 v2, 32, v2
	s_delay_alu instid0(VALU_DEP_1) | instskip(SKIP_1) | instid1(VALU_DEP_1)
	v_subrev_nc_u32_e32 v6, 28, v2
	v_sub_nc_u32_e32 v2, 29, v2
	v_cndmask_b32_e32 v5, v5, v2, vcc_lo
	s_delay_alu instid0(VALU_DEP_3) | instskip(NEXT) | instid1(VALU_DEP_1)
	v_cndmask_b32_e32 v2, 0, v6, vcc_lo
	v_lshlrev_b64_e32 v[2:3], v2, v[12:13]
	v_lshlrev_b32_e32 v3, 24, v12
	s_delay_alu instid0(VALU_DEP_1) | instskip(NEXT) | instid1(VALU_DEP_3)
	v_and_b32_e32 v3, 0x80000000, v3
	v_lshlrev_b32_e32 v2, 20, v2
	v_lshl_add_u32 v5, v5, 23, 0x3c000000
	s_delay_alu instid0(VALU_DEP_2) | instskip(NEXT) | instid1(VALU_DEP_1)
	v_and_b32_e32 v2, 0x700000, v2
	v_or3_b32 v2, v2, v3, v5
.LBB6_7377:                             ;   in Loop: Header=BB6_6801 Depth=2
	s_or_b32 exec_lo, exec_lo, s41
.LBB6_7378:                             ;   in Loop: Header=BB6_6801 Depth=2
	s_delay_alu instid0(SALU_CYCLE_1)
	s_or_b32 exec_lo, exec_lo, s40
.LBB6_7379:                             ;   in Loop: Header=BB6_6801 Depth=2
	s_delay_alu instid0(SALU_CYCLE_1) | instskip(NEXT) | instid1(VALU_DEP_1)
	s_or_b32 exec_lo, exec_lo, s7
	v_mul_f32_e32 v3, s29, v2
                                        ; implicit-def: $vgpr111
	s_mov_b32 s7, exec_lo
	s_delay_alu instid0(VALU_DEP_1) | instskip(SKIP_1) | instid1(VALU_DEP_2)
	v_and_b32_e32 v52, 0x7f800000, v3
	v_lshrrev_b32_e32 v2, 24, v3
	v_cmpx_ne_u64_e32 0x7f800000, v[52:53]
	s_xor_b32 s40, exec_lo, s7
	s_cbranch_execz .LBB6_7393
; %bb.7380:                             ;   in Loop: Header=BB6_6801 Depth=2
	v_and_b32_e32 v52, 0x7fffffff, v3
	v_and_b32_e32 v2, 0x80, v2
                                        ; implicit-def: $vgpr111
	s_mov_b32 s7, exec_lo
	s_delay_alu instid0(VALU_DEP_2)
	v_cmpx_gt_u64_e32 0x43e00001, v[52:53]
	s_xor_b32 s41, exec_lo, s7
	s_cbranch_execz .LBB6_7390
; %bb.7381:                             ;   in Loop: Header=BB6_6801 Depth=2
	v_mov_b32_e32 v111, 0
	s_mov_b32 s42, exec_lo
	v_cmpx_ne_u32_e32 0, v3
	s_cbranch_execz .LBB6_7389
; %bb.7382:                             ;   in Loop: Header=BB6_6801 Depth=2
	v_bfe_u32 v5, v3, 23, 8
	v_and_b32_e32 v3, 0x7fffff, v3
	s_delay_alu instid0(VALU_DEP_2) | instskip(SKIP_1) | instid1(VALU_DEP_3)
	v_sub_nc_u32_e32 v6, 0x79, v5
	v_cmp_gt_u32_e32 vcc_lo, 0x7a, v5
	v_or_b32_e32 v10, 0x800000, v3
	s_delay_alu instid0(VALU_DEP_3) | instskip(SKIP_1) | instid1(VALU_DEP_3)
	v_cndmask_b32_e32 v6, 0, v6, vcc_lo
	v_cmp_eq_u32_e32 vcc_lo, 0, v5
	v_cndmask_b32_e32 v52, v10, v3, vcc_lo
	s_delay_alu instid0(VALU_DEP_3) | instskip(NEXT) | instid1(VALU_DEP_1)
	v_cndmask_b32_e64 v6, v6, 0x78, vcc_lo
	v_add_nc_u32_e32 v7, 20, v6
	s_delay_alu instid0(VALU_DEP_3) | instskip(NEXT) | instid1(VALU_DEP_2)
	v_lshrrev_b64 v[10:11], v6, v[52:53]
	v_lshlrev_b64_e64 v[8:9], v7, -1
	v_add_nc_u32_e32 v7, 19, v6
	s_delay_alu instid0(VALU_DEP_1) | instskip(NEXT) | instid1(VALU_DEP_3)
	v_lshlrev_b64_e64 v[14:15], v7, 1
	v_bfi_b32 v9, v9, 0, 0
	s_delay_alu instid0(VALU_DEP_4) | instskip(NEXT) | instid1(VALU_DEP_1)
	v_bfi_b32 v8, v8, 0, v52
	v_cmp_eq_u64_e64 s7, v[8:9], v[14:15]
	v_mov_b64_e32 v[14:15], v[10:11]
	s_and_saveexec_b32 s43, s7
; %bb.7383:                             ;   in Loop: Header=BB6_6801 Depth=2
	v_bfe_u32 v52, v10, 20, 1
	s_delay_alu instid0(VALU_DEP_1) | instskip(NEXT) | instid1(VALU_DEP_1)
	v_add_nc_u64_e32 v[8:9], v[10:11], v[52:53]
	v_add_nc_u64_e32 v[14:15], -1, v[8:9]
; %bb.7384:                             ;   in Loop: Header=BB6_6801 Depth=2
	s_or_b32 exec_lo, exec_lo, s43
	v_add_nc_u32_e32 v3, 0xffffff81, v5
	v_lshrrev_b32_e32 v5, 23, v10
	s_mov_b32 s7, exec_lo
	s_delay_alu instid0(VALU_DEP_2) | instskip(NEXT) | instid1(VALU_DEP_1)
	v_cndmask_b32_e64 v3, v3, 0xffffff82, vcc_lo
	v_add3_u32 v5, v6, v3, v5
	v_and_b32_e32 v3, 0xfffff, v14
	s_delay_alu instid0(VALU_DEP_1) | instskip(NEXT) | instid1(VALU_DEP_1)
	v_dual_add_nc_u32 v6, 6, v5 :: v_dual_add_nc_u32 v52, v3, v10
                                        ; implicit-def: $vgpr10_vgpr11
                                        ; implicit-def: $vgpr3
	v_cmpx_ne_u32_e32 0, v6
	s_xor_b32 s7, exec_lo, s7
; %bb.7385:                             ;   in Loop: Header=BB6_6801 Depth=2
	s_delay_alu instid0(VALU_DEP_2) | instskip(SKIP_2) | instid1(VALU_DEP_2)
	v_cmp_lt_u64_e32 vcc_lo, 0xffffff, v[52:53]
	v_add_nc_u32_e32 v3, 7, v5
	v_cndmask_b32_e64 v5, 0, 1, vcc_lo
	v_cndmask_b32_e32 v3, v6, v3, vcc_lo
	s_delay_alu instid0(VALU_DEP_2)
	v_lshrrev_b64 v[10:11], v5, v[52:53]
; %bb.7386:                             ;   in Loop: Header=BB6_6801 Depth=2
	s_and_not1_saveexec_b32 s7, s7
; %bb.7387:                             ;   in Loop: Header=BB6_6801 Depth=2
	v_mov_b64_e32 v[10:11], v[52:53]
	v_bfe_u32 v3, v52, 23, 1
; %bb.7388:                             ;   in Loop: Header=BB6_6801 Depth=2
	s_or_b32 exec_lo, exec_lo, s7
	s_delay_alu instid0(VALU_DEP_2) | instskip(NEXT) | instid1(VALU_DEP_2)
	v_lshrrev_b64 v[6:7], 20, v[10:11]
	v_cmp_gt_i32_e32 vcc_lo, 16, v3
	v_min_i32_e32 v5, 15, v3
	v_cmp_eq_u32_e64 s7, 0, v3
	s_delay_alu instid0(VALU_DEP_2) | instskip(SKIP_1) | instid1(VALU_DEP_2)
	v_dual_cndmask_b32 v6, 7, v6 :: v_dual_lshlrev_b32 v5, 3, v5
	v_cndmask_b32_e32 v7, 0, v7, vcc_lo
	v_and_b32_e32 v5, 0xf8, v5
	s_delay_alu instid0(VALU_DEP_2) | instskip(NEXT) | instid1(VALU_DEP_2)
	v_cmp_eq_u64_e32 vcc_lo, 0, v[6:7]
	v_and_or_b32 v3, v6, 7, v5
	s_and_b32 s7, s7, vcc_lo
	s_delay_alu instid0(VALU_DEP_1) | instid1(SALU_CYCLE_1)
	v_cndmask_b32_e64 v3, v3, 0, s7
	s_delay_alu instid0(VALU_DEP_1)
	v_or_b32_e32 v111, v3, v2
.LBB6_7389:                             ;   in Loop: Header=BB6_6801 Depth=2
	s_or_b32 exec_lo, exec_lo, s42
                                        ; implicit-def: $vgpr2
.LBB6_7390:                             ;   in Loop: Header=BB6_6801 Depth=2
	s_and_not1_saveexec_b32 s7, s41
; %bb.7391:                             ;   in Loop: Header=BB6_6801 Depth=2
	v_or_b32_e32 v111, 0x7e, v2
; %bb.7392:                             ;   in Loop: Header=BB6_6801 Depth=2
	s_or_b32 exec_lo, exec_lo, s7
                                        ; implicit-def: $vgpr2
.LBB6_7393:                             ;   in Loop: Header=BB6_6801 Depth=2
	s_and_not1_saveexec_b32 s7, s40
; %bb.7394:                             ;   in Loop: Header=BB6_6801 Depth=2
	v_or_b32_e32 v111, 0x7f, v2
; %bb.7395:                             ;   in Loop: Header=BB6_6801 Depth=2
	s_or_b32 exec_lo, exec_lo, s7
	v_lshrrev_b16 v3, 8, v12
	v_mov_b32_e32 v2, 0
	s_mov_b32 s7, exec_lo
	s_delay_alu instid0(VALU_DEP_2)
	v_cmpx_ne_u16_e32 0, v3
	s_cbranch_execz .LBB6_7403
; %bb.7396:                             ;   in Loop: Header=BB6_6801 Depth=2
	v_bfrev_b32_e32 v2, 1
	s_mov_b32 s40, exec_lo
	v_cmpx_ne_u16_e32 0x80, v3
	s_cbranch_execz .LBB6_7402
; %bb.7397:                             ;   in Loop: Header=BB6_6801 Depth=2
	v_and_b32_e32 v5, 0xffff, v3
	v_mov_b32_e32 v2, 0x7f800001
	s_mov_b32 s41, exec_lo
	s_delay_alu instid0(VALU_DEP_2) | instskip(NEXT) | instid1(VALU_DEP_1)
	v_and_b32_e32 v3, 0x7f, v5
	v_cmpx_ne_u32_e32 0x7f, v3
	s_cbranch_execz .LBB6_7401
; %bb.7398:                             ;   in Loop: Header=BB6_6801 Depth=2
	v_dual_lshrrev_b32 v2, 3, v3 :: v_dual_bitop2_b32 v52, 7, v5 bitop3:0x40
	s_mov_b32 s42, exec_lo
	v_cmpx_gt_u32_e32 8, v3
; %bb.7399:                             ;   in Loop: Header=BB6_6801 Depth=2
	s_delay_alu instid0(VALU_DEP_2) | instskip(NEXT) | instid1(VALU_DEP_1)
	v_clz_i32_u32_e32 v2, v52
	v_min_u32_e32 v2, 32, v2
	s_delay_alu instid0(VALU_DEP_1) | instskip(SKIP_1) | instid1(VALU_DEP_2)
	v_subrev_nc_u32_e32 v3, 28, v2
	v_sub_nc_u32_e32 v2, 29, v2
	v_lshlrev_b64_e32 v[6:7], v3, v[52:53]
	s_delay_alu instid0(VALU_DEP_1)
	v_and_b32_e32 v52, 7, v6
; %bb.7400:                             ;   in Loop: Header=BB6_6801 Depth=2
	s_or_b32 exec_lo, exec_lo, s42
	v_lshlrev_b32_e32 v3, 16, v12
	s_delay_alu instid0(VALU_DEP_2) | instskip(SKIP_1) | instid1(VALU_DEP_3)
	v_lshlrev_b32_e32 v5, 20, v52
	v_lshl_add_u32 v2, v2, 23, 0x3c000000
	v_and_b32_e32 v3, 0x80000000, v3
	s_delay_alu instid0(VALU_DEP_1)
	v_or3_b32 v2, v5, v3, v2
.LBB6_7401:                             ;   in Loop: Header=BB6_6801 Depth=2
	s_or_b32 exec_lo, exec_lo, s41
.LBB6_7402:                             ;   in Loop: Header=BB6_6801 Depth=2
	s_delay_alu instid0(SALU_CYCLE_1)
	s_or_b32 exec_lo, exec_lo, s40
.LBB6_7403:                             ;   in Loop: Header=BB6_6801 Depth=2
	s_delay_alu instid0(SALU_CYCLE_1) | instskip(NEXT) | instid1(VALU_DEP_1)
	s_or_b32 exec_lo, exec_lo, s7
	v_mul_f32_e32 v3, s29, v2
                                        ; implicit-def: $vgpr122
	s_mov_b32 s7, exec_lo
	s_delay_alu instid0(VALU_DEP_1) | instskip(SKIP_1) | instid1(VALU_DEP_2)
	v_and_b32_e32 v52, 0x7f800000, v3
	v_lshrrev_b32_e32 v2, 24, v3
	v_cmpx_ne_u64_e32 0x7f800000, v[52:53]
	s_xor_b32 s40, exec_lo, s7
	s_cbranch_execz .LBB6_7417
; %bb.7404:                             ;   in Loop: Header=BB6_6801 Depth=2
	v_and_b32_e32 v52, 0x7fffffff, v3
	v_and_b32_e32 v2, 0x80, v2
                                        ; implicit-def: $vgpr122
	s_mov_b32 s7, exec_lo
	s_delay_alu instid0(VALU_DEP_2)
	v_cmpx_gt_u64_e32 0x43e00001, v[52:53]
	s_xor_b32 s41, exec_lo, s7
	s_cbranch_execz .LBB6_7414
; %bb.7405:                             ;   in Loop: Header=BB6_6801 Depth=2
	v_mov_b32_e32 v122, 0
	s_mov_b32 s42, exec_lo
	v_cmpx_ne_u32_e32 0, v3
	s_cbranch_execz .LBB6_7413
; %bb.7406:                             ;   in Loop: Header=BB6_6801 Depth=2
	v_bfe_u32 v5, v3, 23, 8
	v_and_b32_e32 v3, 0x7fffff, v3
	s_delay_alu instid0(VALU_DEP_2) | instskip(SKIP_1) | instid1(VALU_DEP_3)
	v_sub_nc_u32_e32 v6, 0x79, v5
	v_cmp_gt_u32_e32 vcc_lo, 0x7a, v5
	v_or_b32_e32 v10, 0x800000, v3
	s_delay_alu instid0(VALU_DEP_3) | instskip(SKIP_1) | instid1(VALU_DEP_3)
	v_cndmask_b32_e32 v6, 0, v6, vcc_lo
	v_cmp_eq_u32_e32 vcc_lo, 0, v5
	v_cndmask_b32_e32 v52, v10, v3, vcc_lo
	s_delay_alu instid0(VALU_DEP_3) | instskip(NEXT) | instid1(VALU_DEP_1)
	v_cndmask_b32_e64 v6, v6, 0x78, vcc_lo
	v_add_nc_u32_e32 v7, 20, v6
	s_delay_alu instid0(VALU_DEP_3) | instskip(NEXT) | instid1(VALU_DEP_2)
	v_lshrrev_b64 v[10:11], v6, v[52:53]
	v_lshlrev_b64_e64 v[8:9], v7, -1
	v_add_nc_u32_e32 v7, 19, v6
	s_delay_alu instid0(VALU_DEP_1) | instskip(NEXT) | instid1(VALU_DEP_3)
	v_lshlrev_b64_e64 v[14:15], v7, 1
	v_bfi_b32 v9, v9, 0, 0
	s_delay_alu instid0(VALU_DEP_4) | instskip(NEXT) | instid1(VALU_DEP_1)
	v_bfi_b32 v8, v8, 0, v52
	v_cmp_eq_u64_e64 s7, v[8:9], v[14:15]
	v_mov_b64_e32 v[14:15], v[10:11]
	s_and_saveexec_b32 s43, s7
; %bb.7407:                             ;   in Loop: Header=BB6_6801 Depth=2
	v_bfe_u32 v52, v10, 20, 1
	s_delay_alu instid0(VALU_DEP_1) | instskip(NEXT) | instid1(VALU_DEP_1)
	v_add_nc_u64_e32 v[8:9], v[10:11], v[52:53]
	v_add_nc_u64_e32 v[14:15], -1, v[8:9]
; %bb.7408:                             ;   in Loop: Header=BB6_6801 Depth=2
	s_or_b32 exec_lo, exec_lo, s43
	v_add_nc_u32_e32 v3, 0xffffff81, v5
	v_lshrrev_b32_e32 v5, 23, v10
	s_mov_b32 s7, exec_lo
	s_delay_alu instid0(VALU_DEP_2) | instskip(NEXT) | instid1(VALU_DEP_1)
	v_cndmask_b32_e64 v3, v3, 0xffffff82, vcc_lo
	v_add3_u32 v5, v6, v3, v5
	v_and_b32_e32 v3, 0xfffff, v14
	s_delay_alu instid0(VALU_DEP_1) | instskip(NEXT) | instid1(VALU_DEP_1)
	v_dual_add_nc_u32 v6, 6, v5 :: v_dual_add_nc_u32 v52, v3, v10
                                        ; implicit-def: $vgpr10_vgpr11
                                        ; implicit-def: $vgpr3
	v_cmpx_ne_u32_e32 0, v6
	s_xor_b32 s7, exec_lo, s7
; %bb.7409:                             ;   in Loop: Header=BB6_6801 Depth=2
	s_delay_alu instid0(VALU_DEP_2) | instskip(SKIP_2) | instid1(VALU_DEP_2)
	v_cmp_lt_u64_e32 vcc_lo, 0xffffff, v[52:53]
	v_add_nc_u32_e32 v3, 7, v5
	v_cndmask_b32_e64 v5, 0, 1, vcc_lo
	v_cndmask_b32_e32 v3, v6, v3, vcc_lo
	s_delay_alu instid0(VALU_DEP_2)
	v_lshrrev_b64 v[10:11], v5, v[52:53]
; %bb.7410:                             ;   in Loop: Header=BB6_6801 Depth=2
	s_and_not1_saveexec_b32 s7, s7
; %bb.7411:                             ;   in Loop: Header=BB6_6801 Depth=2
	v_mov_b64_e32 v[10:11], v[52:53]
	v_bfe_u32 v3, v52, 23, 1
; %bb.7412:                             ;   in Loop: Header=BB6_6801 Depth=2
	s_or_b32 exec_lo, exec_lo, s7
	s_delay_alu instid0(VALU_DEP_2) | instskip(NEXT) | instid1(VALU_DEP_2)
	v_lshrrev_b64 v[6:7], 20, v[10:11]
	v_cmp_gt_i32_e32 vcc_lo, 16, v3
	v_min_i32_e32 v5, 15, v3
	v_cmp_eq_u32_e64 s7, 0, v3
	s_delay_alu instid0(VALU_DEP_2) | instskip(SKIP_1) | instid1(VALU_DEP_2)
	v_dual_cndmask_b32 v6, 7, v6 :: v_dual_lshlrev_b32 v5, 3, v5
	v_cndmask_b32_e32 v7, 0, v7, vcc_lo
	v_and_b32_e32 v5, 0xf8, v5
	s_delay_alu instid0(VALU_DEP_2) | instskip(NEXT) | instid1(VALU_DEP_2)
	v_cmp_eq_u64_e32 vcc_lo, 0, v[6:7]
	v_and_or_b32 v3, v6, 7, v5
	s_and_b32 s7, s7, vcc_lo
	s_delay_alu instid0(VALU_DEP_1) | instid1(SALU_CYCLE_1)
	v_cndmask_b32_e64 v3, v3, 0, s7
	s_delay_alu instid0(VALU_DEP_1)
	v_or_b32_e32 v122, v3, v2
.LBB6_7413:                             ;   in Loop: Header=BB6_6801 Depth=2
	s_or_b32 exec_lo, exec_lo, s42
                                        ; implicit-def: $vgpr2
.LBB6_7414:                             ;   in Loop: Header=BB6_6801 Depth=2
	s_and_not1_saveexec_b32 s7, s41
; %bb.7415:                             ;   in Loop: Header=BB6_6801 Depth=2
	v_or_b32_e32 v122, 0x7e, v2
; %bb.7416:                             ;   in Loop: Header=BB6_6801 Depth=2
	s_or_b32 exec_lo, exec_lo, s7
                                        ; implicit-def: $vgpr2
.LBB6_7417:                             ;   in Loop: Header=BB6_6801 Depth=2
	s_and_not1_saveexec_b32 s7, s40
; %bb.7418:                             ;   in Loop: Header=BB6_6801 Depth=2
	v_or_b32_e32 v122, 0x7f, v2
; %bb.7419:                             ;   in Loop: Header=BB6_6801 Depth=2
	s_or_b32 exec_lo, exec_lo, s7
	v_dual_mov_b32 v3, 0 :: v_dual_lshrrev_b32 v2, 16, v12
	s_mov_b32 s7, exec_lo
	s_delay_alu instid0(VALU_DEP_1) | instskip(NEXT) | instid1(VALU_DEP_1)
	v_and_b32_e32 v5, 0xff, v2
	v_cmpx_ne_u16_e32 0, v5
	s_cbranch_execz .LBB6_7427
; %bb.7420:                             ;   in Loop: Header=BB6_6801 Depth=2
	v_bfrev_b32_e32 v3, 1
	s_mov_b32 s40, exec_lo
	v_cmpx_ne_u16_e32 0x80, v5
	s_cbranch_execz .LBB6_7426
; %bb.7421:                             ;   in Loop: Header=BB6_6801 Depth=2
	v_bfe_u32 v5, v12, 16, 7
	v_mov_b32_e32 v3, 0x7f800001
	s_mov_b32 s41, exec_lo
	s_delay_alu instid0(VALU_DEP_2)
	v_cmpx_ne_u32_e32 0x7f, v5
	s_cbranch_execz .LBB6_7425
; %bb.7422:                             ;   in Loop: Header=BB6_6801 Depth=2
	v_dual_lshrrev_b32 v3, 3, v5 :: v_dual_bitop2_b32 v52, 7, v2 bitop3:0x40
	s_mov_b32 s42, exec_lo
	v_cmpx_gt_u32_e32 8, v5
; %bb.7423:                             ;   in Loop: Header=BB6_6801 Depth=2
	s_delay_alu instid0(VALU_DEP_2) | instskip(NEXT) | instid1(VALU_DEP_1)
	v_clz_i32_u32_e32 v3, v52
	v_min_u32_e32 v3, 32, v3
	s_delay_alu instid0(VALU_DEP_1) | instskip(NEXT) | instid1(VALU_DEP_1)
	v_subrev_nc_u32_e32 v5, 28, v3
	v_lshlrev_b64_e32 v[6:7], v5, v[52:53]
	s_delay_alu instid0(VALU_DEP_1)
	v_dual_sub_nc_u32 v3, 29, v3 :: v_dual_bitop2_b32 v52, 7, v6 bitop3:0x40
; %bb.7424:                             ;   in Loop: Header=BB6_6801 Depth=2
	s_or_b32 exec_lo, exec_lo, s42
	s_delay_alu instid0(VALU_DEP_1) | instskip(NEXT) | instid1(VALU_DEP_2)
	v_dual_lshlrev_b32 v2, 24, v2 :: v_dual_lshlrev_b32 v5, 20, v52
	v_lshl_add_u32 v3, v3, 23, 0x3c000000
	s_delay_alu instid0(VALU_DEP_2) | instskip(NEXT) | instid1(VALU_DEP_1)
	v_and_b32_e32 v2, 0x80000000, v2
	v_or3_b32 v3, v5, v2, v3
.LBB6_7425:                             ;   in Loop: Header=BB6_6801 Depth=2
	s_or_b32 exec_lo, exec_lo, s41
.LBB6_7426:                             ;   in Loop: Header=BB6_6801 Depth=2
	s_delay_alu instid0(SALU_CYCLE_1)
	s_or_b32 exec_lo, exec_lo, s40
.LBB6_7427:                             ;   in Loop: Header=BB6_6801 Depth=2
	s_delay_alu instid0(SALU_CYCLE_1) | instskip(NEXT) | instid1(VALU_DEP_1)
	s_or_b32 exec_lo, exec_lo, s7
	v_mul_f32_e32 v3, s29, v3
                                        ; implicit-def: $vgpr36
	s_mov_b32 s7, exec_lo
	s_delay_alu instid0(VALU_DEP_1) | instskip(SKIP_1) | instid1(VALU_DEP_2)
	v_and_b32_e32 v52, 0x7f800000, v3
	v_lshrrev_b32_e32 v2, 24, v3
	v_cmpx_ne_u64_e32 0x7f800000, v[52:53]
	s_xor_b32 s40, exec_lo, s7
	s_cbranch_execz .LBB6_7441
; %bb.7428:                             ;   in Loop: Header=BB6_6801 Depth=2
	v_and_b32_e32 v52, 0x7fffffff, v3
	v_and_b32_e32 v2, 0x80, v2
                                        ; implicit-def: $vgpr36
	s_mov_b32 s7, exec_lo
	s_delay_alu instid0(VALU_DEP_2)
	v_cmpx_gt_u64_e32 0x43e00001, v[52:53]
	s_xor_b32 s41, exec_lo, s7
	s_cbranch_execz .LBB6_7438
; %bb.7429:                             ;   in Loop: Header=BB6_6801 Depth=2
	v_mov_b32_e32 v36, 0
	s_mov_b32 s42, exec_lo
	v_cmpx_ne_u32_e32 0, v3
	s_cbranch_execz .LBB6_7437
; %bb.7430:                             ;   in Loop: Header=BB6_6801 Depth=2
	v_bfe_u32 v5, v3, 23, 8
	v_and_b32_e32 v3, 0x7fffff, v3
	s_delay_alu instid0(VALU_DEP_2) | instskip(SKIP_1) | instid1(VALU_DEP_3)
	v_sub_nc_u32_e32 v6, 0x79, v5
	v_cmp_gt_u32_e32 vcc_lo, 0x7a, v5
	v_or_b32_e32 v10, 0x800000, v3
	s_delay_alu instid0(VALU_DEP_3) | instskip(SKIP_1) | instid1(VALU_DEP_3)
	v_cndmask_b32_e32 v6, 0, v6, vcc_lo
	v_cmp_eq_u32_e32 vcc_lo, 0, v5
	v_cndmask_b32_e32 v52, v10, v3, vcc_lo
	s_delay_alu instid0(VALU_DEP_3) | instskip(NEXT) | instid1(VALU_DEP_1)
	v_cndmask_b32_e64 v6, v6, 0x78, vcc_lo
	v_add_nc_u32_e32 v7, 20, v6
	s_delay_alu instid0(VALU_DEP_3) | instskip(NEXT) | instid1(VALU_DEP_2)
	v_lshrrev_b64 v[10:11], v6, v[52:53]
	v_lshlrev_b64_e64 v[8:9], v7, -1
	v_add_nc_u32_e32 v7, 19, v6
	s_delay_alu instid0(VALU_DEP_1) | instskip(NEXT) | instid1(VALU_DEP_3)
	v_lshlrev_b64_e64 v[14:15], v7, 1
	v_bfi_b32 v9, v9, 0, 0
	s_delay_alu instid0(VALU_DEP_4) | instskip(NEXT) | instid1(VALU_DEP_1)
	v_bfi_b32 v8, v8, 0, v52
	v_cmp_eq_u64_e64 s7, v[8:9], v[14:15]
	v_mov_b64_e32 v[14:15], v[10:11]
	s_and_saveexec_b32 s43, s7
; %bb.7431:                             ;   in Loop: Header=BB6_6801 Depth=2
	v_bfe_u32 v52, v10, 20, 1
	s_delay_alu instid0(VALU_DEP_1) | instskip(NEXT) | instid1(VALU_DEP_1)
	v_add_nc_u64_e32 v[8:9], v[10:11], v[52:53]
	v_add_nc_u64_e32 v[14:15], -1, v[8:9]
; %bb.7432:                             ;   in Loop: Header=BB6_6801 Depth=2
	s_or_b32 exec_lo, exec_lo, s43
	v_add_nc_u32_e32 v3, 0xffffff81, v5
	v_lshrrev_b32_e32 v5, 23, v10
	s_mov_b32 s7, exec_lo
	s_delay_alu instid0(VALU_DEP_2) | instskip(NEXT) | instid1(VALU_DEP_1)
	v_cndmask_b32_e64 v3, v3, 0xffffff82, vcc_lo
	v_add3_u32 v5, v6, v3, v5
	v_and_b32_e32 v3, 0xfffff, v14
	s_delay_alu instid0(VALU_DEP_1) | instskip(NEXT) | instid1(VALU_DEP_1)
	v_dual_add_nc_u32 v6, 6, v5 :: v_dual_add_nc_u32 v52, v3, v10
                                        ; implicit-def: $vgpr10_vgpr11
                                        ; implicit-def: $vgpr3
	v_cmpx_ne_u32_e32 0, v6
	s_xor_b32 s7, exec_lo, s7
; %bb.7433:                             ;   in Loop: Header=BB6_6801 Depth=2
	s_delay_alu instid0(VALU_DEP_2) | instskip(SKIP_2) | instid1(VALU_DEP_2)
	v_cmp_lt_u64_e32 vcc_lo, 0xffffff, v[52:53]
	v_add_nc_u32_e32 v3, 7, v5
	v_cndmask_b32_e64 v5, 0, 1, vcc_lo
	v_cndmask_b32_e32 v3, v6, v3, vcc_lo
	s_delay_alu instid0(VALU_DEP_2)
	v_lshrrev_b64 v[10:11], v5, v[52:53]
; %bb.7434:                             ;   in Loop: Header=BB6_6801 Depth=2
	s_and_not1_saveexec_b32 s7, s7
; %bb.7435:                             ;   in Loop: Header=BB6_6801 Depth=2
	v_mov_b64_e32 v[10:11], v[52:53]
	v_bfe_u32 v3, v52, 23, 1
; %bb.7436:                             ;   in Loop: Header=BB6_6801 Depth=2
	s_or_b32 exec_lo, exec_lo, s7
	s_delay_alu instid0(VALU_DEP_2) | instskip(NEXT) | instid1(VALU_DEP_2)
	v_lshrrev_b64 v[6:7], 20, v[10:11]
	v_cmp_gt_i32_e32 vcc_lo, 16, v3
	v_min_i32_e32 v5, 15, v3
	v_cmp_eq_u32_e64 s7, 0, v3
	s_delay_alu instid0(VALU_DEP_2) | instskip(SKIP_1) | instid1(VALU_DEP_2)
	v_dual_cndmask_b32 v6, 7, v6 :: v_dual_lshlrev_b32 v5, 3, v5
	v_cndmask_b32_e32 v7, 0, v7, vcc_lo
	v_and_b32_e32 v5, 0xf8, v5
	s_delay_alu instid0(VALU_DEP_2) | instskip(NEXT) | instid1(VALU_DEP_2)
	v_cmp_eq_u64_e32 vcc_lo, 0, v[6:7]
	v_and_or_b32 v3, v6, 7, v5
	s_and_b32 s7, s7, vcc_lo
	s_delay_alu instid0(VALU_DEP_1) | instid1(SALU_CYCLE_1)
	v_cndmask_b32_e64 v3, v3, 0, s7
	s_delay_alu instid0(VALU_DEP_1)
	v_or_b32_e32 v36, v3, v2
.LBB6_7437:                             ;   in Loop: Header=BB6_6801 Depth=2
	s_or_b32 exec_lo, exec_lo, s42
                                        ; implicit-def: $vgpr2
.LBB6_7438:                             ;   in Loop: Header=BB6_6801 Depth=2
	s_and_not1_saveexec_b32 s7, s41
; %bb.7439:                             ;   in Loop: Header=BB6_6801 Depth=2
	v_or_b32_e32 v36, 0x7e, v2
; %bb.7440:                             ;   in Loop: Header=BB6_6801 Depth=2
	s_or_b32 exec_lo, exec_lo, s7
                                        ; implicit-def: $vgpr2
.LBB6_7441:                             ;   in Loop: Header=BB6_6801 Depth=2
	s_and_not1_saveexec_b32 s7, s40
; %bb.7442:                             ;   in Loop: Header=BB6_6801 Depth=2
	v_or_b32_e32 v36, 0x7f, v2
; %bb.7443:                             ;   in Loop: Header=BB6_6801 Depth=2
	s_or_b32 exec_lo, exec_lo, s7
	v_mov_b32_e32 v3, 0
	s_mov_b32 s7, exec_lo
	v_cmpx_lt_u32_e32 0xffffff, v12
	s_cbranch_execz .LBB6_7451
; %bb.7444:                             ;   in Loop: Header=BB6_6801 Depth=2
	v_lshrrev_b32_e32 v2, 24, v12
	v_bfrev_b32_e32 v3, 1
	s_mov_b32 s40, exec_lo
	s_delay_alu instid0(VALU_DEP_2)
	v_cmpx_ne_u32_e32 0x80, v2
	s_cbranch_execz .LBB6_7450
; %bb.7445:                             ;   in Loop: Header=BB6_6801 Depth=2
	v_bfe_u32 v5, v12, 24, 7
	v_mov_b32_e32 v3, 0x7f800001
	s_mov_b32 s41, exec_lo
	s_delay_alu instid0(VALU_DEP_2)
	v_cmpx_ne_u32_e32 0x7f, v5
	s_cbranch_execz .LBB6_7449
; %bb.7446:                             ;   in Loop: Header=BB6_6801 Depth=2
	v_dual_lshrrev_b32 v3, 3, v5 :: v_dual_bitop2_b32 v52, 7, v2 bitop3:0x40
	s_mov_b32 s42, exec_lo
	v_cmpx_gt_u32_e32 8, v5
; %bb.7447:                             ;   in Loop: Header=BB6_6801 Depth=2
	s_delay_alu instid0(VALU_DEP_2) | instskip(NEXT) | instid1(VALU_DEP_1)
	v_clz_i32_u32_e32 v3, v52
	v_min_u32_e32 v3, 32, v3
	s_delay_alu instid0(VALU_DEP_1) | instskip(NEXT) | instid1(VALU_DEP_1)
	v_subrev_nc_u32_e32 v5, 28, v3
	v_lshlrev_b64_e32 v[6:7], v5, v[52:53]
	s_delay_alu instid0(VALU_DEP_1)
	v_dual_sub_nc_u32 v3, 29, v3 :: v_dual_bitop2_b32 v52, 7, v6 bitop3:0x40
; %bb.7448:                             ;   in Loop: Header=BB6_6801 Depth=2
	s_or_b32 exec_lo, exec_lo, s42
	s_delay_alu instid0(VALU_DEP_1) | instskip(NEXT) | instid1(VALU_DEP_2)
	v_dual_lshlrev_b32 v2, 24, v2 :: v_dual_lshlrev_b32 v5, 20, v52
	v_lshl_add_u32 v3, v3, 23, 0x3c000000
	s_delay_alu instid0(VALU_DEP_2) | instskip(NEXT) | instid1(VALU_DEP_1)
	v_and_b32_e32 v2, 0x80000000, v2
	v_or3_b32 v3, v5, v2, v3
.LBB6_7449:                             ;   in Loop: Header=BB6_6801 Depth=2
	s_or_b32 exec_lo, exec_lo, s41
.LBB6_7450:                             ;   in Loop: Header=BB6_6801 Depth=2
	s_delay_alu instid0(SALU_CYCLE_1)
	s_or_b32 exec_lo, exec_lo, s40
.LBB6_7451:                             ;   in Loop: Header=BB6_6801 Depth=2
	s_delay_alu instid0(SALU_CYCLE_1) | instskip(NEXT) | instid1(VALU_DEP_1)
	s_or_b32 exec_lo, exec_lo, s7
	v_mul_f32_e32 v3, s29, v3
                                        ; implicit-def: $vgpr126
	s_mov_b32 s7, exec_lo
	s_delay_alu instid0(VALU_DEP_1) | instskip(SKIP_1) | instid1(VALU_DEP_2)
	v_and_b32_e32 v52, 0x7f800000, v3
	v_lshrrev_b32_e32 v2, 24, v3
	v_cmpx_ne_u64_e32 0x7f800000, v[52:53]
	s_xor_b32 s40, exec_lo, s7
	s_cbranch_execz .LBB6_7465
; %bb.7452:                             ;   in Loop: Header=BB6_6801 Depth=2
	v_and_b32_e32 v52, 0x7fffffff, v3
	v_and_b32_e32 v2, 0x80, v2
                                        ; implicit-def: $vgpr126
	s_mov_b32 s7, exec_lo
	s_delay_alu instid0(VALU_DEP_2)
	v_cmpx_gt_u64_e32 0x43e00001, v[52:53]
	s_xor_b32 s41, exec_lo, s7
	s_cbranch_execz .LBB6_7462
; %bb.7453:                             ;   in Loop: Header=BB6_6801 Depth=2
	v_mov_b32_e32 v126, 0
	s_mov_b32 s42, exec_lo
	v_cmpx_ne_u32_e32 0, v3
	s_cbranch_execz .LBB6_7461
; %bb.7454:                             ;   in Loop: Header=BB6_6801 Depth=2
	v_bfe_u32 v5, v3, 23, 8
	v_and_b32_e32 v3, 0x7fffff, v3
	s_delay_alu instid0(VALU_DEP_2) | instskip(SKIP_1) | instid1(VALU_DEP_3)
	v_sub_nc_u32_e32 v6, 0x79, v5
	v_cmp_gt_u32_e32 vcc_lo, 0x7a, v5
	v_or_b32_e32 v10, 0x800000, v3
	s_delay_alu instid0(VALU_DEP_3) | instskip(SKIP_1) | instid1(VALU_DEP_3)
	v_cndmask_b32_e32 v6, 0, v6, vcc_lo
	v_cmp_eq_u32_e32 vcc_lo, 0, v5
	v_cndmask_b32_e32 v52, v10, v3, vcc_lo
	s_delay_alu instid0(VALU_DEP_3) | instskip(NEXT) | instid1(VALU_DEP_1)
	v_cndmask_b32_e64 v6, v6, 0x78, vcc_lo
	v_add_nc_u32_e32 v7, 20, v6
	s_delay_alu instid0(VALU_DEP_3) | instskip(NEXT) | instid1(VALU_DEP_2)
	v_lshrrev_b64 v[10:11], v6, v[52:53]
	v_lshlrev_b64_e64 v[8:9], v7, -1
	v_add_nc_u32_e32 v7, 19, v6
	s_delay_alu instid0(VALU_DEP_1) | instskip(NEXT) | instid1(VALU_DEP_3)
	v_lshlrev_b64_e64 v[14:15], v7, 1
	v_bfi_b32 v9, v9, 0, 0
	s_delay_alu instid0(VALU_DEP_4) | instskip(NEXT) | instid1(VALU_DEP_1)
	v_bfi_b32 v8, v8, 0, v52
	v_cmp_eq_u64_e64 s7, v[8:9], v[14:15]
	v_mov_b64_e32 v[14:15], v[10:11]
	s_and_saveexec_b32 s43, s7
; %bb.7455:                             ;   in Loop: Header=BB6_6801 Depth=2
	v_bfe_u32 v52, v10, 20, 1
	s_delay_alu instid0(VALU_DEP_1) | instskip(NEXT) | instid1(VALU_DEP_1)
	v_add_nc_u64_e32 v[8:9], v[10:11], v[52:53]
	v_add_nc_u64_e32 v[14:15], -1, v[8:9]
; %bb.7456:                             ;   in Loop: Header=BB6_6801 Depth=2
	s_or_b32 exec_lo, exec_lo, s43
	v_add_nc_u32_e32 v3, 0xffffff81, v5
	v_lshrrev_b32_e32 v5, 23, v10
	s_mov_b32 s7, exec_lo
	s_delay_alu instid0(VALU_DEP_2) | instskip(NEXT) | instid1(VALU_DEP_1)
	v_cndmask_b32_e64 v3, v3, 0xffffff82, vcc_lo
	v_add3_u32 v5, v6, v3, v5
	v_and_b32_e32 v3, 0xfffff, v14
	s_delay_alu instid0(VALU_DEP_1) | instskip(NEXT) | instid1(VALU_DEP_1)
	v_dual_add_nc_u32 v6, 6, v5 :: v_dual_add_nc_u32 v52, v3, v10
                                        ; implicit-def: $vgpr10_vgpr11
                                        ; implicit-def: $vgpr3
	v_cmpx_ne_u32_e32 0, v6
	s_xor_b32 s7, exec_lo, s7
; %bb.7457:                             ;   in Loop: Header=BB6_6801 Depth=2
	s_delay_alu instid0(VALU_DEP_2) | instskip(SKIP_2) | instid1(VALU_DEP_2)
	v_cmp_lt_u64_e32 vcc_lo, 0xffffff, v[52:53]
	v_add_nc_u32_e32 v3, 7, v5
	v_cndmask_b32_e64 v5, 0, 1, vcc_lo
	v_cndmask_b32_e32 v3, v6, v3, vcc_lo
	s_delay_alu instid0(VALU_DEP_2)
	v_lshrrev_b64 v[10:11], v5, v[52:53]
; %bb.7458:                             ;   in Loop: Header=BB6_6801 Depth=2
	s_and_not1_saveexec_b32 s7, s7
; %bb.7459:                             ;   in Loop: Header=BB6_6801 Depth=2
	v_mov_b64_e32 v[10:11], v[52:53]
	v_bfe_u32 v3, v52, 23, 1
; %bb.7460:                             ;   in Loop: Header=BB6_6801 Depth=2
	s_or_b32 exec_lo, exec_lo, s7
	s_delay_alu instid0(VALU_DEP_2) | instskip(NEXT) | instid1(VALU_DEP_2)
	v_lshrrev_b64 v[6:7], 20, v[10:11]
	v_cmp_gt_i32_e32 vcc_lo, 16, v3
	v_min_i32_e32 v5, 15, v3
	v_cmp_eq_u32_e64 s7, 0, v3
	s_delay_alu instid0(VALU_DEP_2) | instskip(SKIP_1) | instid1(VALU_DEP_2)
	v_dual_cndmask_b32 v6, 7, v6 :: v_dual_lshlrev_b32 v5, 3, v5
	v_cndmask_b32_e32 v7, 0, v7, vcc_lo
	v_and_b32_e32 v5, 0xf8, v5
	s_delay_alu instid0(VALU_DEP_2) | instskip(NEXT) | instid1(VALU_DEP_2)
	v_cmp_eq_u64_e32 vcc_lo, 0, v[6:7]
	v_and_or_b32 v3, v6, 7, v5
	s_and_b32 s7, s7, vcc_lo
	s_delay_alu instid0(VALU_DEP_1) | instid1(SALU_CYCLE_1)
	v_cndmask_b32_e64 v3, v3, 0, s7
	s_delay_alu instid0(VALU_DEP_1)
	v_or_b32_e32 v126, v3, v2
.LBB6_7461:                             ;   in Loop: Header=BB6_6801 Depth=2
	s_or_b32 exec_lo, exec_lo, s42
                                        ; implicit-def: $vgpr2
.LBB6_7462:                             ;   in Loop: Header=BB6_6801 Depth=2
	s_and_not1_saveexec_b32 s7, s41
; %bb.7463:                             ;   in Loop: Header=BB6_6801 Depth=2
	v_or_b32_e32 v126, 0x7e, v2
; %bb.7464:                             ;   in Loop: Header=BB6_6801 Depth=2
	s_or_b32 exec_lo, exec_lo, s7
                                        ; implicit-def: $vgpr2
.LBB6_7465:                             ;   in Loop: Header=BB6_6801 Depth=2
	s_and_not1_saveexec_b32 s7, s40
; %bb.7466:                             ;   in Loop: Header=BB6_6801 Depth=2
	v_or_b32_e32 v126, 0x7f, v2
; %bb.7467:                             ;   in Loop: Header=BB6_6801 Depth=2
	s_or_b32 exec_lo, exec_lo, s7
	v_and_b32_e32 v3, 0xff, v13
	v_dual_mov_b32 v52, v13 :: v_dual_mov_b32 v2, 0
	s_mov_b32 s7, exec_lo
	s_delay_alu instid0(VALU_DEP_2)
	v_cmpx_ne_u16_e32 0, v3
	s_cbranch_execz .LBB6_7473
; %bb.7468:                             ;   in Loop: Header=BB6_6801 Depth=2
	v_bfrev_b32_e32 v2, 1
	s_mov_b32 s40, exec_lo
	v_cmpx_ne_u16_e32 0x80, v3
	s_cbranch_execz .LBB6_7472
; %bb.7469:                             ;   in Loop: Header=BB6_6801 Depth=2
	v_and_b32_e32 v3, 0x7f, v13
	v_mov_b32_e32 v2, 0x7f800001
	s_mov_b32 s41, exec_lo
	s_delay_alu instid0(VALU_DEP_2)
	v_cmpx_ne_u32_e32 0x7f, v3
	s_cbranch_execz .LBB6_7471
; %bb.7470:                             ;   in Loop: Header=BB6_6801 Depth=2
	v_dual_lshrrev_b32 v5, 3, v3 :: v_dual_bitop2_b32 v2, 7, v13 bitop3:0x40
	v_cmp_gt_u32_e32 vcc_lo, 8, v3
	s_delay_alu instid0(VALU_DEP_2) | instskip(NEXT) | instid1(VALU_DEP_1)
	v_clz_i32_u32_e32 v2, v2
	v_min_u32_e32 v2, 32, v2
	s_delay_alu instid0(VALU_DEP_1) | instskip(SKIP_1) | instid1(VALU_DEP_1)
	v_subrev_nc_u32_e32 v6, 28, v2
	v_sub_nc_u32_e32 v2, 29, v2
	v_cndmask_b32_e32 v5, v5, v2, vcc_lo
	s_delay_alu instid0(VALU_DEP_3) | instskip(NEXT) | instid1(VALU_DEP_1)
	v_cndmask_b32_e32 v2, 0, v6, vcc_lo
	v_lshlrev_b64_e32 v[2:3], v2, v[52:53]
	v_lshlrev_b32_e32 v3, 24, v52
	s_delay_alu instid0(VALU_DEP_1) | instskip(NEXT) | instid1(VALU_DEP_3)
	v_and_b32_e32 v3, 0x80000000, v3
	v_lshlrev_b32_e32 v2, 20, v2
	v_lshl_add_u32 v5, v5, 23, 0x3c000000
	s_delay_alu instid0(VALU_DEP_2) | instskip(NEXT) | instid1(VALU_DEP_1)
	v_and_b32_e32 v2, 0x700000, v2
	v_or3_b32 v2, v2, v3, v5
.LBB6_7471:                             ;   in Loop: Header=BB6_6801 Depth=2
	s_or_b32 exec_lo, exec_lo, s41
.LBB6_7472:                             ;   in Loop: Header=BB6_6801 Depth=2
	s_delay_alu instid0(SALU_CYCLE_1)
	s_or_b32 exec_lo, exec_lo, s40
.LBB6_7473:                             ;   in Loop: Header=BB6_6801 Depth=2
	s_delay_alu instid0(SALU_CYCLE_1) | instskip(NEXT) | instid1(VALU_DEP_1)
	s_or_b32 exec_lo, exec_lo, s7
	v_dual_mul_f32 v3, s29, v2 :: v_dual_mov_b32 v7, v53
                                        ; implicit-def: $vgpr106
	s_mov_b32 s7, exec_lo
	s_delay_alu instid0(VALU_DEP_1) | instskip(SKIP_1) | instid1(VALU_DEP_2)
	v_and_b32_e32 v6, 0x7f800000, v3
	v_lshrrev_b32_e32 v2, 24, v3
	v_cmpx_ne_u64_e32 0x7f800000, v[6:7]
	s_xor_b32 s40, exec_lo, s7
	s_cbranch_execz .LBB6_7487
; %bb.7474:                             ;   in Loop: Header=BB6_6801 Depth=2
	v_and_b32_e32 v6, 0x7fffffff, v3
	v_mov_b32_e32 v7, v53
	v_and_b32_e32 v2, 0x80, v2
                                        ; implicit-def: $vgpr106
	s_mov_b32 s7, exec_lo
	s_delay_alu instid0(VALU_DEP_2)
	v_cmpx_gt_u64_e32 0x43e00001, v[6:7]
	s_xor_b32 s41, exec_lo, s7
	s_cbranch_execz .LBB6_7484
; %bb.7475:                             ;   in Loop: Header=BB6_6801 Depth=2
	v_mov_b32_e32 v106, 0
	s_mov_b32 s42, exec_lo
	v_cmpx_ne_u32_e32 0, v3
	s_cbranch_execz .LBB6_7483
; %bb.7476:                             ;   in Loop: Header=BB6_6801 Depth=2
	v_bfe_u32 v5, v3, 23, 8
	v_and_b32_e32 v3, 0x7fffff, v3
	s_delay_alu instid0(VALU_DEP_2) | instskip(SKIP_1) | instid1(VALU_DEP_3)
	v_dual_mov_b32 v11, v53 :: v_dual_sub_nc_u32 v6, 0x79, v5
	v_cmp_gt_u32_e32 vcc_lo, 0x7a, v5
	v_or_b32_e32 v10, 0x800000, v3
	s_delay_alu instid0(VALU_DEP_3) | instskip(SKIP_1) | instid1(VALU_DEP_3)
	v_cndmask_b32_e32 v6, 0, v6, vcc_lo
	v_cmp_eq_u32_e32 vcc_lo, 0, v5
	v_cndmask_b32_e32 v10, v10, v3, vcc_lo
	s_delay_alu instid0(VALU_DEP_3) | instskip(NEXT) | instid1(VALU_DEP_1)
	v_cndmask_b32_e64 v6, v6, 0x78, vcc_lo
	v_add_nc_u32_e32 v7, 20, v6
	s_delay_alu instid0(VALU_DEP_1) | instskip(SKIP_1) | instid1(VALU_DEP_1)
	v_lshlrev_b64_e64 v[8:9], v7, -1
	v_add_nc_u32_e32 v7, 19, v6
	v_lshlrev_b64_e64 v[14:15], v7, 1
	s_delay_alu instid0(VALU_DEP_3) | instskip(SKIP_2) | instid1(VALU_DEP_1)
	v_bfi_b32 v8, v8, 0, v10
	v_lshrrev_b64 v[10:11], v6, v[10:11]
	v_bfi_b32 v9, v9, 0, 0
	v_cmp_eq_u64_e64 s7, v[8:9], v[14:15]
	s_delay_alu instid0(VALU_DEP_3)
	v_mov_b64_e32 v[14:15], v[10:11]
	s_and_saveexec_b32 s43, s7
; %bb.7477:                             ;   in Loop: Header=BB6_6801 Depth=2
	v_bfe_u32 v8, v10, 20, 1
	v_mov_b32_e32 v9, v53
	s_delay_alu instid0(VALU_DEP_1) | instskip(NEXT) | instid1(VALU_DEP_1)
	v_add_nc_u64_e32 v[8:9], v[10:11], v[8:9]
	v_add_nc_u64_e32 v[14:15], -1, v[8:9]
; %bb.7478:                             ;   in Loop: Header=BB6_6801 Depth=2
	s_or_b32 exec_lo, exec_lo, s43
	v_add_nc_u32_e32 v3, 0xffffff81, v5
	v_lshrrev_b32_e32 v5, 23, v10
	s_mov_b32 s7, exec_lo
	v_mov_b32_e32 v11, v53
	s_delay_alu instid0(VALU_DEP_3) | instskip(NEXT) | instid1(VALU_DEP_1)
	v_cndmask_b32_e64 v3, v3, 0xffffff82, vcc_lo
	v_add3_u32 v5, v6, v3, v5
	v_and_b32_e32 v3, 0xfffff, v14
	s_delay_alu instid0(VALU_DEP_1) | instskip(NEXT) | instid1(VALU_DEP_1)
	v_dual_add_nc_u32 v6, 6, v5 :: v_dual_add_nc_u32 v10, v3, v10
                                        ; implicit-def: $vgpr3
	v_cmpx_ne_u32_e32 0, v6
	s_xor_b32 s7, exec_lo, s7
; %bb.7479:                             ;   in Loop: Header=BB6_6801 Depth=2
	s_delay_alu instid0(VALU_DEP_2) | instskip(SKIP_2) | instid1(VALU_DEP_2)
	v_cmp_lt_u64_e32 vcc_lo, 0xffffff, v[10:11]
	v_add_nc_u32_e32 v3, 7, v5
	v_cndmask_b32_e64 v5, 0, 1, vcc_lo
	v_cndmask_b32_e32 v3, v6, v3, vcc_lo
	s_delay_alu instid0(VALU_DEP_2)
	v_lshrrev_b64 v[10:11], v5, v[10:11]
; %bb.7480:                             ;   in Loop: Header=BB6_6801 Depth=2
	s_and_not1_saveexec_b32 s7, s7
; %bb.7481:                             ;   in Loop: Header=BB6_6801 Depth=2
	s_delay_alu instid0(VALU_DEP_1)
	v_bfe_u32 v3, v10, 23, 1
; %bb.7482:                             ;   in Loop: Header=BB6_6801 Depth=2
	s_or_b32 exec_lo, exec_lo, s7
	s_delay_alu instid0(VALU_DEP_2) | instskip(NEXT) | instid1(VALU_DEP_2)
	v_lshrrev_b64 v[6:7], 20, v[10:11]
	v_cmp_gt_i32_e32 vcc_lo, 16, v3
	v_min_i32_e32 v5, 15, v3
	v_cmp_eq_u32_e64 s7, 0, v3
	s_delay_alu instid0(VALU_DEP_2) | instskip(SKIP_1) | instid1(VALU_DEP_2)
	v_dual_cndmask_b32 v6, 7, v6 :: v_dual_lshlrev_b32 v5, 3, v5
	v_cndmask_b32_e32 v7, 0, v7, vcc_lo
	v_and_b32_e32 v5, 0xf8, v5
	s_delay_alu instid0(VALU_DEP_2) | instskip(NEXT) | instid1(VALU_DEP_2)
	v_cmp_eq_u64_e32 vcc_lo, 0, v[6:7]
	v_and_or_b32 v3, v6, 7, v5
	s_and_b32 s7, s7, vcc_lo
	s_delay_alu instid0(VALU_DEP_1) | instid1(SALU_CYCLE_1)
	v_cndmask_b32_e64 v3, v3, 0, s7
	s_delay_alu instid0(VALU_DEP_1)
	v_or_b32_e32 v106, v3, v2
.LBB6_7483:                             ;   in Loop: Header=BB6_6801 Depth=2
	s_or_b32 exec_lo, exec_lo, s42
                                        ; implicit-def: $vgpr2
.LBB6_7484:                             ;   in Loop: Header=BB6_6801 Depth=2
	s_and_not1_saveexec_b32 s7, s41
; %bb.7485:                             ;   in Loop: Header=BB6_6801 Depth=2
	v_or_b32_e32 v106, 0x7e, v2
; %bb.7486:                             ;   in Loop: Header=BB6_6801 Depth=2
	s_or_b32 exec_lo, exec_lo, s7
                                        ; implicit-def: $vgpr2
.LBB6_7487:                             ;   in Loop: Header=BB6_6801 Depth=2
	s_and_not1_saveexec_b32 s7, s40
; %bb.7488:                             ;   in Loop: Header=BB6_6801 Depth=2
	v_or_b32_e32 v106, 0x7f, v2
; %bb.7489:                             ;   in Loop: Header=BB6_6801 Depth=2
	s_or_b32 exec_lo, exec_lo, s7
	v_lshrrev_b16 v3, 8, v52
	v_mov_b32_e32 v2, 0
	s_mov_b32 s7, exec_lo
	s_delay_alu instid0(VALU_DEP_2)
	v_cmpx_ne_u16_e32 0, v3
	s_cbranch_execz .LBB6_7497
; %bb.7490:                             ;   in Loop: Header=BB6_6801 Depth=2
	v_bfrev_b32_e32 v2, 1
	s_mov_b32 s40, exec_lo
	v_cmpx_ne_u16_e32 0x80, v3
	s_cbranch_execz .LBB6_7496
; %bb.7491:                             ;   in Loop: Header=BB6_6801 Depth=2
	v_and_b32_e32 v5, 0xffff, v3
	v_mov_b32_e32 v2, 0x7f800001
	s_mov_b32 s41, exec_lo
	s_delay_alu instid0(VALU_DEP_2) | instskip(NEXT) | instid1(VALU_DEP_1)
	v_and_b32_e32 v3, 0x7f, v5
	v_cmpx_ne_u32_e32 0x7f, v3
	s_cbranch_execz .LBB6_7495
; %bb.7492:                             ;   in Loop: Header=BB6_6801 Depth=2
	v_dual_mov_b32 v11, v53 :: v_dual_bitop2_b32 v10, 7, v5 bitop3:0x40
	v_lshrrev_b32_e32 v2, 3, v3
	s_mov_b32 s42, exec_lo
	v_cmpx_gt_u32_e32 8, v3
; %bb.7493:                             ;   in Loop: Header=BB6_6801 Depth=2
	s_delay_alu instid0(VALU_DEP_3) | instskip(NEXT) | instid1(VALU_DEP_1)
	v_clz_i32_u32_e32 v2, v10
	v_min_u32_e32 v2, 32, v2
	s_delay_alu instid0(VALU_DEP_1) | instskip(SKIP_1) | instid1(VALU_DEP_2)
	v_subrev_nc_u32_e32 v3, 28, v2
	v_sub_nc_u32_e32 v2, 29, v2
	v_lshlrev_b64_e32 v[6:7], v3, v[10:11]
	s_delay_alu instid0(VALU_DEP_1)
	v_and_b32_e32 v10, 7, v6
; %bb.7494:                             ;   in Loop: Header=BB6_6801 Depth=2
	s_or_b32 exec_lo, exec_lo, s42
	s_delay_alu instid0(VALU_DEP_1) | instskip(SKIP_1) | instid1(VALU_DEP_2)
	v_dual_lshlrev_b32 v3, 16, v52 :: v_dual_lshlrev_b32 v5, 20, v10
	v_lshl_add_u32 v2, v2, 23, 0x3c000000
	v_and_b32_e32 v3, 0x80000000, v3
	s_delay_alu instid0(VALU_DEP_1)
	v_or3_b32 v2, v5, v3, v2
.LBB6_7495:                             ;   in Loop: Header=BB6_6801 Depth=2
	s_or_b32 exec_lo, exec_lo, s41
.LBB6_7496:                             ;   in Loop: Header=BB6_6801 Depth=2
	s_delay_alu instid0(SALU_CYCLE_1)
	s_or_b32 exec_lo, exec_lo, s40
.LBB6_7497:                             ;   in Loop: Header=BB6_6801 Depth=2
	s_delay_alu instid0(SALU_CYCLE_1) | instskip(NEXT) | instid1(VALU_DEP_1)
	s_or_b32 exec_lo, exec_lo, s7
	v_mul_f32_e32 v3, s29, v2
                                        ; implicit-def: $vgpr108
	s_mov_b32 s7, exec_lo
	s_delay_alu instid0(VALU_DEP_1) | instskip(SKIP_1) | instid1(VALU_DEP_2)
	v_and_b32_e32 v52, 0x7f800000, v3
	v_lshrrev_b32_e32 v2, 24, v3
	v_cmpx_ne_u64_e32 0x7f800000, v[52:53]
	s_xor_b32 s40, exec_lo, s7
	s_cbranch_execz .LBB6_7511
; %bb.7498:                             ;   in Loop: Header=BB6_6801 Depth=2
	v_and_b32_e32 v52, 0x7fffffff, v3
	v_and_b32_e32 v2, 0x80, v2
                                        ; implicit-def: $vgpr108
	s_mov_b32 s7, exec_lo
	s_delay_alu instid0(VALU_DEP_2)
	v_cmpx_gt_u64_e32 0x43e00001, v[52:53]
	s_xor_b32 s41, exec_lo, s7
	s_cbranch_execz .LBB6_7508
; %bb.7499:                             ;   in Loop: Header=BB6_6801 Depth=2
	v_mov_b32_e32 v108, 0
	s_mov_b32 s42, exec_lo
	v_cmpx_ne_u32_e32 0, v3
	s_cbranch_execz .LBB6_7507
; %bb.7500:                             ;   in Loop: Header=BB6_6801 Depth=2
	v_bfe_u32 v5, v3, 23, 8
	v_and_b32_e32 v3, 0x7fffff, v3
	s_delay_alu instid0(VALU_DEP_2) | instskip(SKIP_1) | instid1(VALU_DEP_3)
	v_sub_nc_u32_e32 v6, 0x79, v5
	v_cmp_gt_u32_e32 vcc_lo, 0x7a, v5
	v_or_b32_e32 v10, 0x800000, v3
	s_delay_alu instid0(VALU_DEP_3) | instskip(SKIP_1) | instid1(VALU_DEP_3)
	v_cndmask_b32_e32 v6, 0, v6, vcc_lo
	v_cmp_eq_u32_e32 vcc_lo, 0, v5
	v_cndmask_b32_e32 v52, v10, v3, vcc_lo
	s_delay_alu instid0(VALU_DEP_3) | instskip(NEXT) | instid1(VALU_DEP_1)
	v_cndmask_b32_e64 v6, v6, 0x78, vcc_lo
	v_add_nc_u32_e32 v7, 20, v6
	s_delay_alu instid0(VALU_DEP_3) | instskip(NEXT) | instid1(VALU_DEP_2)
	v_lshrrev_b64 v[10:11], v6, v[52:53]
	v_lshlrev_b64_e64 v[8:9], v7, -1
	v_add_nc_u32_e32 v7, 19, v6
	s_delay_alu instid0(VALU_DEP_1) | instskip(NEXT) | instid1(VALU_DEP_3)
	v_lshlrev_b64_e64 v[14:15], v7, 1
	v_bfi_b32 v9, v9, 0, 0
	s_delay_alu instid0(VALU_DEP_4) | instskip(NEXT) | instid1(VALU_DEP_1)
	v_bfi_b32 v8, v8, 0, v52
	v_cmp_eq_u64_e64 s7, v[8:9], v[14:15]
	v_mov_b64_e32 v[14:15], v[10:11]
	s_and_saveexec_b32 s43, s7
; %bb.7501:                             ;   in Loop: Header=BB6_6801 Depth=2
	v_bfe_u32 v52, v10, 20, 1
	s_delay_alu instid0(VALU_DEP_1) | instskip(NEXT) | instid1(VALU_DEP_1)
	v_add_nc_u64_e32 v[8:9], v[10:11], v[52:53]
	v_add_nc_u64_e32 v[14:15], -1, v[8:9]
; %bb.7502:                             ;   in Loop: Header=BB6_6801 Depth=2
	s_or_b32 exec_lo, exec_lo, s43
	v_add_nc_u32_e32 v3, 0xffffff81, v5
	v_lshrrev_b32_e32 v5, 23, v10
	s_mov_b32 s7, exec_lo
	s_delay_alu instid0(VALU_DEP_2) | instskip(NEXT) | instid1(VALU_DEP_1)
	v_cndmask_b32_e64 v3, v3, 0xffffff82, vcc_lo
	v_add3_u32 v5, v6, v3, v5
	v_and_b32_e32 v3, 0xfffff, v14
	s_delay_alu instid0(VALU_DEP_1) | instskip(NEXT) | instid1(VALU_DEP_1)
	v_dual_add_nc_u32 v6, 6, v5 :: v_dual_add_nc_u32 v52, v3, v10
                                        ; implicit-def: $vgpr10_vgpr11
                                        ; implicit-def: $vgpr3
	v_cmpx_ne_u32_e32 0, v6
	s_xor_b32 s7, exec_lo, s7
; %bb.7503:                             ;   in Loop: Header=BB6_6801 Depth=2
	s_delay_alu instid0(VALU_DEP_2) | instskip(SKIP_2) | instid1(VALU_DEP_2)
	v_cmp_lt_u64_e32 vcc_lo, 0xffffff, v[52:53]
	v_add_nc_u32_e32 v3, 7, v5
	v_cndmask_b32_e64 v5, 0, 1, vcc_lo
	v_cndmask_b32_e32 v3, v6, v3, vcc_lo
	s_delay_alu instid0(VALU_DEP_2)
	v_lshrrev_b64 v[10:11], v5, v[52:53]
; %bb.7504:                             ;   in Loop: Header=BB6_6801 Depth=2
	s_and_not1_saveexec_b32 s7, s7
; %bb.7505:                             ;   in Loop: Header=BB6_6801 Depth=2
	v_mov_b64_e32 v[10:11], v[52:53]
	v_bfe_u32 v3, v52, 23, 1
; %bb.7506:                             ;   in Loop: Header=BB6_6801 Depth=2
	s_or_b32 exec_lo, exec_lo, s7
	s_delay_alu instid0(VALU_DEP_2) | instskip(NEXT) | instid1(VALU_DEP_2)
	v_lshrrev_b64 v[6:7], 20, v[10:11]
	v_cmp_gt_i32_e32 vcc_lo, 16, v3
	v_min_i32_e32 v5, 15, v3
	v_cmp_eq_u32_e64 s7, 0, v3
	s_delay_alu instid0(VALU_DEP_2) | instskip(SKIP_1) | instid1(VALU_DEP_2)
	v_dual_cndmask_b32 v6, 7, v6 :: v_dual_lshlrev_b32 v5, 3, v5
	v_cndmask_b32_e32 v7, 0, v7, vcc_lo
	v_and_b32_e32 v5, 0xf8, v5
	s_delay_alu instid0(VALU_DEP_2) | instskip(NEXT) | instid1(VALU_DEP_2)
	v_cmp_eq_u64_e32 vcc_lo, 0, v[6:7]
	v_and_or_b32 v3, v6, 7, v5
	s_and_b32 s7, s7, vcc_lo
	s_delay_alu instid0(VALU_DEP_1) | instid1(SALU_CYCLE_1)
	v_cndmask_b32_e64 v3, v3, 0, s7
	s_delay_alu instid0(VALU_DEP_1)
	v_or_b32_e32 v108, v3, v2
.LBB6_7507:                             ;   in Loop: Header=BB6_6801 Depth=2
	s_or_b32 exec_lo, exec_lo, s42
                                        ; implicit-def: $vgpr2
.LBB6_7508:                             ;   in Loop: Header=BB6_6801 Depth=2
	s_and_not1_saveexec_b32 s7, s41
; %bb.7509:                             ;   in Loop: Header=BB6_6801 Depth=2
	v_or_b32_e32 v108, 0x7e, v2
; %bb.7510:                             ;   in Loop: Header=BB6_6801 Depth=2
	s_or_b32 exec_lo, exec_lo, s7
                                        ; implicit-def: $vgpr2
.LBB6_7511:                             ;   in Loop: Header=BB6_6801 Depth=2
	s_and_not1_saveexec_b32 s7, s40
; %bb.7512:                             ;   in Loop: Header=BB6_6801 Depth=2
	v_or_b32_e32 v108, 0x7f, v2
; %bb.7513:                             ;   in Loop: Header=BB6_6801 Depth=2
	s_or_b32 exec_lo, exec_lo, s7
	v_dual_mov_b32 v3, 0 :: v_dual_lshrrev_b32 v2, 16, v13
	s_mov_b32 s7, exec_lo
	s_delay_alu instid0(VALU_DEP_1) | instskip(NEXT) | instid1(VALU_DEP_1)
	v_and_b32_e32 v5, 0xff, v2
	v_cmpx_ne_u16_e32 0, v5
	s_cbranch_execz .LBB6_7521
; %bb.7514:                             ;   in Loop: Header=BB6_6801 Depth=2
	v_bfrev_b32_e32 v3, 1
	s_mov_b32 s40, exec_lo
	v_cmpx_ne_u16_e32 0x80, v5
	s_cbranch_execz .LBB6_7520
; %bb.7515:                             ;   in Loop: Header=BB6_6801 Depth=2
	v_bfe_u32 v5, v13, 16, 7
	v_mov_b32_e32 v3, 0x7f800001
	s_mov_b32 s41, exec_lo
	s_delay_alu instid0(VALU_DEP_2)
	v_cmpx_ne_u32_e32 0x7f, v5
	s_cbranch_execz .LBB6_7519
; %bb.7516:                             ;   in Loop: Header=BB6_6801 Depth=2
	v_dual_lshrrev_b32 v3, 3, v5 :: v_dual_bitop2_b32 v52, 7, v2 bitop3:0x40
	s_mov_b32 s42, exec_lo
	s_delay_alu instid0(VALU_DEP_1)
	v_mov_b64_e32 v[10:11], v[52:53]
	v_cmpx_gt_u32_e32 8, v5
; %bb.7517:                             ;   in Loop: Header=BB6_6801 Depth=2
	v_clz_i32_u32_e32 v3, v52
	s_delay_alu instid0(VALU_DEP_1) | instskip(NEXT) | instid1(VALU_DEP_1)
	v_min_u32_e32 v3, 32, v3
	v_subrev_nc_u32_e32 v5, 28, v3
	s_delay_alu instid0(VALU_DEP_1) | instskip(NEXT) | instid1(VALU_DEP_1)
	v_lshlrev_b64_e32 v[6:7], v5, v[52:53]
	v_dual_sub_nc_u32 v3, 29, v3 :: v_dual_bitop2_b32 v10, 7, v6 bitop3:0x40
; %bb.7518:                             ;   in Loop: Header=BB6_6801 Depth=2
	s_or_b32 exec_lo, exec_lo, s42
	v_lshlrev_b32_e32 v2, 24, v2
	s_delay_alu instid0(VALU_DEP_2) | instskip(NEXT) | instid1(VALU_DEP_3)
	v_lshlrev_b32_e32 v5, 20, v10
	v_lshl_add_u32 v3, v3, 23, 0x3c000000
	s_delay_alu instid0(VALU_DEP_3) | instskip(NEXT) | instid1(VALU_DEP_1)
	v_and_b32_e32 v2, 0x80000000, v2
	v_or3_b32 v3, v5, v2, v3
.LBB6_7519:                             ;   in Loop: Header=BB6_6801 Depth=2
	s_or_b32 exec_lo, exec_lo, s41
.LBB6_7520:                             ;   in Loop: Header=BB6_6801 Depth=2
	s_delay_alu instid0(SALU_CYCLE_1)
	s_or_b32 exec_lo, exec_lo, s40
.LBB6_7521:                             ;   in Loop: Header=BB6_6801 Depth=2
	s_delay_alu instid0(SALU_CYCLE_1) | instskip(NEXT) | instid1(VALU_DEP_1)
	s_or_b32 exec_lo, exec_lo, s7
	v_mul_f32_e32 v3, s29, v3
                                        ; implicit-def: $vgpr120
	s_mov_b32 s7, exec_lo
	s_delay_alu instid0(VALU_DEP_1) | instskip(SKIP_1) | instid1(VALU_DEP_2)
	v_and_b32_e32 v52, 0x7f800000, v3
	v_lshrrev_b32_e32 v2, 24, v3
	v_cmpx_ne_u64_e32 0x7f800000, v[52:53]
	s_xor_b32 s40, exec_lo, s7
	s_cbranch_execz .LBB6_7535
; %bb.7522:                             ;   in Loop: Header=BB6_6801 Depth=2
	v_and_b32_e32 v52, 0x7fffffff, v3
	v_and_b32_e32 v2, 0x80, v2
                                        ; implicit-def: $vgpr120
	s_mov_b32 s7, exec_lo
	s_delay_alu instid0(VALU_DEP_2)
	v_cmpx_gt_u64_e32 0x43e00001, v[52:53]
	s_xor_b32 s41, exec_lo, s7
	s_cbranch_execz .LBB6_7532
; %bb.7523:                             ;   in Loop: Header=BB6_6801 Depth=2
	v_mov_b32_e32 v120, 0
	s_mov_b32 s42, exec_lo
	v_cmpx_ne_u32_e32 0, v3
	s_cbranch_execz .LBB6_7531
; %bb.7524:                             ;   in Loop: Header=BB6_6801 Depth=2
	v_bfe_u32 v5, v3, 23, 8
	v_and_b32_e32 v3, 0x7fffff, v3
	s_delay_alu instid0(VALU_DEP_2) | instskip(SKIP_1) | instid1(VALU_DEP_3)
	v_sub_nc_u32_e32 v6, 0x79, v5
	v_cmp_gt_u32_e32 vcc_lo, 0x7a, v5
	v_or_b32_e32 v10, 0x800000, v3
	s_delay_alu instid0(VALU_DEP_3) | instskip(SKIP_1) | instid1(VALU_DEP_3)
	v_cndmask_b32_e32 v6, 0, v6, vcc_lo
	v_cmp_eq_u32_e32 vcc_lo, 0, v5
	v_cndmask_b32_e32 v52, v10, v3, vcc_lo
	s_delay_alu instid0(VALU_DEP_3) | instskip(NEXT) | instid1(VALU_DEP_1)
	v_cndmask_b32_e64 v6, v6, 0x78, vcc_lo
	v_add_nc_u32_e32 v7, 20, v6
	s_delay_alu instid0(VALU_DEP_3) | instskip(NEXT) | instid1(VALU_DEP_2)
	v_lshrrev_b64 v[10:11], v6, v[52:53]
	v_lshlrev_b64_e64 v[8:9], v7, -1
	v_add_nc_u32_e32 v7, 19, v6
	s_delay_alu instid0(VALU_DEP_1) | instskip(NEXT) | instid1(VALU_DEP_3)
	v_lshlrev_b64_e64 v[14:15], v7, 1
	v_bfi_b32 v9, v9, 0, 0
	s_delay_alu instid0(VALU_DEP_4) | instskip(NEXT) | instid1(VALU_DEP_1)
	v_bfi_b32 v8, v8, 0, v52
	v_cmp_eq_u64_e64 s7, v[8:9], v[14:15]
	v_mov_b64_e32 v[14:15], v[10:11]
	s_and_saveexec_b32 s43, s7
; %bb.7525:                             ;   in Loop: Header=BB6_6801 Depth=2
	v_bfe_u32 v52, v10, 20, 1
	s_delay_alu instid0(VALU_DEP_1) | instskip(NEXT) | instid1(VALU_DEP_1)
	v_add_nc_u64_e32 v[8:9], v[10:11], v[52:53]
	v_add_nc_u64_e32 v[14:15], -1, v[8:9]
; %bb.7526:                             ;   in Loop: Header=BB6_6801 Depth=2
	s_or_b32 exec_lo, exec_lo, s43
	v_add_nc_u32_e32 v3, 0xffffff81, v5
	v_lshrrev_b32_e32 v5, 23, v10
	s_mov_b32 s7, exec_lo
	s_delay_alu instid0(VALU_DEP_2) | instskip(NEXT) | instid1(VALU_DEP_1)
	v_cndmask_b32_e64 v3, v3, 0xffffff82, vcc_lo
	v_add3_u32 v5, v6, v3, v5
	v_and_b32_e32 v3, 0xfffff, v14
	s_delay_alu instid0(VALU_DEP_1) | instskip(NEXT) | instid1(VALU_DEP_1)
	v_dual_add_nc_u32 v6, 6, v5 :: v_dual_add_nc_u32 v52, v3, v10
                                        ; implicit-def: $vgpr10_vgpr11
                                        ; implicit-def: $vgpr3
	v_cmpx_ne_u32_e32 0, v6
	s_xor_b32 s7, exec_lo, s7
; %bb.7527:                             ;   in Loop: Header=BB6_6801 Depth=2
	s_delay_alu instid0(VALU_DEP_2) | instskip(SKIP_2) | instid1(VALU_DEP_2)
	v_cmp_lt_u64_e32 vcc_lo, 0xffffff, v[52:53]
	v_add_nc_u32_e32 v3, 7, v5
	v_cndmask_b32_e64 v5, 0, 1, vcc_lo
	v_cndmask_b32_e32 v3, v6, v3, vcc_lo
	s_delay_alu instid0(VALU_DEP_2)
	v_lshrrev_b64 v[10:11], v5, v[52:53]
; %bb.7528:                             ;   in Loop: Header=BB6_6801 Depth=2
	s_and_not1_saveexec_b32 s7, s7
; %bb.7529:                             ;   in Loop: Header=BB6_6801 Depth=2
	v_mov_b64_e32 v[10:11], v[52:53]
	v_bfe_u32 v3, v52, 23, 1
; %bb.7530:                             ;   in Loop: Header=BB6_6801 Depth=2
	s_or_b32 exec_lo, exec_lo, s7
	s_delay_alu instid0(VALU_DEP_2) | instskip(NEXT) | instid1(VALU_DEP_2)
	v_lshrrev_b64 v[6:7], 20, v[10:11]
	v_cmp_gt_i32_e32 vcc_lo, 16, v3
	v_min_i32_e32 v5, 15, v3
	v_cmp_eq_u32_e64 s7, 0, v3
	s_delay_alu instid0(VALU_DEP_2) | instskip(SKIP_1) | instid1(VALU_DEP_2)
	v_dual_cndmask_b32 v6, 7, v6 :: v_dual_lshlrev_b32 v5, 3, v5
	v_cndmask_b32_e32 v7, 0, v7, vcc_lo
	v_and_b32_e32 v5, 0xf8, v5
	s_delay_alu instid0(VALU_DEP_2) | instskip(NEXT) | instid1(VALU_DEP_2)
	v_cmp_eq_u64_e32 vcc_lo, 0, v[6:7]
	v_and_or_b32 v3, v6, 7, v5
	s_and_b32 s7, s7, vcc_lo
	s_delay_alu instid0(VALU_DEP_1) | instid1(SALU_CYCLE_1)
	v_cndmask_b32_e64 v3, v3, 0, s7
	s_delay_alu instid0(VALU_DEP_1)
	v_or_b32_e32 v120, v3, v2
.LBB6_7531:                             ;   in Loop: Header=BB6_6801 Depth=2
	s_or_b32 exec_lo, exec_lo, s42
                                        ; implicit-def: $vgpr2
.LBB6_7532:                             ;   in Loop: Header=BB6_6801 Depth=2
	s_and_not1_saveexec_b32 s7, s41
; %bb.7533:                             ;   in Loop: Header=BB6_6801 Depth=2
	v_or_b32_e32 v120, 0x7e, v2
; %bb.7534:                             ;   in Loop: Header=BB6_6801 Depth=2
	s_or_b32 exec_lo, exec_lo, s7
                                        ; implicit-def: $vgpr2
.LBB6_7535:                             ;   in Loop: Header=BB6_6801 Depth=2
	s_and_not1_saveexec_b32 s7, s40
; %bb.7536:                             ;   in Loop: Header=BB6_6801 Depth=2
	v_or_b32_e32 v120, 0x7f, v2
; %bb.7537:                             ;   in Loop: Header=BB6_6801 Depth=2
	s_or_b32 exec_lo, exec_lo, s7
	v_mov_b32_e32 v3, 0
	s_mov_b32 s7, exec_lo
	v_cmpx_lt_u64_e64 s[12:13], v[12:13]
	s_cbranch_execz .LBB6_7545
; %bb.7538:                             ;   in Loop: Header=BB6_6801 Depth=2
	v_lshrrev_b32_e32 v2, 24, v13
	v_bfrev_b32_e32 v3, 1
	s_mov_b32 s40, exec_lo
	s_delay_alu instid0(VALU_DEP_2)
	v_cmpx_ne_u32_e32 0x80, v2
	s_cbranch_execz .LBB6_7544
; %bb.7539:                             ;   in Loop: Header=BB6_6801 Depth=2
	v_bfe_u32 v5, v13, 24, 7
	v_mov_b32_e32 v3, 0x7f800001
	s_mov_b32 s41, exec_lo
	s_delay_alu instid0(VALU_DEP_2)
	v_cmpx_ne_u32_e32 0x7f, v5
	s_cbranch_execz .LBB6_7543
; %bb.7540:                             ;   in Loop: Header=BB6_6801 Depth=2
	v_dual_lshrrev_b32 v3, 3, v5 :: v_dual_bitop2_b32 v52, 7, v2 bitop3:0x40
	s_mov_b32 s42, exec_lo
	s_delay_alu instid0(VALU_DEP_1)
	v_mov_b64_e32 v[10:11], v[52:53]
	v_cmpx_gt_u32_e32 8, v5
; %bb.7541:                             ;   in Loop: Header=BB6_6801 Depth=2
	v_clz_i32_u32_e32 v3, v52
	s_delay_alu instid0(VALU_DEP_1) | instskip(NEXT) | instid1(VALU_DEP_1)
	v_min_u32_e32 v3, 32, v3
	v_subrev_nc_u32_e32 v5, 28, v3
	s_delay_alu instid0(VALU_DEP_1) | instskip(NEXT) | instid1(VALU_DEP_1)
	v_lshlrev_b64_e32 v[6:7], v5, v[52:53]
	v_dual_sub_nc_u32 v3, 29, v3 :: v_dual_bitop2_b32 v10, 7, v6 bitop3:0x40
; %bb.7542:                             ;   in Loop: Header=BB6_6801 Depth=2
	s_or_b32 exec_lo, exec_lo, s42
	v_lshlrev_b32_e32 v2, 24, v2
	s_delay_alu instid0(VALU_DEP_2) | instskip(NEXT) | instid1(VALU_DEP_3)
	v_lshlrev_b32_e32 v5, 20, v10
	v_lshl_add_u32 v3, v3, 23, 0x3c000000
	s_delay_alu instid0(VALU_DEP_3) | instskip(NEXT) | instid1(VALU_DEP_1)
	v_and_b32_e32 v2, 0x80000000, v2
	v_or3_b32 v3, v5, v2, v3
.LBB6_7543:                             ;   in Loop: Header=BB6_6801 Depth=2
	s_or_b32 exec_lo, exec_lo, s41
.LBB6_7544:                             ;   in Loop: Header=BB6_6801 Depth=2
	s_delay_alu instid0(SALU_CYCLE_1)
	s_or_b32 exec_lo, exec_lo, s40
.LBB6_7545:                             ;   in Loop: Header=BB6_6801 Depth=2
	s_delay_alu instid0(SALU_CYCLE_1) | instskip(NEXT) | instid1(VALU_DEP_1)
	s_or_b32 exec_lo, exec_lo, s7
	v_mul_f32_e32 v3, s29, v3
                                        ; implicit-def: $vgpr123
	s_mov_b32 s7, exec_lo
	s_delay_alu instid0(VALU_DEP_1) | instskip(SKIP_1) | instid1(VALU_DEP_2)
	v_and_b32_e32 v52, 0x7f800000, v3
	v_lshrrev_b32_e32 v2, 24, v3
	v_cmpx_ne_u64_e32 0x7f800000, v[52:53]
	s_xor_b32 s40, exec_lo, s7
	s_cbranch_execz .LBB6_7559
; %bb.7546:                             ;   in Loop: Header=BB6_6801 Depth=2
	v_and_b32_e32 v52, 0x7fffffff, v3
	v_and_b32_e32 v2, 0x80, v2
                                        ; implicit-def: $vgpr123
	s_mov_b32 s7, exec_lo
	s_delay_alu instid0(VALU_DEP_2)
	v_cmpx_gt_u64_e32 0x43e00001, v[52:53]
	s_xor_b32 s41, exec_lo, s7
	s_cbranch_execz .LBB6_7556
; %bb.7547:                             ;   in Loop: Header=BB6_6801 Depth=2
	v_mov_b32_e32 v123, 0
	s_mov_b32 s42, exec_lo
	v_cmpx_ne_u32_e32 0, v3
	s_cbranch_execz .LBB6_7555
; %bb.7548:                             ;   in Loop: Header=BB6_6801 Depth=2
	v_bfe_u32 v5, v3, 23, 8
	v_and_b32_e32 v3, 0x7fffff, v3
	s_delay_alu instid0(VALU_DEP_2) | instskip(SKIP_1) | instid1(VALU_DEP_3)
	v_sub_nc_u32_e32 v6, 0x79, v5
	v_cmp_gt_u32_e32 vcc_lo, 0x7a, v5
	v_or_b32_e32 v10, 0x800000, v3
	s_delay_alu instid0(VALU_DEP_3) | instskip(SKIP_1) | instid1(VALU_DEP_3)
	v_cndmask_b32_e32 v6, 0, v6, vcc_lo
	v_cmp_eq_u32_e32 vcc_lo, 0, v5
	v_cndmask_b32_e32 v52, v10, v3, vcc_lo
	s_delay_alu instid0(VALU_DEP_3) | instskip(NEXT) | instid1(VALU_DEP_1)
	v_cndmask_b32_e64 v6, v6, 0x78, vcc_lo
	v_add_nc_u32_e32 v7, 20, v6
	s_delay_alu instid0(VALU_DEP_3) | instskip(NEXT) | instid1(VALU_DEP_2)
	v_lshrrev_b64 v[10:11], v6, v[52:53]
	v_lshlrev_b64_e64 v[8:9], v7, -1
	v_add_nc_u32_e32 v7, 19, v6
	s_delay_alu instid0(VALU_DEP_1) | instskip(NEXT) | instid1(VALU_DEP_3)
	v_lshlrev_b64_e64 v[12:13], v7, 1
	v_bfi_b32 v9, v9, 0, 0
	s_delay_alu instid0(VALU_DEP_4) | instskip(NEXT) | instid1(VALU_DEP_1)
	v_bfi_b32 v8, v8, 0, v52
	v_cmp_eq_u64_e64 s7, v[8:9], v[12:13]
	v_mov_b64_e32 v[12:13], v[10:11]
	s_and_saveexec_b32 s43, s7
; %bb.7549:                             ;   in Loop: Header=BB6_6801 Depth=2
	v_bfe_u32 v52, v10, 20, 1
	s_delay_alu instid0(VALU_DEP_1) | instskip(NEXT) | instid1(VALU_DEP_1)
	v_add_nc_u64_e32 v[8:9], v[10:11], v[52:53]
	v_add_nc_u64_e32 v[12:13], -1, v[8:9]
; %bb.7550:                             ;   in Loop: Header=BB6_6801 Depth=2
	s_or_b32 exec_lo, exec_lo, s43
	v_add_nc_u32_e32 v3, 0xffffff81, v5
	v_lshrrev_b32_e32 v5, 23, v10
	s_mov_b32 s7, exec_lo
	s_delay_alu instid0(VALU_DEP_2) | instskip(NEXT) | instid1(VALU_DEP_1)
	v_cndmask_b32_e64 v3, v3, 0xffffff82, vcc_lo
	v_add3_u32 v5, v6, v3, v5
	v_and_b32_e32 v3, 0xfffff, v12
	s_delay_alu instid0(VALU_DEP_1) | instskip(NEXT) | instid1(VALU_DEP_1)
	v_dual_add_nc_u32 v6, 6, v5 :: v_dual_add_nc_u32 v52, v3, v10
                                        ; implicit-def: $vgpr10_vgpr11
                                        ; implicit-def: $vgpr3
	v_cmpx_ne_u32_e32 0, v6
	s_xor_b32 s7, exec_lo, s7
; %bb.7551:                             ;   in Loop: Header=BB6_6801 Depth=2
	s_delay_alu instid0(VALU_DEP_2) | instskip(SKIP_2) | instid1(VALU_DEP_2)
	v_cmp_lt_u64_e32 vcc_lo, 0xffffff, v[52:53]
	v_add_nc_u32_e32 v3, 7, v5
	v_cndmask_b32_e64 v5, 0, 1, vcc_lo
	v_cndmask_b32_e32 v3, v6, v3, vcc_lo
	s_delay_alu instid0(VALU_DEP_2)
	v_lshrrev_b64 v[10:11], v5, v[52:53]
; %bb.7552:                             ;   in Loop: Header=BB6_6801 Depth=2
	s_and_not1_saveexec_b32 s7, s7
; %bb.7553:                             ;   in Loop: Header=BB6_6801 Depth=2
	v_mov_b64_e32 v[10:11], v[52:53]
	v_bfe_u32 v3, v52, 23, 1
; %bb.7554:                             ;   in Loop: Header=BB6_6801 Depth=2
	s_or_b32 exec_lo, exec_lo, s7
	s_delay_alu instid0(VALU_DEP_2) | instskip(NEXT) | instid1(VALU_DEP_2)
	v_lshrrev_b64 v[6:7], 20, v[10:11]
	v_cmp_gt_i32_e32 vcc_lo, 16, v3
	v_min_i32_e32 v5, 15, v3
	v_cmp_eq_u32_e64 s7, 0, v3
	s_delay_alu instid0(VALU_DEP_2) | instskip(SKIP_1) | instid1(VALU_DEP_2)
	v_dual_cndmask_b32 v6, 7, v6 :: v_dual_lshlrev_b32 v5, 3, v5
	v_cndmask_b32_e32 v7, 0, v7, vcc_lo
	v_and_b32_e32 v5, 0xf8, v5
	s_delay_alu instid0(VALU_DEP_2) | instskip(NEXT) | instid1(VALU_DEP_2)
	v_cmp_eq_u64_e32 vcc_lo, 0, v[6:7]
	v_and_or_b32 v3, v6, 7, v5
	s_and_b32 s7, s7, vcc_lo
	s_delay_alu instid0(VALU_DEP_1) | instid1(SALU_CYCLE_1)
	v_cndmask_b32_e64 v3, v3, 0, s7
	s_delay_alu instid0(VALU_DEP_1)
	v_or_b32_e32 v123, v3, v2
.LBB6_7555:                             ;   in Loop: Header=BB6_6801 Depth=2
	s_or_b32 exec_lo, exec_lo, s42
                                        ; implicit-def: $vgpr2
.LBB6_7556:                             ;   in Loop: Header=BB6_6801 Depth=2
	s_and_not1_saveexec_b32 s7, s41
; %bb.7557:                             ;   in Loop: Header=BB6_6801 Depth=2
	v_or_b32_e32 v123, 0x7e, v2
; %bb.7558:                             ;   in Loop: Header=BB6_6801 Depth=2
	s_or_b32 exec_lo, exec_lo, s7
                                        ; implicit-def: $vgpr2
.LBB6_7559:                             ;   in Loop: Header=BB6_6801 Depth=2
	s_and_not1_saveexec_b32 s7, s40
; %bb.7560:                             ;   in Loop: Header=BB6_6801 Depth=2
	v_or_b32_e32 v123, 0x7f, v2
; %bb.7561:                             ;   in Loop: Header=BB6_6801 Depth=2
	s_or_b32 exec_lo, exec_lo, s7
	global_load_b128 v[10:13], v[98:99], off offset:1024 th:TH_LOAD_NT
	v_mov_b32_e32 v2, 0
	s_mov_b32 s7, exec_lo
	s_wait_loadcnt 0x0
	v_and_b32_e32 v3, 0xff, v10
	s_wait_xcnt 0x0
	s_delay_alu instid0(VALU_DEP_1)
	v_cmpx_ne_u16_e32 0, v3
	s_cbranch_execz .LBB6_7567
; %bb.7562:                             ;   in Loop: Header=BB6_6801 Depth=2
	v_bfrev_b32_e32 v2, 1
	s_mov_b32 s40, exec_lo
	v_cmpx_ne_u16_e32 0x80, v3
	s_cbranch_execz .LBB6_7566
; %bb.7563:                             ;   in Loop: Header=BB6_6801 Depth=2
	v_and_b32_e32 v3, 0x7f, v10
	v_mov_b32_e32 v2, 0x7f800001
	s_mov_b32 s41, exec_lo
	s_delay_alu instid0(VALU_DEP_2)
	v_cmpx_ne_u32_e32 0x7f, v3
	s_cbranch_execz .LBB6_7565
; %bb.7564:                             ;   in Loop: Header=BB6_6801 Depth=2
	v_dual_lshrrev_b32 v5, 3, v3 :: v_dual_bitop2_b32 v2, 7, v10 bitop3:0x40
	v_cmp_gt_u32_e32 vcc_lo, 8, v3
	s_delay_alu instid0(VALU_DEP_2) | instskip(NEXT) | instid1(VALU_DEP_1)
	v_clz_i32_u32_e32 v2, v2
	v_min_u32_e32 v2, 32, v2
	s_delay_alu instid0(VALU_DEP_1) | instskip(SKIP_1) | instid1(VALU_DEP_1)
	v_subrev_nc_u32_e32 v6, 28, v2
	v_sub_nc_u32_e32 v2, 29, v2
	v_cndmask_b32_e32 v5, v5, v2, vcc_lo
	s_delay_alu instid0(VALU_DEP_3) | instskip(NEXT) | instid1(VALU_DEP_1)
	v_cndmask_b32_e32 v2, 0, v6, vcc_lo
	v_lshlrev_b64_e32 v[2:3], v2, v[10:11]
	v_lshlrev_b32_e32 v3, 24, v10
	s_delay_alu instid0(VALU_DEP_1) | instskip(NEXT) | instid1(VALU_DEP_3)
	v_and_b32_e32 v3, 0x80000000, v3
	v_lshlrev_b32_e32 v2, 20, v2
	v_lshl_add_u32 v5, v5, 23, 0x3c000000
	s_delay_alu instid0(VALU_DEP_2) | instskip(NEXT) | instid1(VALU_DEP_1)
	v_and_b32_e32 v2, 0x700000, v2
	v_or3_b32 v2, v2, v3, v5
.LBB6_7565:                             ;   in Loop: Header=BB6_6801 Depth=2
	s_or_b32 exec_lo, exec_lo, s41
.LBB6_7566:                             ;   in Loop: Header=BB6_6801 Depth=2
	s_delay_alu instid0(SALU_CYCLE_1)
	s_or_b32 exec_lo, exec_lo, s40
.LBB6_7567:                             ;   in Loop: Header=BB6_6801 Depth=2
	s_delay_alu instid0(SALU_CYCLE_1) | instskip(NEXT) | instid1(VALU_DEP_1)
	s_or_b32 exec_lo, exec_lo, s7
	v_mul_f32_e32 v3, s29, v2
                                        ; implicit-def: $vgpr34
	s_mov_b32 s7, exec_lo
	s_delay_alu instid0(VALU_DEP_1) | instskip(SKIP_1) | instid1(VALU_DEP_2)
	v_and_b32_e32 v52, 0x7f800000, v3
	v_lshrrev_b32_e32 v2, 24, v3
	v_cmpx_ne_u64_e32 0x7f800000, v[52:53]
	s_xor_b32 s40, exec_lo, s7
	s_cbranch_execz .LBB6_7581
; %bb.7568:                             ;   in Loop: Header=BB6_6801 Depth=2
	v_and_b32_e32 v52, 0x7fffffff, v3
	v_and_b32_e32 v2, 0x80, v2
                                        ; implicit-def: $vgpr34
	s_mov_b32 s7, exec_lo
	s_delay_alu instid0(VALU_DEP_2)
	v_cmpx_gt_u64_e32 0x43e00001, v[52:53]
	s_xor_b32 s41, exec_lo, s7
	s_cbranch_execz .LBB6_7578
; %bb.7569:                             ;   in Loop: Header=BB6_6801 Depth=2
	v_mov_b32_e32 v34, 0
	s_mov_b32 s42, exec_lo
	v_cmpx_ne_u32_e32 0, v3
	s_cbranch_execz .LBB6_7577
; %bb.7570:                             ;   in Loop: Header=BB6_6801 Depth=2
	v_bfe_u32 v5, v3, 23, 8
	v_and_b32_e32 v3, 0x7fffff, v3
	s_delay_alu instid0(VALU_DEP_2) | instskip(SKIP_1) | instid1(VALU_DEP_3)
	v_sub_nc_u32_e32 v6, 0x79, v5
	v_cmp_gt_u32_e32 vcc_lo, 0x7a, v5
	v_or_b32_e32 v14, 0x800000, v3
	s_delay_alu instid0(VALU_DEP_3) | instskip(SKIP_1) | instid1(VALU_DEP_3)
	v_cndmask_b32_e32 v6, 0, v6, vcc_lo
	v_cmp_eq_u32_e32 vcc_lo, 0, v5
	v_cndmask_b32_e32 v52, v14, v3, vcc_lo
	s_delay_alu instid0(VALU_DEP_3) | instskip(NEXT) | instid1(VALU_DEP_1)
	v_cndmask_b32_e64 v6, v6, 0x78, vcc_lo
	v_add_nc_u32_e32 v7, 20, v6
	s_delay_alu instid0(VALU_DEP_3) | instskip(NEXT) | instid1(VALU_DEP_2)
	v_lshrrev_b64 v[14:15], v6, v[52:53]
	v_lshlrev_b64_e64 v[8:9], v7, -1
	v_add_nc_u32_e32 v7, 19, v6
	s_delay_alu instid0(VALU_DEP_1) | instskip(NEXT) | instid1(VALU_DEP_3)
	v_lshlrev_b64_e64 v[16:17], v7, 1
	v_bfi_b32 v9, v9, 0, 0
	s_delay_alu instid0(VALU_DEP_4) | instskip(NEXT) | instid1(VALU_DEP_1)
	v_bfi_b32 v8, v8, 0, v52
	v_cmp_eq_u64_e64 s7, v[8:9], v[16:17]
	v_mov_b64_e32 v[16:17], v[14:15]
	s_and_saveexec_b32 s43, s7
; %bb.7571:                             ;   in Loop: Header=BB6_6801 Depth=2
	v_bfe_u32 v52, v14, 20, 1
	s_delay_alu instid0(VALU_DEP_1) | instskip(NEXT) | instid1(VALU_DEP_1)
	v_add_nc_u64_e32 v[8:9], v[14:15], v[52:53]
	v_add_nc_u64_e32 v[16:17], -1, v[8:9]
; %bb.7572:                             ;   in Loop: Header=BB6_6801 Depth=2
	s_or_b32 exec_lo, exec_lo, s43
	v_add_nc_u32_e32 v3, 0xffffff81, v5
	v_lshrrev_b32_e32 v5, 23, v14
	s_mov_b32 s7, exec_lo
	s_delay_alu instid0(VALU_DEP_2) | instskip(NEXT) | instid1(VALU_DEP_1)
	v_cndmask_b32_e64 v3, v3, 0xffffff82, vcc_lo
	v_add3_u32 v5, v6, v3, v5
	v_and_b32_e32 v3, 0xfffff, v16
	s_delay_alu instid0(VALU_DEP_1) | instskip(NEXT) | instid1(VALU_DEP_1)
	v_dual_add_nc_u32 v6, 6, v5 :: v_dual_add_nc_u32 v52, v3, v14
                                        ; implicit-def: $vgpr14_vgpr15
                                        ; implicit-def: $vgpr3
	v_cmpx_ne_u32_e32 0, v6
	s_xor_b32 s7, exec_lo, s7
; %bb.7573:                             ;   in Loop: Header=BB6_6801 Depth=2
	s_delay_alu instid0(VALU_DEP_2) | instskip(SKIP_2) | instid1(VALU_DEP_2)
	v_cmp_lt_u64_e32 vcc_lo, 0xffffff, v[52:53]
	v_add_nc_u32_e32 v3, 7, v5
	v_cndmask_b32_e64 v5, 0, 1, vcc_lo
	v_cndmask_b32_e32 v3, v6, v3, vcc_lo
	s_delay_alu instid0(VALU_DEP_2)
	v_lshrrev_b64 v[14:15], v5, v[52:53]
; %bb.7574:                             ;   in Loop: Header=BB6_6801 Depth=2
	s_and_not1_saveexec_b32 s7, s7
; %bb.7575:                             ;   in Loop: Header=BB6_6801 Depth=2
	v_mov_b64_e32 v[14:15], v[52:53]
	v_bfe_u32 v3, v52, 23, 1
; %bb.7576:                             ;   in Loop: Header=BB6_6801 Depth=2
	s_or_b32 exec_lo, exec_lo, s7
	s_delay_alu instid0(VALU_DEP_2) | instskip(NEXT) | instid1(VALU_DEP_2)
	v_lshrrev_b64 v[6:7], 20, v[14:15]
	v_cmp_gt_i32_e32 vcc_lo, 16, v3
	v_min_i32_e32 v5, 15, v3
	v_cmp_eq_u32_e64 s7, 0, v3
	s_delay_alu instid0(VALU_DEP_2) | instskip(SKIP_1) | instid1(VALU_DEP_2)
	v_dual_cndmask_b32 v6, 7, v6 :: v_dual_lshlrev_b32 v5, 3, v5
	v_cndmask_b32_e32 v7, 0, v7, vcc_lo
	v_and_b32_e32 v5, 0xf8, v5
	s_delay_alu instid0(VALU_DEP_2) | instskip(NEXT) | instid1(VALU_DEP_2)
	v_cmp_eq_u64_e32 vcc_lo, 0, v[6:7]
	v_and_or_b32 v3, v6, 7, v5
	s_and_b32 s7, s7, vcc_lo
	s_delay_alu instid0(VALU_DEP_1) | instid1(SALU_CYCLE_1)
	v_cndmask_b32_e64 v3, v3, 0, s7
	s_delay_alu instid0(VALU_DEP_1)
	v_or_b32_e32 v34, v3, v2
.LBB6_7577:                             ;   in Loop: Header=BB6_6801 Depth=2
	s_or_b32 exec_lo, exec_lo, s42
                                        ; implicit-def: $vgpr2
.LBB6_7578:                             ;   in Loop: Header=BB6_6801 Depth=2
	s_and_not1_saveexec_b32 s7, s41
; %bb.7579:                             ;   in Loop: Header=BB6_6801 Depth=2
	v_or_b32_e32 v34, 0x7e, v2
; %bb.7580:                             ;   in Loop: Header=BB6_6801 Depth=2
	s_or_b32 exec_lo, exec_lo, s7
                                        ; implicit-def: $vgpr2
.LBB6_7581:                             ;   in Loop: Header=BB6_6801 Depth=2
	s_and_not1_saveexec_b32 s7, s40
; %bb.7582:                             ;   in Loop: Header=BB6_6801 Depth=2
	v_or_b32_e32 v34, 0x7f, v2
; %bb.7583:                             ;   in Loop: Header=BB6_6801 Depth=2
	s_or_b32 exec_lo, exec_lo, s7
	v_lshrrev_b16 v3, 8, v10
	v_mov_b32_e32 v2, 0
	s_mov_b32 s7, exec_lo
	s_delay_alu instid0(VALU_DEP_2)
	v_cmpx_ne_u16_e32 0, v3
	s_cbranch_execz .LBB6_7591
; %bb.7584:                             ;   in Loop: Header=BB6_6801 Depth=2
	v_bfrev_b32_e32 v2, 1
	s_mov_b32 s40, exec_lo
	v_cmpx_ne_u16_e32 0x80, v3
	s_cbranch_execz .LBB6_7590
; %bb.7585:                             ;   in Loop: Header=BB6_6801 Depth=2
	v_and_b32_e32 v5, 0xffff, v3
	v_mov_b32_e32 v2, 0x7f800001
	s_mov_b32 s41, exec_lo
	s_delay_alu instid0(VALU_DEP_2) | instskip(NEXT) | instid1(VALU_DEP_1)
	v_and_b32_e32 v3, 0x7f, v5
	v_cmpx_ne_u32_e32 0x7f, v3
	s_cbranch_execz .LBB6_7589
; %bb.7586:                             ;   in Loop: Header=BB6_6801 Depth=2
	v_dual_lshrrev_b32 v2, 3, v3 :: v_dual_bitop2_b32 v52, 7, v5 bitop3:0x40
	s_mov_b32 s42, exec_lo
	s_delay_alu instid0(VALU_DEP_1)
	v_mov_b64_e32 v[14:15], v[52:53]
	v_cmpx_gt_u32_e32 8, v3
; %bb.7587:                             ;   in Loop: Header=BB6_6801 Depth=2
	v_clz_i32_u32_e32 v2, v52
	s_delay_alu instid0(VALU_DEP_1) | instskip(NEXT) | instid1(VALU_DEP_1)
	v_min_u32_e32 v2, 32, v2
	v_subrev_nc_u32_e32 v3, 28, v2
	v_sub_nc_u32_e32 v2, 29, v2
	s_delay_alu instid0(VALU_DEP_2) | instskip(NEXT) | instid1(VALU_DEP_1)
	v_lshlrev_b64_e32 v[6:7], v3, v[52:53]
	v_and_b32_e32 v14, 7, v6
; %bb.7588:                             ;   in Loop: Header=BB6_6801 Depth=2
	s_or_b32 exec_lo, exec_lo, s42
	v_lshlrev_b32_e32 v3, 16, v10
	s_delay_alu instid0(VALU_DEP_2) | instskip(SKIP_1) | instid1(VALU_DEP_3)
	v_lshlrev_b32_e32 v5, 20, v14
	v_lshl_add_u32 v2, v2, 23, 0x3c000000
	v_and_b32_e32 v3, 0x80000000, v3
	s_delay_alu instid0(VALU_DEP_1)
	v_or3_b32 v2, v5, v3, v2
.LBB6_7589:                             ;   in Loop: Header=BB6_6801 Depth=2
	s_or_b32 exec_lo, exec_lo, s41
.LBB6_7590:                             ;   in Loop: Header=BB6_6801 Depth=2
	s_delay_alu instid0(SALU_CYCLE_1)
	s_or_b32 exec_lo, exec_lo, s40
.LBB6_7591:                             ;   in Loop: Header=BB6_6801 Depth=2
	s_delay_alu instid0(SALU_CYCLE_1) | instskip(NEXT) | instid1(VALU_DEP_1)
	s_or_b32 exec_lo, exec_lo, s7
	v_mul_f32_e32 v3, s29, v2
                                        ; implicit-def: $vgpr95
	s_mov_b32 s7, exec_lo
	s_delay_alu instid0(VALU_DEP_1) | instskip(SKIP_1) | instid1(VALU_DEP_2)
	v_and_b32_e32 v52, 0x7f800000, v3
	v_lshrrev_b32_e32 v2, 24, v3
	v_cmpx_ne_u64_e32 0x7f800000, v[52:53]
	s_xor_b32 s40, exec_lo, s7
	s_cbranch_execz .LBB6_7605
; %bb.7592:                             ;   in Loop: Header=BB6_6801 Depth=2
	v_and_b32_e32 v52, 0x7fffffff, v3
	v_and_b32_e32 v2, 0x80, v2
                                        ; implicit-def: $vgpr95
	s_mov_b32 s7, exec_lo
	s_delay_alu instid0(VALU_DEP_2)
	v_cmpx_gt_u64_e32 0x43e00001, v[52:53]
	s_xor_b32 s41, exec_lo, s7
	s_cbranch_execz .LBB6_7602
; %bb.7593:                             ;   in Loop: Header=BB6_6801 Depth=2
	v_mov_b32_e32 v95, 0
	s_mov_b32 s42, exec_lo
	v_cmpx_ne_u32_e32 0, v3
	s_cbranch_execz .LBB6_7601
; %bb.7594:                             ;   in Loop: Header=BB6_6801 Depth=2
	v_bfe_u32 v5, v3, 23, 8
	v_and_b32_e32 v3, 0x7fffff, v3
	s_delay_alu instid0(VALU_DEP_2) | instskip(SKIP_1) | instid1(VALU_DEP_3)
	v_sub_nc_u32_e32 v6, 0x79, v5
	v_cmp_gt_u32_e32 vcc_lo, 0x7a, v5
	v_or_b32_e32 v14, 0x800000, v3
	s_delay_alu instid0(VALU_DEP_3) | instskip(SKIP_1) | instid1(VALU_DEP_3)
	v_cndmask_b32_e32 v6, 0, v6, vcc_lo
	v_cmp_eq_u32_e32 vcc_lo, 0, v5
	v_cndmask_b32_e32 v52, v14, v3, vcc_lo
	s_delay_alu instid0(VALU_DEP_3) | instskip(NEXT) | instid1(VALU_DEP_1)
	v_cndmask_b32_e64 v6, v6, 0x78, vcc_lo
	v_add_nc_u32_e32 v7, 20, v6
	s_delay_alu instid0(VALU_DEP_3) | instskip(NEXT) | instid1(VALU_DEP_2)
	v_lshrrev_b64 v[14:15], v6, v[52:53]
	v_lshlrev_b64_e64 v[8:9], v7, -1
	v_add_nc_u32_e32 v7, 19, v6
	s_delay_alu instid0(VALU_DEP_1) | instskip(NEXT) | instid1(VALU_DEP_3)
	v_lshlrev_b64_e64 v[16:17], v7, 1
	v_bfi_b32 v9, v9, 0, 0
	s_delay_alu instid0(VALU_DEP_4) | instskip(NEXT) | instid1(VALU_DEP_1)
	v_bfi_b32 v8, v8, 0, v52
	v_cmp_eq_u64_e64 s7, v[8:9], v[16:17]
	v_mov_b64_e32 v[16:17], v[14:15]
	s_and_saveexec_b32 s43, s7
; %bb.7595:                             ;   in Loop: Header=BB6_6801 Depth=2
	v_bfe_u32 v52, v14, 20, 1
	s_delay_alu instid0(VALU_DEP_1) | instskip(NEXT) | instid1(VALU_DEP_1)
	v_add_nc_u64_e32 v[8:9], v[14:15], v[52:53]
	v_add_nc_u64_e32 v[16:17], -1, v[8:9]
; %bb.7596:                             ;   in Loop: Header=BB6_6801 Depth=2
	s_or_b32 exec_lo, exec_lo, s43
	v_add_nc_u32_e32 v3, 0xffffff81, v5
	v_lshrrev_b32_e32 v5, 23, v14
	s_mov_b32 s7, exec_lo
	s_delay_alu instid0(VALU_DEP_2) | instskip(NEXT) | instid1(VALU_DEP_1)
	v_cndmask_b32_e64 v3, v3, 0xffffff82, vcc_lo
	v_add3_u32 v5, v6, v3, v5
	v_and_b32_e32 v3, 0xfffff, v16
	s_delay_alu instid0(VALU_DEP_1) | instskip(NEXT) | instid1(VALU_DEP_1)
	v_dual_add_nc_u32 v6, 6, v5 :: v_dual_add_nc_u32 v52, v3, v14
                                        ; implicit-def: $vgpr14_vgpr15
                                        ; implicit-def: $vgpr3
	v_cmpx_ne_u32_e32 0, v6
	s_xor_b32 s7, exec_lo, s7
; %bb.7597:                             ;   in Loop: Header=BB6_6801 Depth=2
	s_delay_alu instid0(VALU_DEP_2) | instskip(SKIP_2) | instid1(VALU_DEP_2)
	v_cmp_lt_u64_e32 vcc_lo, 0xffffff, v[52:53]
	v_add_nc_u32_e32 v3, 7, v5
	v_cndmask_b32_e64 v5, 0, 1, vcc_lo
	v_cndmask_b32_e32 v3, v6, v3, vcc_lo
	s_delay_alu instid0(VALU_DEP_2)
	v_lshrrev_b64 v[14:15], v5, v[52:53]
; %bb.7598:                             ;   in Loop: Header=BB6_6801 Depth=2
	s_and_not1_saveexec_b32 s7, s7
; %bb.7599:                             ;   in Loop: Header=BB6_6801 Depth=2
	v_mov_b64_e32 v[14:15], v[52:53]
	v_bfe_u32 v3, v52, 23, 1
; %bb.7600:                             ;   in Loop: Header=BB6_6801 Depth=2
	s_or_b32 exec_lo, exec_lo, s7
	s_delay_alu instid0(VALU_DEP_2) | instskip(NEXT) | instid1(VALU_DEP_2)
	v_lshrrev_b64 v[6:7], 20, v[14:15]
	v_cmp_gt_i32_e32 vcc_lo, 16, v3
	v_min_i32_e32 v5, 15, v3
	v_cmp_eq_u32_e64 s7, 0, v3
	s_delay_alu instid0(VALU_DEP_2) | instskip(SKIP_1) | instid1(VALU_DEP_2)
	v_dual_cndmask_b32 v6, 7, v6 :: v_dual_lshlrev_b32 v5, 3, v5
	v_cndmask_b32_e32 v7, 0, v7, vcc_lo
	v_and_b32_e32 v5, 0xf8, v5
	s_delay_alu instid0(VALU_DEP_2) | instskip(NEXT) | instid1(VALU_DEP_2)
	v_cmp_eq_u64_e32 vcc_lo, 0, v[6:7]
	v_and_or_b32 v3, v6, 7, v5
	s_and_b32 s7, s7, vcc_lo
	s_delay_alu instid0(VALU_DEP_1) | instid1(SALU_CYCLE_1)
	v_cndmask_b32_e64 v3, v3, 0, s7
	s_delay_alu instid0(VALU_DEP_1)
	v_or_b32_e32 v95, v3, v2
.LBB6_7601:                             ;   in Loop: Header=BB6_6801 Depth=2
	s_or_b32 exec_lo, exec_lo, s42
                                        ; implicit-def: $vgpr2
.LBB6_7602:                             ;   in Loop: Header=BB6_6801 Depth=2
	s_and_not1_saveexec_b32 s7, s41
; %bb.7603:                             ;   in Loop: Header=BB6_6801 Depth=2
	v_or_b32_e32 v95, 0x7e, v2
; %bb.7604:                             ;   in Loop: Header=BB6_6801 Depth=2
	s_or_b32 exec_lo, exec_lo, s7
                                        ; implicit-def: $vgpr2
.LBB6_7605:                             ;   in Loop: Header=BB6_6801 Depth=2
	s_and_not1_saveexec_b32 s7, s40
; %bb.7606:                             ;   in Loop: Header=BB6_6801 Depth=2
	v_or_b32_e32 v95, 0x7f, v2
; %bb.7607:                             ;   in Loop: Header=BB6_6801 Depth=2
	s_or_b32 exec_lo, exec_lo, s7
	v_dual_mov_b32 v3, 0 :: v_dual_lshrrev_b32 v2, 16, v10
	s_mov_b32 s7, exec_lo
	s_delay_alu instid0(VALU_DEP_1) | instskip(NEXT) | instid1(VALU_DEP_1)
	v_and_b32_e32 v5, 0xff, v2
	v_cmpx_ne_u16_e32 0, v5
	s_cbranch_execz .LBB6_7615
; %bb.7608:                             ;   in Loop: Header=BB6_6801 Depth=2
	v_bfrev_b32_e32 v3, 1
	s_mov_b32 s40, exec_lo
	v_cmpx_ne_u16_e32 0x80, v5
	s_cbranch_execz .LBB6_7614
; %bb.7609:                             ;   in Loop: Header=BB6_6801 Depth=2
	v_bfe_u32 v5, v10, 16, 7
	v_mov_b32_e32 v3, 0x7f800001
	s_mov_b32 s41, exec_lo
	s_delay_alu instid0(VALU_DEP_2)
	v_cmpx_ne_u32_e32 0x7f, v5
	s_cbranch_execz .LBB6_7613
; %bb.7610:                             ;   in Loop: Header=BB6_6801 Depth=2
	v_dual_lshrrev_b32 v3, 3, v5 :: v_dual_bitop2_b32 v52, 7, v2 bitop3:0x40
	s_mov_b32 s42, exec_lo
	s_delay_alu instid0(VALU_DEP_1)
	v_mov_b64_e32 v[14:15], v[52:53]
	v_cmpx_gt_u32_e32 8, v5
; %bb.7611:                             ;   in Loop: Header=BB6_6801 Depth=2
	v_clz_i32_u32_e32 v3, v52
	s_delay_alu instid0(VALU_DEP_1) | instskip(NEXT) | instid1(VALU_DEP_1)
	v_min_u32_e32 v3, 32, v3
	v_subrev_nc_u32_e32 v5, 28, v3
	s_delay_alu instid0(VALU_DEP_1) | instskip(NEXT) | instid1(VALU_DEP_1)
	v_lshlrev_b64_e32 v[6:7], v5, v[52:53]
	v_dual_sub_nc_u32 v3, 29, v3 :: v_dual_bitop2_b32 v14, 7, v6 bitop3:0x40
; %bb.7612:                             ;   in Loop: Header=BB6_6801 Depth=2
	s_or_b32 exec_lo, exec_lo, s42
	v_lshlrev_b32_e32 v2, 24, v2
	s_delay_alu instid0(VALU_DEP_2) | instskip(NEXT) | instid1(VALU_DEP_3)
	v_lshlrev_b32_e32 v5, 20, v14
	v_lshl_add_u32 v3, v3, 23, 0x3c000000
	s_delay_alu instid0(VALU_DEP_3) | instskip(NEXT) | instid1(VALU_DEP_1)
	v_and_b32_e32 v2, 0x80000000, v2
	v_or3_b32 v3, v5, v2, v3
.LBB6_7613:                             ;   in Loop: Header=BB6_6801 Depth=2
	s_or_b32 exec_lo, exec_lo, s41
.LBB6_7614:                             ;   in Loop: Header=BB6_6801 Depth=2
	s_delay_alu instid0(SALU_CYCLE_1)
	s_or_b32 exec_lo, exec_lo, s40
.LBB6_7615:                             ;   in Loop: Header=BB6_6801 Depth=2
	s_delay_alu instid0(SALU_CYCLE_1) | instskip(NEXT) | instid1(VALU_DEP_1)
	s_or_b32 exec_lo, exec_lo, s7
	v_mul_f32_e32 v3, s29, v3
                                        ; implicit-def: $vgpr107
	s_mov_b32 s7, exec_lo
	s_delay_alu instid0(VALU_DEP_1) | instskip(SKIP_1) | instid1(VALU_DEP_2)
	v_and_b32_e32 v52, 0x7f800000, v3
	v_lshrrev_b32_e32 v2, 24, v3
	v_cmpx_ne_u64_e32 0x7f800000, v[52:53]
	s_xor_b32 s40, exec_lo, s7
	s_cbranch_execz .LBB6_7629
; %bb.7616:                             ;   in Loop: Header=BB6_6801 Depth=2
	v_and_b32_e32 v52, 0x7fffffff, v3
	v_and_b32_e32 v2, 0x80, v2
                                        ; implicit-def: $vgpr107
	s_mov_b32 s7, exec_lo
	s_delay_alu instid0(VALU_DEP_2)
	v_cmpx_gt_u64_e32 0x43e00001, v[52:53]
	s_xor_b32 s41, exec_lo, s7
	s_cbranch_execz .LBB6_7626
; %bb.7617:                             ;   in Loop: Header=BB6_6801 Depth=2
	v_mov_b32_e32 v107, 0
	s_mov_b32 s42, exec_lo
	v_cmpx_ne_u32_e32 0, v3
	s_cbranch_execz .LBB6_7625
; %bb.7618:                             ;   in Loop: Header=BB6_6801 Depth=2
	v_bfe_u32 v5, v3, 23, 8
	v_and_b32_e32 v3, 0x7fffff, v3
	s_delay_alu instid0(VALU_DEP_2) | instskip(SKIP_1) | instid1(VALU_DEP_3)
	v_sub_nc_u32_e32 v6, 0x79, v5
	v_cmp_gt_u32_e32 vcc_lo, 0x7a, v5
	v_or_b32_e32 v14, 0x800000, v3
	s_delay_alu instid0(VALU_DEP_3) | instskip(SKIP_1) | instid1(VALU_DEP_3)
	v_cndmask_b32_e32 v6, 0, v6, vcc_lo
	v_cmp_eq_u32_e32 vcc_lo, 0, v5
	v_cndmask_b32_e32 v52, v14, v3, vcc_lo
	s_delay_alu instid0(VALU_DEP_3) | instskip(NEXT) | instid1(VALU_DEP_1)
	v_cndmask_b32_e64 v6, v6, 0x78, vcc_lo
	v_add_nc_u32_e32 v7, 20, v6
	s_delay_alu instid0(VALU_DEP_3) | instskip(NEXT) | instid1(VALU_DEP_2)
	v_lshrrev_b64 v[14:15], v6, v[52:53]
	v_lshlrev_b64_e64 v[8:9], v7, -1
	v_add_nc_u32_e32 v7, 19, v6
	s_delay_alu instid0(VALU_DEP_1) | instskip(NEXT) | instid1(VALU_DEP_3)
	v_lshlrev_b64_e64 v[16:17], v7, 1
	v_bfi_b32 v9, v9, 0, 0
	s_delay_alu instid0(VALU_DEP_4) | instskip(NEXT) | instid1(VALU_DEP_1)
	v_bfi_b32 v8, v8, 0, v52
	v_cmp_eq_u64_e64 s7, v[8:9], v[16:17]
	v_mov_b64_e32 v[16:17], v[14:15]
	s_and_saveexec_b32 s43, s7
; %bb.7619:                             ;   in Loop: Header=BB6_6801 Depth=2
	v_bfe_u32 v52, v14, 20, 1
	s_delay_alu instid0(VALU_DEP_1) | instskip(NEXT) | instid1(VALU_DEP_1)
	v_add_nc_u64_e32 v[8:9], v[14:15], v[52:53]
	v_add_nc_u64_e32 v[16:17], -1, v[8:9]
; %bb.7620:                             ;   in Loop: Header=BB6_6801 Depth=2
	s_or_b32 exec_lo, exec_lo, s43
	v_add_nc_u32_e32 v3, 0xffffff81, v5
	v_lshrrev_b32_e32 v5, 23, v14
	s_mov_b32 s7, exec_lo
	s_delay_alu instid0(VALU_DEP_2) | instskip(NEXT) | instid1(VALU_DEP_1)
	v_cndmask_b32_e64 v3, v3, 0xffffff82, vcc_lo
	v_add3_u32 v5, v6, v3, v5
	v_and_b32_e32 v3, 0xfffff, v16
	s_delay_alu instid0(VALU_DEP_1) | instskip(NEXT) | instid1(VALU_DEP_1)
	v_dual_add_nc_u32 v6, 6, v5 :: v_dual_add_nc_u32 v52, v3, v14
                                        ; implicit-def: $vgpr14_vgpr15
                                        ; implicit-def: $vgpr3
	v_cmpx_ne_u32_e32 0, v6
	s_xor_b32 s7, exec_lo, s7
; %bb.7621:                             ;   in Loop: Header=BB6_6801 Depth=2
	s_delay_alu instid0(VALU_DEP_2) | instskip(SKIP_2) | instid1(VALU_DEP_2)
	v_cmp_lt_u64_e32 vcc_lo, 0xffffff, v[52:53]
	v_add_nc_u32_e32 v3, 7, v5
	v_cndmask_b32_e64 v5, 0, 1, vcc_lo
	v_cndmask_b32_e32 v3, v6, v3, vcc_lo
	s_delay_alu instid0(VALU_DEP_2)
	v_lshrrev_b64 v[14:15], v5, v[52:53]
; %bb.7622:                             ;   in Loop: Header=BB6_6801 Depth=2
	s_and_not1_saveexec_b32 s7, s7
; %bb.7623:                             ;   in Loop: Header=BB6_6801 Depth=2
	v_mov_b64_e32 v[14:15], v[52:53]
	v_bfe_u32 v3, v52, 23, 1
; %bb.7624:                             ;   in Loop: Header=BB6_6801 Depth=2
	s_or_b32 exec_lo, exec_lo, s7
	s_delay_alu instid0(VALU_DEP_2) | instskip(NEXT) | instid1(VALU_DEP_2)
	v_lshrrev_b64 v[6:7], 20, v[14:15]
	v_cmp_gt_i32_e32 vcc_lo, 16, v3
	v_min_i32_e32 v5, 15, v3
	v_cmp_eq_u32_e64 s7, 0, v3
	s_delay_alu instid0(VALU_DEP_2) | instskip(SKIP_1) | instid1(VALU_DEP_2)
	v_dual_cndmask_b32 v6, 7, v6 :: v_dual_lshlrev_b32 v5, 3, v5
	v_cndmask_b32_e32 v7, 0, v7, vcc_lo
	v_and_b32_e32 v5, 0xf8, v5
	s_delay_alu instid0(VALU_DEP_2) | instskip(NEXT) | instid1(VALU_DEP_2)
	v_cmp_eq_u64_e32 vcc_lo, 0, v[6:7]
	v_and_or_b32 v3, v6, 7, v5
	s_and_b32 s7, s7, vcc_lo
	s_delay_alu instid0(VALU_DEP_1) | instid1(SALU_CYCLE_1)
	v_cndmask_b32_e64 v3, v3, 0, s7
	s_delay_alu instid0(VALU_DEP_1)
	v_or_b32_e32 v107, v3, v2
.LBB6_7625:                             ;   in Loop: Header=BB6_6801 Depth=2
	s_or_b32 exec_lo, exec_lo, s42
                                        ; implicit-def: $vgpr2
.LBB6_7626:                             ;   in Loop: Header=BB6_6801 Depth=2
	s_and_not1_saveexec_b32 s7, s41
; %bb.7627:                             ;   in Loop: Header=BB6_6801 Depth=2
	v_or_b32_e32 v107, 0x7e, v2
; %bb.7628:                             ;   in Loop: Header=BB6_6801 Depth=2
	s_or_b32 exec_lo, exec_lo, s7
                                        ; implicit-def: $vgpr2
.LBB6_7629:                             ;   in Loop: Header=BB6_6801 Depth=2
	s_and_not1_saveexec_b32 s7, s40
; %bb.7630:                             ;   in Loop: Header=BB6_6801 Depth=2
	v_or_b32_e32 v107, 0x7f, v2
; %bb.7631:                             ;   in Loop: Header=BB6_6801 Depth=2
	s_or_b32 exec_lo, exec_lo, s7
	v_mov_b32_e32 v3, 0
	s_mov_b32 s7, exec_lo
	v_cmpx_lt_u32_e32 0xffffff, v10
	s_cbranch_execz .LBB6_7639
; %bb.7632:                             ;   in Loop: Header=BB6_6801 Depth=2
	v_lshrrev_b32_e32 v2, 24, v10
	v_bfrev_b32_e32 v3, 1
	s_mov_b32 s40, exec_lo
	s_delay_alu instid0(VALU_DEP_2)
	v_cmpx_ne_u32_e32 0x80, v2
	s_cbranch_execz .LBB6_7638
; %bb.7633:                             ;   in Loop: Header=BB6_6801 Depth=2
	v_bfe_u32 v5, v10, 24, 7
	v_mov_b32_e32 v3, 0x7f800001
	s_mov_b32 s41, exec_lo
	s_delay_alu instid0(VALU_DEP_2)
	v_cmpx_ne_u32_e32 0x7f, v5
	s_cbranch_execz .LBB6_7637
; %bb.7634:                             ;   in Loop: Header=BB6_6801 Depth=2
	v_dual_lshrrev_b32 v3, 3, v5 :: v_dual_bitop2_b32 v52, 7, v2 bitop3:0x40
	s_mov_b32 s42, exec_lo
	s_delay_alu instid0(VALU_DEP_1)
	v_mov_b64_e32 v[14:15], v[52:53]
	v_cmpx_gt_u32_e32 8, v5
; %bb.7635:                             ;   in Loop: Header=BB6_6801 Depth=2
	v_clz_i32_u32_e32 v3, v52
	s_delay_alu instid0(VALU_DEP_1) | instskip(NEXT) | instid1(VALU_DEP_1)
	v_min_u32_e32 v3, 32, v3
	v_subrev_nc_u32_e32 v5, 28, v3
	s_delay_alu instid0(VALU_DEP_1) | instskip(NEXT) | instid1(VALU_DEP_1)
	v_lshlrev_b64_e32 v[6:7], v5, v[52:53]
	v_dual_sub_nc_u32 v3, 29, v3 :: v_dual_bitop2_b32 v14, 7, v6 bitop3:0x40
; %bb.7636:                             ;   in Loop: Header=BB6_6801 Depth=2
	s_or_b32 exec_lo, exec_lo, s42
	v_lshlrev_b32_e32 v2, 24, v2
	s_delay_alu instid0(VALU_DEP_2) | instskip(NEXT) | instid1(VALU_DEP_3)
	v_lshlrev_b32_e32 v5, 20, v14
	v_lshl_add_u32 v3, v3, 23, 0x3c000000
	s_delay_alu instid0(VALU_DEP_3) | instskip(NEXT) | instid1(VALU_DEP_1)
	v_and_b32_e32 v2, 0x80000000, v2
	v_or3_b32 v3, v5, v2, v3
.LBB6_7637:                             ;   in Loop: Header=BB6_6801 Depth=2
	s_or_b32 exec_lo, exec_lo, s41
.LBB6_7638:                             ;   in Loop: Header=BB6_6801 Depth=2
	s_delay_alu instid0(SALU_CYCLE_1)
	s_or_b32 exec_lo, exec_lo, s40
.LBB6_7639:                             ;   in Loop: Header=BB6_6801 Depth=2
	s_delay_alu instid0(SALU_CYCLE_1) | instskip(NEXT) | instid1(VALU_DEP_1)
	s_or_b32 exec_lo, exec_lo, s7
	v_mul_f32_e32 v3, s29, v3
                                        ; implicit-def: $vgpr109
	s_mov_b32 s7, exec_lo
	s_delay_alu instid0(VALU_DEP_1) | instskip(SKIP_1) | instid1(VALU_DEP_2)
	v_and_b32_e32 v52, 0x7f800000, v3
	v_lshrrev_b32_e32 v2, 24, v3
	v_cmpx_ne_u64_e32 0x7f800000, v[52:53]
	s_xor_b32 s40, exec_lo, s7
	s_cbranch_execz .LBB6_7653
; %bb.7640:                             ;   in Loop: Header=BB6_6801 Depth=2
	v_and_b32_e32 v52, 0x7fffffff, v3
	v_and_b32_e32 v2, 0x80, v2
                                        ; implicit-def: $vgpr109
	s_mov_b32 s7, exec_lo
	s_delay_alu instid0(VALU_DEP_2)
	v_cmpx_gt_u64_e32 0x43e00001, v[52:53]
	s_xor_b32 s41, exec_lo, s7
	s_cbranch_execz .LBB6_7650
; %bb.7641:                             ;   in Loop: Header=BB6_6801 Depth=2
	v_mov_b32_e32 v109, 0
	s_mov_b32 s42, exec_lo
	v_cmpx_ne_u32_e32 0, v3
	s_cbranch_execz .LBB6_7649
; %bb.7642:                             ;   in Loop: Header=BB6_6801 Depth=2
	v_bfe_u32 v5, v3, 23, 8
	v_and_b32_e32 v3, 0x7fffff, v3
	s_delay_alu instid0(VALU_DEP_2) | instskip(SKIP_1) | instid1(VALU_DEP_3)
	v_sub_nc_u32_e32 v6, 0x79, v5
	v_cmp_gt_u32_e32 vcc_lo, 0x7a, v5
	v_or_b32_e32 v14, 0x800000, v3
	s_delay_alu instid0(VALU_DEP_3) | instskip(SKIP_1) | instid1(VALU_DEP_3)
	v_cndmask_b32_e32 v6, 0, v6, vcc_lo
	v_cmp_eq_u32_e32 vcc_lo, 0, v5
	v_cndmask_b32_e32 v52, v14, v3, vcc_lo
	s_delay_alu instid0(VALU_DEP_3) | instskip(NEXT) | instid1(VALU_DEP_1)
	v_cndmask_b32_e64 v6, v6, 0x78, vcc_lo
	v_add_nc_u32_e32 v7, 20, v6
	s_delay_alu instid0(VALU_DEP_3) | instskip(NEXT) | instid1(VALU_DEP_2)
	v_lshrrev_b64 v[14:15], v6, v[52:53]
	v_lshlrev_b64_e64 v[8:9], v7, -1
	v_add_nc_u32_e32 v7, 19, v6
	s_delay_alu instid0(VALU_DEP_1) | instskip(NEXT) | instid1(VALU_DEP_3)
	v_lshlrev_b64_e64 v[16:17], v7, 1
	v_bfi_b32 v9, v9, 0, 0
	s_delay_alu instid0(VALU_DEP_4) | instskip(NEXT) | instid1(VALU_DEP_1)
	v_bfi_b32 v8, v8, 0, v52
	v_cmp_eq_u64_e64 s7, v[8:9], v[16:17]
	v_mov_b64_e32 v[16:17], v[14:15]
	s_and_saveexec_b32 s43, s7
; %bb.7643:                             ;   in Loop: Header=BB6_6801 Depth=2
	v_bfe_u32 v52, v14, 20, 1
	s_delay_alu instid0(VALU_DEP_1) | instskip(NEXT) | instid1(VALU_DEP_1)
	v_add_nc_u64_e32 v[8:9], v[14:15], v[52:53]
	v_add_nc_u64_e32 v[16:17], -1, v[8:9]
; %bb.7644:                             ;   in Loop: Header=BB6_6801 Depth=2
	s_or_b32 exec_lo, exec_lo, s43
	v_add_nc_u32_e32 v3, 0xffffff81, v5
	v_lshrrev_b32_e32 v5, 23, v14
	s_mov_b32 s7, exec_lo
	s_delay_alu instid0(VALU_DEP_2) | instskip(NEXT) | instid1(VALU_DEP_1)
	v_cndmask_b32_e64 v3, v3, 0xffffff82, vcc_lo
	v_add3_u32 v5, v6, v3, v5
	v_and_b32_e32 v3, 0xfffff, v16
	s_delay_alu instid0(VALU_DEP_1) | instskip(NEXT) | instid1(VALU_DEP_1)
	v_dual_add_nc_u32 v6, 6, v5 :: v_dual_add_nc_u32 v52, v3, v14
                                        ; implicit-def: $vgpr14_vgpr15
                                        ; implicit-def: $vgpr3
	v_cmpx_ne_u32_e32 0, v6
	s_xor_b32 s7, exec_lo, s7
; %bb.7645:                             ;   in Loop: Header=BB6_6801 Depth=2
	s_delay_alu instid0(VALU_DEP_2) | instskip(SKIP_2) | instid1(VALU_DEP_2)
	v_cmp_lt_u64_e32 vcc_lo, 0xffffff, v[52:53]
	v_add_nc_u32_e32 v3, 7, v5
	v_cndmask_b32_e64 v5, 0, 1, vcc_lo
	v_cndmask_b32_e32 v3, v6, v3, vcc_lo
	s_delay_alu instid0(VALU_DEP_2)
	v_lshrrev_b64 v[14:15], v5, v[52:53]
; %bb.7646:                             ;   in Loop: Header=BB6_6801 Depth=2
	s_and_not1_saveexec_b32 s7, s7
; %bb.7647:                             ;   in Loop: Header=BB6_6801 Depth=2
	v_mov_b64_e32 v[14:15], v[52:53]
	v_bfe_u32 v3, v52, 23, 1
; %bb.7648:                             ;   in Loop: Header=BB6_6801 Depth=2
	s_or_b32 exec_lo, exec_lo, s7
	s_delay_alu instid0(VALU_DEP_2) | instskip(NEXT) | instid1(VALU_DEP_2)
	v_lshrrev_b64 v[6:7], 20, v[14:15]
	v_cmp_gt_i32_e32 vcc_lo, 16, v3
	v_min_i32_e32 v5, 15, v3
	v_cmp_eq_u32_e64 s7, 0, v3
	s_delay_alu instid0(VALU_DEP_2) | instskip(SKIP_1) | instid1(VALU_DEP_2)
	v_dual_cndmask_b32 v6, 7, v6 :: v_dual_lshlrev_b32 v5, 3, v5
	v_cndmask_b32_e32 v7, 0, v7, vcc_lo
	v_and_b32_e32 v5, 0xf8, v5
	s_delay_alu instid0(VALU_DEP_2) | instskip(NEXT) | instid1(VALU_DEP_2)
	v_cmp_eq_u64_e32 vcc_lo, 0, v[6:7]
	v_and_or_b32 v3, v6, 7, v5
	s_and_b32 s7, s7, vcc_lo
	s_delay_alu instid0(VALU_DEP_1) | instid1(SALU_CYCLE_1)
	v_cndmask_b32_e64 v3, v3, 0, s7
	s_delay_alu instid0(VALU_DEP_1)
	v_or_b32_e32 v109, v3, v2
.LBB6_7649:                             ;   in Loop: Header=BB6_6801 Depth=2
	s_or_b32 exec_lo, exec_lo, s42
                                        ; implicit-def: $vgpr2
.LBB6_7650:                             ;   in Loop: Header=BB6_6801 Depth=2
	s_and_not1_saveexec_b32 s7, s41
; %bb.7651:                             ;   in Loop: Header=BB6_6801 Depth=2
	v_or_b32_e32 v109, 0x7e, v2
; %bb.7652:                             ;   in Loop: Header=BB6_6801 Depth=2
	s_or_b32 exec_lo, exec_lo, s7
                                        ; implicit-def: $vgpr2
.LBB6_7653:                             ;   in Loop: Header=BB6_6801 Depth=2
	s_and_not1_saveexec_b32 s7, s40
; %bb.7654:                             ;   in Loop: Header=BB6_6801 Depth=2
	v_or_b32_e32 v109, 0x7f, v2
; %bb.7655:                             ;   in Loop: Header=BB6_6801 Depth=2
	s_or_b32 exec_lo, exec_lo, s7
	v_and_b32_e32 v3, 0xff, v11
	v_dual_mov_b32 v52, v11 :: v_dual_mov_b32 v2, 0
	s_mov_b32 s7, exec_lo
	s_delay_alu instid0(VALU_DEP_2)
	v_cmpx_ne_u16_e32 0, v3
	s_cbranch_execz .LBB6_7661
; %bb.7656:                             ;   in Loop: Header=BB6_6801 Depth=2
	v_bfrev_b32_e32 v2, 1
	s_mov_b32 s40, exec_lo
	v_cmpx_ne_u16_e32 0x80, v3
	s_cbranch_execz .LBB6_7660
; %bb.7657:                             ;   in Loop: Header=BB6_6801 Depth=2
	v_and_b32_e32 v3, 0x7f, v11
	v_mov_b32_e32 v2, 0x7f800001
	s_mov_b32 s41, exec_lo
	s_delay_alu instid0(VALU_DEP_2)
	v_cmpx_ne_u32_e32 0x7f, v3
	s_cbranch_execz .LBB6_7659
; %bb.7658:                             ;   in Loop: Header=BB6_6801 Depth=2
	v_and_b32_e32 v2, 7, v11
	v_cmp_gt_u32_e32 vcc_lo, 8, v3
	s_delay_alu instid0(VALU_DEP_2) | instskip(NEXT) | instid1(VALU_DEP_1)
	v_clz_i32_u32_e32 v2, v2
	v_min_u32_e32 v2, 32, v2
	v_lshrrev_b32_e32 v5, 3, v3
	s_delay_alu instid0(VALU_DEP_2) | instskip(SKIP_1) | instid1(VALU_DEP_1)
	v_subrev_nc_u32_e32 v6, 28, v2
	v_sub_nc_u32_e32 v2, 29, v2
	v_cndmask_b32_e32 v5, v5, v2, vcc_lo
	s_delay_alu instid0(VALU_DEP_3) | instskip(NEXT) | instid1(VALU_DEP_1)
	v_cndmask_b32_e32 v2, 0, v6, vcc_lo
	v_lshlrev_b64_e32 v[2:3], v2, v[52:53]
	v_lshlrev_b32_e32 v3, 24, v52
	s_delay_alu instid0(VALU_DEP_1) | instskip(NEXT) | instid1(VALU_DEP_3)
	v_and_b32_e32 v3, 0x80000000, v3
	v_lshlrev_b32_e32 v2, 20, v2
	v_lshl_add_u32 v5, v5, 23, 0x3c000000
	s_delay_alu instid0(VALU_DEP_2) | instskip(NEXT) | instid1(VALU_DEP_1)
	v_and_b32_e32 v2, 0x700000, v2
	v_or3_b32 v2, v2, v3, v5
.LBB6_7659:                             ;   in Loop: Header=BB6_6801 Depth=2
	s_or_b32 exec_lo, exec_lo, s41
.LBB6_7660:                             ;   in Loop: Header=BB6_6801 Depth=2
	s_delay_alu instid0(SALU_CYCLE_1)
	s_or_b32 exec_lo, exec_lo, s40
.LBB6_7661:                             ;   in Loop: Header=BB6_6801 Depth=2
	s_delay_alu instid0(SALU_CYCLE_1) | instskip(NEXT) | instid1(VALU_DEP_1)
	s_or_b32 exec_lo, exec_lo, s7
	v_dual_mul_f32 v3, s29, v2 :: v_dual_mov_b32 v7, v53
                                        ; implicit-def: $vgpr89
	s_mov_b32 s7, exec_lo
	s_delay_alu instid0(VALU_DEP_1) | instskip(SKIP_1) | instid1(VALU_DEP_2)
	v_and_b32_e32 v6, 0x7f800000, v3
	v_lshrrev_b32_e32 v2, 24, v3
	v_cmpx_ne_u64_e32 0x7f800000, v[6:7]
	s_xor_b32 s40, exec_lo, s7
	s_cbranch_execz .LBB6_7675
; %bb.7662:                             ;   in Loop: Header=BB6_6801 Depth=2
	v_and_b32_e32 v6, 0x7fffffff, v3
	v_mov_b32_e32 v7, v53
	v_and_b32_e32 v2, 0x80, v2
                                        ; implicit-def: $vgpr89
	s_mov_b32 s7, exec_lo
	s_delay_alu instid0(VALU_DEP_2)
	v_cmpx_gt_u64_e32 0x43e00001, v[6:7]
	s_xor_b32 s41, exec_lo, s7
	s_cbranch_execz .LBB6_7672
; %bb.7663:                             ;   in Loop: Header=BB6_6801 Depth=2
	v_mov_b32_e32 v89, 0
	s_mov_b32 s42, exec_lo
	v_cmpx_ne_u32_e32 0, v3
	s_cbranch_execz .LBB6_7671
; %bb.7664:                             ;   in Loop: Header=BB6_6801 Depth=2
	v_bfe_u32 v5, v3, 23, 8
	v_and_b32_e32 v3, 0x7fffff, v3
	s_delay_alu instid0(VALU_DEP_2) | instskip(SKIP_1) | instid1(VALU_DEP_3)
	v_dual_mov_b32 v15, v53 :: v_dual_sub_nc_u32 v6, 0x79, v5
	v_cmp_gt_u32_e32 vcc_lo, 0x7a, v5
	v_or_b32_e32 v14, 0x800000, v3
	s_delay_alu instid0(VALU_DEP_3) | instskip(SKIP_1) | instid1(VALU_DEP_3)
	v_cndmask_b32_e32 v6, 0, v6, vcc_lo
	v_cmp_eq_u32_e32 vcc_lo, 0, v5
	v_cndmask_b32_e32 v14, v14, v3, vcc_lo
	s_delay_alu instid0(VALU_DEP_3) | instskip(NEXT) | instid1(VALU_DEP_1)
	v_cndmask_b32_e64 v6, v6, 0x78, vcc_lo
	v_add_nc_u32_e32 v7, 20, v6
	s_delay_alu instid0(VALU_DEP_1) | instskip(SKIP_1) | instid1(VALU_DEP_1)
	v_lshlrev_b64_e64 v[8:9], v7, -1
	v_add_nc_u32_e32 v7, 19, v6
	v_lshlrev_b64_e64 v[16:17], v7, 1
	s_delay_alu instid0(VALU_DEP_3) | instskip(SKIP_2) | instid1(VALU_DEP_1)
	v_bfi_b32 v8, v8, 0, v14
	v_lshrrev_b64 v[14:15], v6, v[14:15]
	v_bfi_b32 v9, v9, 0, 0
	v_cmp_eq_u64_e64 s7, v[8:9], v[16:17]
	s_delay_alu instid0(VALU_DEP_3)
	v_mov_b64_e32 v[16:17], v[14:15]
	s_and_saveexec_b32 s43, s7
; %bb.7665:                             ;   in Loop: Header=BB6_6801 Depth=2
	v_bfe_u32 v8, v14, 20, 1
	v_mov_b32_e32 v9, v53
	s_delay_alu instid0(VALU_DEP_1) | instskip(NEXT) | instid1(VALU_DEP_1)
	v_add_nc_u64_e32 v[8:9], v[14:15], v[8:9]
	v_add_nc_u64_e32 v[16:17], -1, v[8:9]
; %bb.7666:                             ;   in Loop: Header=BB6_6801 Depth=2
	s_or_b32 exec_lo, exec_lo, s43
	v_add_nc_u32_e32 v3, 0xffffff81, v5
	v_lshrrev_b32_e32 v5, 23, v14
	s_mov_b32 s7, exec_lo
	v_mov_b32_e32 v15, v53
	s_delay_alu instid0(VALU_DEP_3) | instskip(NEXT) | instid1(VALU_DEP_1)
	v_cndmask_b32_e64 v3, v3, 0xffffff82, vcc_lo
	v_add3_u32 v5, v6, v3, v5
	v_and_b32_e32 v3, 0xfffff, v16
	s_delay_alu instid0(VALU_DEP_1) | instskip(NEXT) | instid1(VALU_DEP_1)
	v_dual_add_nc_u32 v6, 6, v5 :: v_dual_add_nc_u32 v14, v3, v14
                                        ; implicit-def: $vgpr3
	v_cmpx_ne_u32_e32 0, v6
	s_xor_b32 s7, exec_lo, s7
; %bb.7667:                             ;   in Loop: Header=BB6_6801 Depth=2
	s_delay_alu instid0(VALU_DEP_2) | instskip(SKIP_2) | instid1(VALU_DEP_2)
	v_cmp_lt_u64_e32 vcc_lo, 0xffffff, v[14:15]
	v_add_nc_u32_e32 v3, 7, v5
	v_cndmask_b32_e64 v5, 0, 1, vcc_lo
	v_cndmask_b32_e32 v3, v6, v3, vcc_lo
	s_delay_alu instid0(VALU_DEP_2)
	v_lshrrev_b64 v[14:15], v5, v[14:15]
; %bb.7668:                             ;   in Loop: Header=BB6_6801 Depth=2
	s_and_not1_saveexec_b32 s7, s7
; %bb.7669:                             ;   in Loop: Header=BB6_6801 Depth=2
	s_delay_alu instid0(VALU_DEP_1)
	v_bfe_u32 v3, v14, 23, 1
; %bb.7670:                             ;   in Loop: Header=BB6_6801 Depth=2
	s_or_b32 exec_lo, exec_lo, s7
	s_delay_alu instid0(VALU_DEP_2) | instskip(NEXT) | instid1(VALU_DEP_2)
	v_lshrrev_b64 v[6:7], 20, v[14:15]
	v_cmp_gt_i32_e32 vcc_lo, 16, v3
	v_min_i32_e32 v5, 15, v3
	v_cmp_eq_u32_e64 s7, 0, v3
	s_delay_alu instid0(VALU_DEP_2) | instskip(SKIP_1) | instid1(VALU_DEP_2)
	v_dual_cndmask_b32 v6, 7, v6 :: v_dual_lshlrev_b32 v5, 3, v5
	v_cndmask_b32_e32 v7, 0, v7, vcc_lo
	v_and_b32_e32 v5, 0xf8, v5
	s_delay_alu instid0(VALU_DEP_2) | instskip(NEXT) | instid1(VALU_DEP_2)
	v_cmp_eq_u64_e32 vcc_lo, 0, v[6:7]
	v_and_or_b32 v3, v6, 7, v5
	s_and_b32 s7, s7, vcc_lo
	s_delay_alu instid0(VALU_DEP_1) | instid1(SALU_CYCLE_1)
	v_cndmask_b32_e64 v3, v3, 0, s7
	s_delay_alu instid0(VALU_DEP_1)
	v_or_b32_e32 v89, v3, v2
.LBB6_7671:                             ;   in Loop: Header=BB6_6801 Depth=2
	s_or_b32 exec_lo, exec_lo, s42
                                        ; implicit-def: $vgpr2
.LBB6_7672:                             ;   in Loop: Header=BB6_6801 Depth=2
	s_and_not1_saveexec_b32 s7, s41
; %bb.7673:                             ;   in Loop: Header=BB6_6801 Depth=2
	v_or_b32_e32 v89, 0x7e, v2
; %bb.7674:                             ;   in Loop: Header=BB6_6801 Depth=2
	s_or_b32 exec_lo, exec_lo, s7
                                        ; implicit-def: $vgpr2
.LBB6_7675:                             ;   in Loop: Header=BB6_6801 Depth=2
	s_and_not1_saveexec_b32 s7, s40
; %bb.7676:                             ;   in Loop: Header=BB6_6801 Depth=2
	v_or_b32_e32 v89, 0x7f, v2
; %bb.7677:                             ;   in Loop: Header=BB6_6801 Depth=2
	s_or_b32 exec_lo, exec_lo, s7
	v_lshrrev_b16 v3, 8, v52
	v_mov_b32_e32 v2, 0
	s_mov_b32 s7, exec_lo
	s_delay_alu instid0(VALU_DEP_2)
	v_cmpx_ne_u16_e32 0, v3
	s_cbranch_execz .LBB6_7685
; %bb.7678:                             ;   in Loop: Header=BB6_6801 Depth=2
	v_bfrev_b32_e32 v2, 1
	s_mov_b32 s40, exec_lo
	v_cmpx_ne_u16_e32 0x80, v3
	s_cbranch_execz .LBB6_7684
; %bb.7679:                             ;   in Loop: Header=BB6_6801 Depth=2
	v_and_b32_e32 v5, 0xffff, v3
	v_mov_b32_e32 v2, 0x7f800001
	s_mov_b32 s41, exec_lo
	s_delay_alu instid0(VALU_DEP_2) | instskip(NEXT) | instid1(VALU_DEP_1)
	v_and_b32_e32 v3, 0x7f, v5
	v_cmpx_ne_u32_e32 0x7f, v3
	s_cbranch_execz .LBB6_7683
; %bb.7680:                             ;   in Loop: Header=BB6_6801 Depth=2
	v_dual_mov_b32 v15, v53 :: v_dual_bitop2_b32 v14, 7, v5 bitop3:0x40
	v_lshrrev_b32_e32 v2, 3, v3
	s_mov_b32 s42, exec_lo
	v_cmpx_gt_u32_e32 8, v3
; %bb.7681:                             ;   in Loop: Header=BB6_6801 Depth=2
	s_delay_alu instid0(VALU_DEP_3) | instskip(NEXT) | instid1(VALU_DEP_1)
	v_clz_i32_u32_e32 v2, v14
	v_min_u32_e32 v2, 32, v2
	s_delay_alu instid0(VALU_DEP_1) | instskip(SKIP_1) | instid1(VALU_DEP_2)
	v_subrev_nc_u32_e32 v3, 28, v2
	v_sub_nc_u32_e32 v2, 29, v2
	v_lshlrev_b64_e32 v[6:7], v3, v[14:15]
	s_delay_alu instid0(VALU_DEP_1)
	v_and_b32_e32 v14, 7, v6
; %bb.7682:                             ;   in Loop: Header=BB6_6801 Depth=2
	s_or_b32 exec_lo, exec_lo, s42
	s_delay_alu instid0(VALU_DEP_1) | instskip(SKIP_1) | instid1(VALU_DEP_2)
	v_dual_lshlrev_b32 v3, 16, v52 :: v_dual_lshlrev_b32 v5, 20, v14
	v_lshl_add_u32 v2, v2, 23, 0x3c000000
	v_and_b32_e32 v3, 0x80000000, v3
	s_delay_alu instid0(VALU_DEP_1)
	v_or3_b32 v2, v5, v3, v2
.LBB6_7683:                             ;   in Loop: Header=BB6_6801 Depth=2
	s_or_b32 exec_lo, exec_lo, s41
.LBB6_7684:                             ;   in Loop: Header=BB6_6801 Depth=2
	s_delay_alu instid0(SALU_CYCLE_1)
	s_or_b32 exec_lo, exec_lo, s40
.LBB6_7685:                             ;   in Loop: Header=BB6_6801 Depth=2
	s_delay_alu instid0(SALU_CYCLE_1) | instskip(NEXT) | instid1(VALU_DEP_1)
	s_or_b32 exec_lo, exec_lo, s7
	v_mul_f32_e32 v3, s29, v2
                                        ; implicit-def: $vgpr92
	s_mov_b32 s7, exec_lo
	s_delay_alu instid0(VALU_DEP_1) | instskip(SKIP_1) | instid1(VALU_DEP_2)
	v_and_b32_e32 v52, 0x7f800000, v3
	v_lshrrev_b32_e32 v2, 24, v3
	v_cmpx_ne_u64_e32 0x7f800000, v[52:53]
	s_xor_b32 s40, exec_lo, s7
	s_cbranch_execz .LBB6_7699
; %bb.7686:                             ;   in Loop: Header=BB6_6801 Depth=2
	v_and_b32_e32 v52, 0x7fffffff, v3
	v_and_b32_e32 v2, 0x80, v2
                                        ; implicit-def: $vgpr92
	s_mov_b32 s7, exec_lo
	s_delay_alu instid0(VALU_DEP_2)
	v_cmpx_gt_u64_e32 0x43e00001, v[52:53]
	s_xor_b32 s41, exec_lo, s7
	s_cbranch_execz .LBB6_7696
; %bb.7687:                             ;   in Loop: Header=BB6_6801 Depth=2
	v_mov_b32_e32 v92, 0
	s_mov_b32 s42, exec_lo
	v_cmpx_ne_u32_e32 0, v3
	s_cbranch_execz .LBB6_7695
; %bb.7688:                             ;   in Loop: Header=BB6_6801 Depth=2
	v_bfe_u32 v5, v3, 23, 8
	v_and_b32_e32 v3, 0x7fffff, v3
	s_delay_alu instid0(VALU_DEP_2) | instskip(SKIP_1) | instid1(VALU_DEP_3)
	v_sub_nc_u32_e32 v6, 0x79, v5
	v_cmp_gt_u32_e32 vcc_lo, 0x7a, v5
	v_or_b32_e32 v14, 0x800000, v3
	s_delay_alu instid0(VALU_DEP_3) | instskip(SKIP_1) | instid1(VALU_DEP_3)
	v_cndmask_b32_e32 v6, 0, v6, vcc_lo
	v_cmp_eq_u32_e32 vcc_lo, 0, v5
	v_cndmask_b32_e32 v52, v14, v3, vcc_lo
	s_delay_alu instid0(VALU_DEP_3) | instskip(NEXT) | instid1(VALU_DEP_1)
	v_cndmask_b32_e64 v6, v6, 0x78, vcc_lo
	v_add_nc_u32_e32 v7, 20, v6
	s_delay_alu instid0(VALU_DEP_3) | instskip(NEXT) | instid1(VALU_DEP_2)
	v_lshrrev_b64 v[14:15], v6, v[52:53]
	v_lshlrev_b64_e64 v[8:9], v7, -1
	v_add_nc_u32_e32 v7, 19, v6
	s_delay_alu instid0(VALU_DEP_1) | instskip(NEXT) | instid1(VALU_DEP_3)
	v_lshlrev_b64_e64 v[16:17], v7, 1
	v_bfi_b32 v9, v9, 0, 0
	s_delay_alu instid0(VALU_DEP_4) | instskip(NEXT) | instid1(VALU_DEP_1)
	v_bfi_b32 v8, v8, 0, v52
	v_cmp_eq_u64_e64 s7, v[8:9], v[16:17]
	v_mov_b64_e32 v[16:17], v[14:15]
	s_and_saveexec_b32 s43, s7
; %bb.7689:                             ;   in Loop: Header=BB6_6801 Depth=2
	v_bfe_u32 v52, v14, 20, 1
	s_delay_alu instid0(VALU_DEP_1) | instskip(NEXT) | instid1(VALU_DEP_1)
	v_add_nc_u64_e32 v[8:9], v[14:15], v[52:53]
	v_add_nc_u64_e32 v[16:17], -1, v[8:9]
; %bb.7690:                             ;   in Loop: Header=BB6_6801 Depth=2
	s_or_b32 exec_lo, exec_lo, s43
	v_add_nc_u32_e32 v3, 0xffffff81, v5
	v_lshrrev_b32_e32 v5, 23, v14
	s_mov_b32 s7, exec_lo
	s_delay_alu instid0(VALU_DEP_2) | instskip(NEXT) | instid1(VALU_DEP_1)
	v_cndmask_b32_e64 v3, v3, 0xffffff82, vcc_lo
	v_add3_u32 v5, v6, v3, v5
	v_and_b32_e32 v3, 0xfffff, v16
	s_delay_alu instid0(VALU_DEP_1) | instskip(NEXT) | instid1(VALU_DEP_1)
	v_dual_add_nc_u32 v6, 6, v5 :: v_dual_add_nc_u32 v52, v3, v14
                                        ; implicit-def: $vgpr14_vgpr15
                                        ; implicit-def: $vgpr3
	v_cmpx_ne_u32_e32 0, v6
	s_xor_b32 s7, exec_lo, s7
; %bb.7691:                             ;   in Loop: Header=BB6_6801 Depth=2
	s_delay_alu instid0(VALU_DEP_2) | instskip(SKIP_2) | instid1(VALU_DEP_2)
	v_cmp_lt_u64_e32 vcc_lo, 0xffffff, v[52:53]
	v_add_nc_u32_e32 v3, 7, v5
	v_cndmask_b32_e64 v5, 0, 1, vcc_lo
	v_cndmask_b32_e32 v3, v6, v3, vcc_lo
	s_delay_alu instid0(VALU_DEP_2)
	v_lshrrev_b64 v[14:15], v5, v[52:53]
; %bb.7692:                             ;   in Loop: Header=BB6_6801 Depth=2
	s_and_not1_saveexec_b32 s7, s7
; %bb.7693:                             ;   in Loop: Header=BB6_6801 Depth=2
	v_mov_b64_e32 v[14:15], v[52:53]
	v_bfe_u32 v3, v52, 23, 1
; %bb.7694:                             ;   in Loop: Header=BB6_6801 Depth=2
	s_or_b32 exec_lo, exec_lo, s7
	s_delay_alu instid0(VALU_DEP_2) | instskip(NEXT) | instid1(VALU_DEP_2)
	v_lshrrev_b64 v[6:7], 20, v[14:15]
	v_cmp_gt_i32_e32 vcc_lo, 16, v3
	v_min_i32_e32 v5, 15, v3
	v_cmp_eq_u32_e64 s7, 0, v3
	s_delay_alu instid0(VALU_DEP_2) | instskip(SKIP_1) | instid1(VALU_DEP_2)
	v_dual_cndmask_b32 v6, 7, v6 :: v_dual_lshlrev_b32 v5, 3, v5
	v_cndmask_b32_e32 v7, 0, v7, vcc_lo
	v_and_b32_e32 v5, 0xf8, v5
	s_delay_alu instid0(VALU_DEP_2) | instskip(NEXT) | instid1(VALU_DEP_2)
	v_cmp_eq_u64_e32 vcc_lo, 0, v[6:7]
	v_and_or_b32 v3, v6, 7, v5
	s_and_b32 s7, s7, vcc_lo
	s_delay_alu instid0(VALU_DEP_1) | instid1(SALU_CYCLE_1)
	v_cndmask_b32_e64 v3, v3, 0, s7
	s_delay_alu instid0(VALU_DEP_1)
	v_or_b32_e32 v92, v3, v2
.LBB6_7695:                             ;   in Loop: Header=BB6_6801 Depth=2
	s_or_b32 exec_lo, exec_lo, s42
                                        ; implicit-def: $vgpr2
.LBB6_7696:                             ;   in Loop: Header=BB6_6801 Depth=2
	s_and_not1_saveexec_b32 s7, s41
; %bb.7697:                             ;   in Loop: Header=BB6_6801 Depth=2
	v_or_b32_e32 v92, 0x7e, v2
; %bb.7698:                             ;   in Loop: Header=BB6_6801 Depth=2
	s_or_b32 exec_lo, exec_lo, s7
                                        ; implicit-def: $vgpr2
.LBB6_7699:                             ;   in Loop: Header=BB6_6801 Depth=2
	s_and_not1_saveexec_b32 s7, s40
; %bb.7700:                             ;   in Loop: Header=BB6_6801 Depth=2
	v_or_b32_e32 v92, 0x7f, v2
; %bb.7701:                             ;   in Loop: Header=BB6_6801 Depth=2
	s_or_b32 exec_lo, exec_lo, s7
	v_dual_mov_b32 v3, 0 :: v_dual_lshrrev_b32 v2, 16, v11
	s_mov_b32 s7, exec_lo
	s_delay_alu instid0(VALU_DEP_1) | instskip(NEXT) | instid1(VALU_DEP_1)
	v_and_b32_e32 v5, 0xff, v2
	v_cmpx_ne_u16_e32 0, v5
	s_cbranch_execz .LBB6_7709
; %bb.7702:                             ;   in Loop: Header=BB6_6801 Depth=2
	v_bfrev_b32_e32 v3, 1
	s_mov_b32 s40, exec_lo
	v_cmpx_ne_u16_e32 0x80, v5
	s_cbranch_execz .LBB6_7708
; %bb.7703:                             ;   in Loop: Header=BB6_6801 Depth=2
	v_bfe_u32 v5, v11, 16, 7
	v_mov_b32_e32 v3, 0x7f800001
	s_mov_b32 s41, exec_lo
	s_delay_alu instid0(VALU_DEP_2)
	v_cmpx_ne_u32_e32 0x7f, v5
	s_cbranch_execz .LBB6_7707
; %bb.7704:                             ;   in Loop: Header=BB6_6801 Depth=2
	v_dual_lshrrev_b32 v3, 3, v5 :: v_dual_bitop2_b32 v52, 7, v2 bitop3:0x40
	s_mov_b32 s42, exec_lo
	s_delay_alu instid0(VALU_DEP_1)
	v_mov_b64_e32 v[14:15], v[52:53]
	v_cmpx_gt_u32_e32 8, v5
; %bb.7705:                             ;   in Loop: Header=BB6_6801 Depth=2
	v_clz_i32_u32_e32 v3, v52
	s_delay_alu instid0(VALU_DEP_1) | instskip(NEXT) | instid1(VALU_DEP_1)
	v_min_u32_e32 v3, 32, v3
	v_subrev_nc_u32_e32 v5, 28, v3
	s_delay_alu instid0(VALU_DEP_1) | instskip(NEXT) | instid1(VALU_DEP_1)
	v_lshlrev_b64_e32 v[6:7], v5, v[52:53]
	v_dual_sub_nc_u32 v3, 29, v3 :: v_dual_bitop2_b32 v14, 7, v6 bitop3:0x40
; %bb.7706:                             ;   in Loop: Header=BB6_6801 Depth=2
	s_or_b32 exec_lo, exec_lo, s42
	v_lshlrev_b32_e32 v2, 24, v2
	s_delay_alu instid0(VALU_DEP_2) | instskip(NEXT) | instid1(VALU_DEP_3)
	v_lshlrev_b32_e32 v5, 20, v14
	v_lshl_add_u32 v3, v3, 23, 0x3c000000
	s_delay_alu instid0(VALU_DEP_3) | instskip(NEXT) | instid1(VALU_DEP_1)
	v_and_b32_e32 v2, 0x80000000, v2
	v_or3_b32 v3, v5, v2, v3
.LBB6_7707:                             ;   in Loop: Header=BB6_6801 Depth=2
	s_or_b32 exec_lo, exec_lo, s41
.LBB6_7708:                             ;   in Loop: Header=BB6_6801 Depth=2
	s_delay_alu instid0(SALU_CYCLE_1)
	s_or_b32 exec_lo, exec_lo, s40
.LBB6_7709:                             ;   in Loop: Header=BB6_6801 Depth=2
	s_delay_alu instid0(SALU_CYCLE_1) | instskip(NEXT) | instid1(VALU_DEP_1)
	s_or_b32 exec_lo, exec_lo, s7
	v_mul_f32_e32 v3, s29, v3
                                        ; implicit-def: $vgpr35
	s_mov_b32 s7, exec_lo
	s_delay_alu instid0(VALU_DEP_1) | instskip(SKIP_1) | instid1(VALU_DEP_2)
	v_and_b32_e32 v52, 0x7f800000, v3
	v_lshrrev_b32_e32 v2, 24, v3
	v_cmpx_ne_u64_e32 0x7f800000, v[52:53]
	s_xor_b32 s40, exec_lo, s7
	s_cbranch_execz .LBB6_7723
; %bb.7710:                             ;   in Loop: Header=BB6_6801 Depth=2
	v_and_b32_e32 v52, 0x7fffffff, v3
	v_and_b32_e32 v2, 0x80, v2
                                        ; implicit-def: $vgpr35
	s_mov_b32 s7, exec_lo
	s_delay_alu instid0(VALU_DEP_2)
	v_cmpx_gt_u64_e32 0x43e00001, v[52:53]
	s_xor_b32 s41, exec_lo, s7
	s_cbranch_execz .LBB6_7720
; %bb.7711:                             ;   in Loop: Header=BB6_6801 Depth=2
	v_mov_b32_e32 v35, 0
	s_mov_b32 s42, exec_lo
	v_cmpx_ne_u32_e32 0, v3
	s_cbranch_execz .LBB6_7719
; %bb.7712:                             ;   in Loop: Header=BB6_6801 Depth=2
	v_bfe_u32 v5, v3, 23, 8
	v_and_b32_e32 v3, 0x7fffff, v3
	s_delay_alu instid0(VALU_DEP_2) | instskip(SKIP_1) | instid1(VALU_DEP_3)
	v_sub_nc_u32_e32 v6, 0x79, v5
	v_cmp_gt_u32_e32 vcc_lo, 0x7a, v5
	v_or_b32_e32 v14, 0x800000, v3
	s_delay_alu instid0(VALU_DEP_3) | instskip(SKIP_1) | instid1(VALU_DEP_3)
	v_cndmask_b32_e32 v6, 0, v6, vcc_lo
	v_cmp_eq_u32_e32 vcc_lo, 0, v5
	v_cndmask_b32_e32 v52, v14, v3, vcc_lo
	s_delay_alu instid0(VALU_DEP_3) | instskip(NEXT) | instid1(VALU_DEP_1)
	v_cndmask_b32_e64 v6, v6, 0x78, vcc_lo
	v_add_nc_u32_e32 v7, 20, v6
	s_delay_alu instid0(VALU_DEP_3) | instskip(NEXT) | instid1(VALU_DEP_2)
	v_lshrrev_b64 v[14:15], v6, v[52:53]
	v_lshlrev_b64_e64 v[8:9], v7, -1
	v_add_nc_u32_e32 v7, 19, v6
	s_delay_alu instid0(VALU_DEP_1) | instskip(NEXT) | instid1(VALU_DEP_3)
	v_lshlrev_b64_e64 v[16:17], v7, 1
	v_bfi_b32 v9, v9, 0, 0
	s_delay_alu instid0(VALU_DEP_4) | instskip(NEXT) | instid1(VALU_DEP_1)
	v_bfi_b32 v8, v8, 0, v52
	v_cmp_eq_u64_e64 s7, v[8:9], v[16:17]
	v_mov_b64_e32 v[16:17], v[14:15]
	s_and_saveexec_b32 s43, s7
; %bb.7713:                             ;   in Loop: Header=BB6_6801 Depth=2
	v_bfe_u32 v52, v14, 20, 1
	s_delay_alu instid0(VALU_DEP_1) | instskip(NEXT) | instid1(VALU_DEP_1)
	v_add_nc_u64_e32 v[8:9], v[14:15], v[52:53]
	v_add_nc_u64_e32 v[16:17], -1, v[8:9]
; %bb.7714:                             ;   in Loop: Header=BB6_6801 Depth=2
	s_or_b32 exec_lo, exec_lo, s43
	v_add_nc_u32_e32 v3, 0xffffff81, v5
	v_lshrrev_b32_e32 v5, 23, v14
	s_mov_b32 s7, exec_lo
	s_delay_alu instid0(VALU_DEP_2) | instskip(NEXT) | instid1(VALU_DEP_1)
	v_cndmask_b32_e64 v3, v3, 0xffffff82, vcc_lo
	v_add3_u32 v5, v6, v3, v5
	v_and_b32_e32 v3, 0xfffff, v16
	s_delay_alu instid0(VALU_DEP_1) | instskip(NEXT) | instid1(VALU_DEP_1)
	v_dual_add_nc_u32 v6, 6, v5 :: v_dual_add_nc_u32 v52, v3, v14
                                        ; implicit-def: $vgpr14_vgpr15
                                        ; implicit-def: $vgpr3
	v_cmpx_ne_u32_e32 0, v6
	s_xor_b32 s7, exec_lo, s7
; %bb.7715:                             ;   in Loop: Header=BB6_6801 Depth=2
	s_delay_alu instid0(VALU_DEP_2) | instskip(SKIP_2) | instid1(VALU_DEP_2)
	v_cmp_lt_u64_e32 vcc_lo, 0xffffff, v[52:53]
	v_add_nc_u32_e32 v3, 7, v5
	v_cndmask_b32_e64 v5, 0, 1, vcc_lo
	v_cndmask_b32_e32 v3, v6, v3, vcc_lo
	s_delay_alu instid0(VALU_DEP_2)
	v_lshrrev_b64 v[14:15], v5, v[52:53]
; %bb.7716:                             ;   in Loop: Header=BB6_6801 Depth=2
	s_and_not1_saveexec_b32 s7, s7
; %bb.7717:                             ;   in Loop: Header=BB6_6801 Depth=2
	v_mov_b64_e32 v[14:15], v[52:53]
	v_bfe_u32 v3, v52, 23, 1
; %bb.7718:                             ;   in Loop: Header=BB6_6801 Depth=2
	s_or_b32 exec_lo, exec_lo, s7
	s_delay_alu instid0(VALU_DEP_2) | instskip(NEXT) | instid1(VALU_DEP_2)
	v_lshrrev_b64 v[6:7], 20, v[14:15]
	v_cmp_gt_i32_e32 vcc_lo, 16, v3
	v_min_i32_e32 v5, 15, v3
	v_cmp_eq_u32_e64 s7, 0, v3
	s_delay_alu instid0(VALU_DEP_2) | instskip(SKIP_1) | instid1(VALU_DEP_2)
	v_dual_cndmask_b32 v6, 7, v6 :: v_dual_lshlrev_b32 v5, 3, v5
	v_cndmask_b32_e32 v7, 0, v7, vcc_lo
	v_and_b32_e32 v5, 0xf8, v5
	s_delay_alu instid0(VALU_DEP_2) | instskip(NEXT) | instid1(VALU_DEP_2)
	v_cmp_eq_u64_e32 vcc_lo, 0, v[6:7]
	v_and_or_b32 v3, v6, 7, v5
	s_and_b32 s7, s7, vcc_lo
	s_delay_alu instid0(VALU_DEP_1) | instid1(SALU_CYCLE_1)
	v_cndmask_b32_e64 v3, v3, 0, s7
	s_delay_alu instid0(VALU_DEP_1)
	v_or_b32_e32 v35, v3, v2
.LBB6_7719:                             ;   in Loop: Header=BB6_6801 Depth=2
	s_or_b32 exec_lo, exec_lo, s42
                                        ; implicit-def: $vgpr2
.LBB6_7720:                             ;   in Loop: Header=BB6_6801 Depth=2
	s_and_not1_saveexec_b32 s7, s41
; %bb.7721:                             ;   in Loop: Header=BB6_6801 Depth=2
	v_or_b32_e32 v35, 0x7e, v2
; %bb.7722:                             ;   in Loop: Header=BB6_6801 Depth=2
	s_or_b32 exec_lo, exec_lo, s7
                                        ; implicit-def: $vgpr2
.LBB6_7723:                             ;   in Loop: Header=BB6_6801 Depth=2
	s_and_not1_saveexec_b32 s7, s40
; %bb.7724:                             ;   in Loop: Header=BB6_6801 Depth=2
	v_or_b32_e32 v35, 0x7f, v2
; %bb.7725:                             ;   in Loop: Header=BB6_6801 Depth=2
	s_or_b32 exec_lo, exec_lo, s7
	v_mov_b32_e32 v3, 0
	s_mov_b32 s7, exec_lo
	v_cmpx_lt_u64_e64 s[12:13], v[10:11]
	s_cbranch_execz .LBB6_7733
; %bb.7726:                             ;   in Loop: Header=BB6_6801 Depth=2
	v_lshrrev_b32_e32 v2, 24, v11
	v_bfrev_b32_e32 v3, 1
	s_mov_b32 s40, exec_lo
	s_delay_alu instid0(VALU_DEP_2)
	v_cmpx_ne_u32_e32 0x80, v2
	s_cbranch_execz .LBB6_7732
; %bb.7727:                             ;   in Loop: Header=BB6_6801 Depth=2
	v_bfe_u32 v5, v11, 24, 7
	v_mov_b32_e32 v3, 0x7f800001
	s_mov_b32 s41, exec_lo
	s_delay_alu instid0(VALU_DEP_2)
	v_cmpx_ne_u32_e32 0x7f, v5
	s_cbranch_execz .LBB6_7731
; %bb.7728:                             ;   in Loop: Header=BB6_6801 Depth=2
	v_dual_lshrrev_b32 v3, 3, v5 :: v_dual_bitop2_b32 v52, 7, v2 bitop3:0x40
	s_mov_b32 s42, exec_lo
	s_delay_alu instid0(VALU_DEP_1)
	v_mov_b64_e32 v[10:11], v[52:53]
	v_cmpx_gt_u32_e32 8, v5
; %bb.7729:                             ;   in Loop: Header=BB6_6801 Depth=2
	v_clz_i32_u32_e32 v3, v52
	s_delay_alu instid0(VALU_DEP_1) | instskip(NEXT) | instid1(VALU_DEP_1)
	v_min_u32_e32 v3, 32, v3
	v_subrev_nc_u32_e32 v5, 28, v3
	s_delay_alu instid0(VALU_DEP_1) | instskip(NEXT) | instid1(VALU_DEP_1)
	v_lshlrev_b64_e32 v[6:7], v5, v[52:53]
	v_dual_sub_nc_u32 v3, 29, v3 :: v_dual_bitop2_b32 v10, 7, v6 bitop3:0x40
; %bb.7730:                             ;   in Loop: Header=BB6_6801 Depth=2
	s_or_b32 exec_lo, exec_lo, s42
	v_lshlrev_b32_e32 v2, 24, v2
	s_delay_alu instid0(VALU_DEP_2) | instskip(NEXT) | instid1(VALU_DEP_3)
	v_lshlrev_b32_e32 v5, 20, v10
	v_lshl_add_u32 v3, v3, 23, 0x3c000000
	s_delay_alu instid0(VALU_DEP_3) | instskip(NEXT) | instid1(VALU_DEP_1)
	v_and_b32_e32 v2, 0x80000000, v2
	v_or3_b32 v3, v5, v2, v3
.LBB6_7731:                             ;   in Loop: Header=BB6_6801 Depth=2
	s_or_b32 exec_lo, exec_lo, s41
.LBB6_7732:                             ;   in Loop: Header=BB6_6801 Depth=2
	s_delay_alu instid0(SALU_CYCLE_1)
	s_or_b32 exec_lo, exec_lo, s40
.LBB6_7733:                             ;   in Loop: Header=BB6_6801 Depth=2
	s_delay_alu instid0(SALU_CYCLE_1) | instskip(NEXT) | instid1(VALU_DEP_1)
	s_or_b32 exec_lo, exec_lo, s7
	v_mul_f32_e32 v3, s29, v3
                                        ; implicit-def: $vgpr104
	s_mov_b32 s7, exec_lo
	s_delay_alu instid0(VALU_DEP_1) | instskip(SKIP_1) | instid1(VALU_DEP_2)
	v_and_b32_e32 v52, 0x7f800000, v3
	v_lshrrev_b32_e32 v2, 24, v3
	v_cmpx_ne_u64_e32 0x7f800000, v[52:53]
	s_xor_b32 s40, exec_lo, s7
	s_cbranch_execz .LBB6_7747
; %bb.7734:                             ;   in Loop: Header=BB6_6801 Depth=2
	v_and_b32_e32 v52, 0x7fffffff, v3
	v_and_b32_e32 v2, 0x80, v2
                                        ; implicit-def: $vgpr104
	s_mov_b32 s7, exec_lo
	s_delay_alu instid0(VALU_DEP_2)
	v_cmpx_gt_u64_e32 0x43e00001, v[52:53]
	s_xor_b32 s41, exec_lo, s7
	s_cbranch_execz .LBB6_7744
; %bb.7735:                             ;   in Loop: Header=BB6_6801 Depth=2
	v_mov_b32_e32 v104, 0
	s_mov_b32 s42, exec_lo
	v_cmpx_ne_u32_e32 0, v3
	s_cbranch_execz .LBB6_7743
; %bb.7736:                             ;   in Loop: Header=BB6_6801 Depth=2
	v_bfe_u32 v5, v3, 23, 8
	v_and_b32_e32 v3, 0x7fffff, v3
	s_delay_alu instid0(VALU_DEP_2) | instskip(SKIP_1) | instid1(VALU_DEP_3)
	v_sub_nc_u32_e32 v6, 0x79, v5
	v_cmp_gt_u32_e32 vcc_lo, 0x7a, v5
	v_or_b32_e32 v10, 0x800000, v3
	s_delay_alu instid0(VALU_DEP_3) | instskip(SKIP_1) | instid1(VALU_DEP_3)
	v_cndmask_b32_e32 v6, 0, v6, vcc_lo
	v_cmp_eq_u32_e32 vcc_lo, 0, v5
	v_cndmask_b32_e32 v52, v10, v3, vcc_lo
	s_delay_alu instid0(VALU_DEP_3) | instskip(NEXT) | instid1(VALU_DEP_1)
	v_cndmask_b32_e64 v6, v6, 0x78, vcc_lo
	v_add_nc_u32_e32 v7, 20, v6
	s_delay_alu instid0(VALU_DEP_3) | instskip(NEXT) | instid1(VALU_DEP_2)
	v_lshrrev_b64 v[10:11], v6, v[52:53]
	v_lshlrev_b64_e64 v[8:9], v7, -1
	v_add_nc_u32_e32 v7, 19, v6
	s_delay_alu instid0(VALU_DEP_1) | instskip(NEXT) | instid1(VALU_DEP_3)
	v_lshlrev_b64_e64 v[14:15], v7, 1
	v_bfi_b32 v9, v9, 0, 0
	s_delay_alu instid0(VALU_DEP_4) | instskip(NEXT) | instid1(VALU_DEP_1)
	v_bfi_b32 v8, v8, 0, v52
	v_cmp_eq_u64_e64 s7, v[8:9], v[14:15]
	v_mov_b64_e32 v[14:15], v[10:11]
	s_and_saveexec_b32 s43, s7
; %bb.7737:                             ;   in Loop: Header=BB6_6801 Depth=2
	v_bfe_u32 v52, v10, 20, 1
	s_delay_alu instid0(VALU_DEP_1) | instskip(NEXT) | instid1(VALU_DEP_1)
	v_add_nc_u64_e32 v[8:9], v[10:11], v[52:53]
	v_add_nc_u64_e32 v[14:15], -1, v[8:9]
; %bb.7738:                             ;   in Loop: Header=BB6_6801 Depth=2
	s_or_b32 exec_lo, exec_lo, s43
	v_add_nc_u32_e32 v3, 0xffffff81, v5
	v_lshrrev_b32_e32 v5, 23, v10
	s_mov_b32 s7, exec_lo
	s_delay_alu instid0(VALU_DEP_2) | instskip(NEXT) | instid1(VALU_DEP_1)
	v_cndmask_b32_e64 v3, v3, 0xffffff82, vcc_lo
	v_add3_u32 v5, v6, v3, v5
	v_and_b32_e32 v3, 0xfffff, v14
	s_delay_alu instid0(VALU_DEP_1) | instskip(NEXT) | instid1(VALU_DEP_1)
	v_dual_add_nc_u32 v6, 6, v5 :: v_dual_add_nc_u32 v52, v3, v10
                                        ; implicit-def: $vgpr10_vgpr11
                                        ; implicit-def: $vgpr3
	v_cmpx_ne_u32_e32 0, v6
	s_xor_b32 s7, exec_lo, s7
; %bb.7739:                             ;   in Loop: Header=BB6_6801 Depth=2
	s_delay_alu instid0(VALU_DEP_2) | instskip(SKIP_2) | instid1(VALU_DEP_2)
	v_cmp_lt_u64_e32 vcc_lo, 0xffffff, v[52:53]
	v_add_nc_u32_e32 v3, 7, v5
	v_cndmask_b32_e64 v5, 0, 1, vcc_lo
	v_cndmask_b32_e32 v3, v6, v3, vcc_lo
	s_delay_alu instid0(VALU_DEP_2)
	v_lshrrev_b64 v[10:11], v5, v[52:53]
; %bb.7740:                             ;   in Loop: Header=BB6_6801 Depth=2
	s_and_not1_saveexec_b32 s7, s7
; %bb.7741:                             ;   in Loop: Header=BB6_6801 Depth=2
	v_mov_b64_e32 v[10:11], v[52:53]
	v_bfe_u32 v3, v52, 23, 1
; %bb.7742:                             ;   in Loop: Header=BB6_6801 Depth=2
	s_or_b32 exec_lo, exec_lo, s7
	s_delay_alu instid0(VALU_DEP_2) | instskip(NEXT) | instid1(VALU_DEP_2)
	v_lshrrev_b64 v[6:7], 20, v[10:11]
	v_cmp_gt_i32_e32 vcc_lo, 16, v3
	v_min_i32_e32 v5, 15, v3
	v_cmp_eq_u32_e64 s7, 0, v3
	s_delay_alu instid0(VALU_DEP_2) | instskip(SKIP_1) | instid1(VALU_DEP_2)
	v_dual_cndmask_b32 v6, 7, v6 :: v_dual_lshlrev_b32 v5, 3, v5
	v_cndmask_b32_e32 v7, 0, v7, vcc_lo
	v_and_b32_e32 v5, 0xf8, v5
	s_delay_alu instid0(VALU_DEP_2) | instskip(NEXT) | instid1(VALU_DEP_2)
	v_cmp_eq_u64_e32 vcc_lo, 0, v[6:7]
	v_and_or_b32 v3, v6, 7, v5
	s_and_b32 s7, s7, vcc_lo
	s_delay_alu instid0(VALU_DEP_1) | instid1(SALU_CYCLE_1)
	v_cndmask_b32_e64 v3, v3, 0, s7
	s_delay_alu instid0(VALU_DEP_1)
	v_or_b32_e32 v104, v3, v2
.LBB6_7743:                             ;   in Loop: Header=BB6_6801 Depth=2
	s_or_b32 exec_lo, exec_lo, s42
                                        ; implicit-def: $vgpr2
.LBB6_7744:                             ;   in Loop: Header=BB6_6801 Depth=2
	s_and_not1_saveexec_b32 s7, s41
; %bb.7745:                             ;   in Loop: Header=BB6_6801 Depth=2
	v_or_b32_e32 v104, 0x7e, v2
; %bb.7746:                             ;   in Loop: Header=BB6_6801 Depth=2
	s_or_b32 exec_lo, exec_lo, s7
                                        ; implicit-def: $vgpr2
.LBB6_7747:                             ;   in Loop: Header=BB6_6801 Depth=2
	s_and_not1_saveexec_b32 s7, s40
; %bb.7748:                             ;   in Loop: Header=BB6_6801 Depth=2
	v_or_b32_e32 v104, 0x7f, v2
; %bb.7749:                             ;   in Loop: Header=BB6_6801 Depth=2
	s_or_b32 exec_lo, exec_lo, s7
	v_and_b32_e32 v3, 0xff, v12
	v_mov_b32_e32 v2, 0
	s_mov_b32 s7, exec_lo
	s_delay_alu instid0(VALU_DEP_2)
	v_cmpx_ne_u16_e32 0, v3
	s_cbranch_execz .LBB6_7755
; %bb.7750:                             ;   in Loop: Header=BB6_6801 Depth=2
	v_bfrev_b32_e32 v2, 1
	s_mov_b32 s40, exec_lo
	v_cmpx_ne_u16_e32 0x80, v3
	s_cbranch_execz .LBB6_7754
; %bb.7751:                             ;   in Loop: Header=BB6_6801 Depth=2
	v_and_b32_e32 v3, 0x7f, v12
	v_mov_b32_e32 v2, 0x7f800001
	s_mov_b32 s41, exec_lo
	s_delay_alu instid0(VALU_DEP_2)
	v_cmpx_ne_u32_e32 0x7f, v3
	s_cbranch_execz .LBB6_7753
; %bb.7752:                             ;   in Loop: Header=BB6_6801 Depth=2
	v_dual_lshrrev_b32 v5, 3, v3 :: v_dual_bitop2_b32 v2, 7, v12 bitop3:0x40
	v_cmp_gt_u32_e32 vcc_lo, 8, v3
	s_delay_alu instid0(VALU_DEP_2) | instskip(NEXT) | instid1(VALU_DEP_1)
	v_clz_i32_u32_e32 v2, v2
	v_min_u32_e32 v2, 32, v2
	s_delay_alu instid0(VALU_DEP_1) | instskip(SKIP_1) | instid1(VALU_DEP_1)
	v_subrev_nc_u32_e32 v6, 28, v2
	v_sub_nc_u32_e32 v2, 29, v2
	v_cndmask_b32_e32 v5, v5, v2, vcc_lo
	s_delay_alu instid0(VALU_DEP_3) | instskip(NEXT) | instid1(VALU_DEP_1)
	v_cndmask_b32_e32 v2, 0, v6, vcc_lo
	v_lshlrev_b64_e32 v[2:3], v2, v[12:13]
	v_lshlrev_b32_e32 v3, 24, v12
	s_delay_alu instid0(VALU_DEP_1) | instskip(NEXT) | instid1(VALU_DEP_3)
	v_and_b32_e32 v3, 0x80000000, v3
	v_lshlrev_b32_e32 v2, 20, v2
	v_lshl_add_u32 v5, v5, 23, 0x3c000000
	s_delay_alu instid0(VALU_DEP_2) | instskip(NEXT) | instid1(VALU_DEP_1)
	v_and_b32_e32 v2, 0x700000, v2
	v_or3_b32 v2, v2, v3, v5
.LBB6_7753:                             ;   in Loop: Header=BB6_6801 Depth=2
	s_or_b32 exec_lo, exec_lo, s41
.LBB6_7754:                             ;   in Loop: Header=BB6_6801 Depth=2
	s_delay_alu instid0(SALU_CYCLE_1)
	s_or_b32 exec_lo, exec_lo, s40
.LBB6_7755:                             ;   in Loop: Header=BB6_6801 Depth=2
	s_delay_alu instid0(SALU_CYCLE_1) | instskip(NEXT) | instid1(VALU_DEP_1)
	s_or_b32 exec_lo, exec_lo, s7
	v_mul_f32_e32 v3, s29, v2
                                        ; implicit-def: $vgpr78
	s_mov_b32 s7, exec_lo
	s_delay_alu instid0(VALU_DEP_1) | instskip(SKIP_1) | instid1(VALU_DEP_2)
	v_and_b32_e32 v52, 0x7f800000, v3
	v_lshrrev_b32_e32 v2, 24, v3
	v_cmpx_ne_u64_e32 0x7f800000, v[52:53]
	s_xor_b32 s40, exec_lo, s7
	s_cbranch_execz .LBB6_7769
; %bb.7756:                             ;   in Loop: Header=BB6_6801 Depth=2
	v_and_b32_e32 v52, 0x7fffffff, v3
	v_and_b32_e32 v2, 0x80, v2
                                        ; implicit-def: $vgpr78
	s_mov_b32 s7, exec_lo
	s_delay_alu instid0(VALU_DEP_2)
	v_cmpx_gt_u64_e32 0x43e00001, v[52:53]
	s_xor_b32 s41, exec_lo, s7
	s_cbranch_execz .LBB6_7766
; %bb.7757:                             ;   in Loop: Header=BB6_6801 Depth=2
	v_mov_b32_e32 v78, 0
	s_mov_b32 s42, exec_lo
	v_cmpx_ne_u32_e32 0, v3
	s_cbranch_execz .LBB6_7765
; %bb.7758:                             ;   in Loop: Header=BB6_6801 Depth=2
	v_bfe_u32 v5, v3, 23, 8
	v_and_b32_e32 v3, 0x7fffff, v3
	s_delay_alu instid0(VALU_DEP_2) | instskip(SKIP_1) | instid1(VALU_DEP_3)
	v_sub_nc_u32_e32 v6, 0x79, v5
	v_cmp_gt_u32_e32 vcc_lo, 0x7a, v5
	v_or_b32_e32 v10, 0x800000, v3
	s_delay_alu instid0(VALU_DEP_3) | instskip(SKIP_1) | instid1(VALU_DEP_3)
	v_cndmask_b32_e32 v6, 0, v6, vcc_lo
	v_cmp_eq_u32_e32 vcc_lo, 0, v5
	v_cndmask_b32_e32 v52, v10, v3, vcc_lo
	s_delay_alu instid0(VALU_DEP_3) | instskip(NEXT) | instid1(VALU_DEP_1)
	v_cndmask_b32_e64 v6, v6, 0x78, vcc_lo
	v_add_nc_u32_e32 v7, 20, v6
	s_delay_alu instid0(VALU_DEP_3) | instskip(NEXT) | instid1(VALU_DEP_2)
	v_lshrrev_b64 v[10:11], v6, v[52:53]
	v_lshlrev_b64_e64 v[8:9], v7, -1
	v_add_nc_u32_e32 v7, 19, v6
	s_delay_alu instid0(VALU_DEP_1) | instskip(NEXT) | instid1(VALU_DEP_3)
	v_lshlrev_b64_e64 v[14:15], v7, 1
	v_bfi_b32 v9, v9, 0, 0
	s_delay_alu instid0(VALU_DEP_4) | instskip(NEXT) | instid1(VALU_DEP_1)
	v_bfi_b32 v8, v8, 0, v52
	v_cmp_eq_u64_e64 s7, v[8:9], v[14:15]
	v_mov_b64_e32 v[14:15], v[10:11]
	s_and_saveexec_b32 s43, s7
; %bb.7759:                             ;   in Loop: Header=BB6_6801 Depth=2
	v_bfe_u32 v52, v10, 20, 1
	s_delay_alu instid0(VALU_DEP_1) | instskip(NEXT) | instid1(VALU_DEP_1)
	v_add_nc_u64_e32 v[8:9], v[10:11], v[52:53]
	v_add_nc_u64_e32 v[14:15], -1, v[8:9]
; %bb.7760:                             ;   in Loop: Header=BB6_6801 Depth=2
	s_or_b32 exec_lo, exec_lo, s43
	v_add_nc_u32_e32 v3, 0xffffff81, v5
	v_lshrrev_b32_e32 v5, 23, v10
	s_mov_b32 s7, exec_lo
	s_delay_alu instid0(VALU_DEP_2) | instskip(NEXT) | instid1(VALU_DEP_1)
	v_cndmask_b32_e64 v3, v3, 0xffffff82, vcc_lo
	v_add3_u32 v5, v6, v3, v5
	v_and_b32_e32 v3, 0xfffff, v14
	s_delay_alu instid0(VALU_DEP_1) | instskip(NEXT) | instid1(VALU_DEP_1)
	v_dual_add_nc_u32 v6, 6, v5 :: v_dual_add_nc_u32 v52, v3, v10
                                        ; implicit-def: $vgpr10_vgpr11
                                        ; implicit-def: $vgpr3
	v_cmpx_ne_u32_e32 0, v6
	s_xor_b32 s7, exec_lo, s7
; %bb.7761:                             ;   in Loop: Header=BB6_6801 Depth=2
	s_delay_alu instid0(VALU_DEP_2) | instskip(SKIP_2) | instid1(VALU_DEP_2)
	v_cmp_lt_u64_e32 vcc_lo, 0xffffff, v[52:53]
	v_add_nc_u32_e32 v3, 7, v5
	v_cndmask_b32_e64 v5, 0, 1, vcc_lo
	v_cndmask_b32_e32 v3, v6, v3, vcc_lo
	s_delay_alu instid0(VALU_DEP_2)
	v_lshrrev_b64 v[10:11], v5, v[52:53]
; %bb.7762:                             ;   in Loop: Header=BB6_6801 Depth=2
	s_and_not1_saveexec_b32 s7, s7
; %bb.7763:                             ;   in Loop: Header=BB6_6801 Depth=2
	v_mov_b64_e32 v[10:11], v[52:53]
	v_bfe_u32 v3, v52, 23, 1
; %bb.7764:                             ;   in Loop: Header=BB6_6801 Depth=2
	s_or_b32 exec_lo, exec_lo, s7
	s_delay_alu instid0(VALU_DEP_2) | instskip(NEXT) | instid1(VALU_DEP_2)
	v_lshrrev_b64 v[6:7], 20, v[10:11]
	v_cmp_gt_i32_e32 vcc_lo, 16, v3
	v_min_i32_e32 v5, 15, v3
	v_cmp_eq_u32_e64 s7, 0, v3
	s_delay_alu instid0(VALU_DEP_2) | instskip(SKIP_1) | instid1(VALU_DEP_2)
	v_dual_cndmask_b32 v6, 7, v6 :: v_dual_lshlrev_b32 v5, 3, v5
	v_cndmask_b32_e32 v7, 0, v7, vcc_lo
	v_and_b32_e32 v5, 0xf8, v5
	s_delay_alu instid0(VALU_DEP_2) | instskip(NEXT) | instid1(VALU_DEP_2)
	v_cmp_eq_u64_e32 vcc_lo, 0, v[6:7]
	v_and_or_b32 v3, v6, 7, v5
	s_and_b32 s7, s7, vcc_lo
	s_delay_alu instid0(VALU_DEP_1) | instid1(SALU_CYCLE_1)
	v_cndmask_b32_e64 v3, v3, 0, s7
	s_delay_alu instid0(VALU_DEP_1)
	v_or_b32_e32 v78, v3, v2
.LBB6_7765:                             ;   in Loop: Header=BB6_6801 Depth=2
	s_or_b32 exec_lo, exec_lo, s42
                                        ; implicit-def: $vgpr2
.LBB6_7766:                             ;   in Loop: Header=BB6_6801 Depth=2
	s_and_not1_saveexec_b32 s7, s41
; %bb.7767:                             ;   in Loop: Header=BB6_6801 Depth=2
	v_or_b32_e32 v78, 0x7e, v2
; %bb.7768:                             ;   in Loop: Header=BB6_6801 Depth=2
	s_or_b32 exec_lo, exec_lo, s7
                                        ; implicit-def: $vgpr2
.LBB6_7769:                             ;   in Loop: Header=BB6_6801 Depth=2
	s_and_not1_saveexec_b32 s7, s40
; %bb.7770:                             ;   in Loop: Header=BB6_6801 Depth=2
	v_or_b32_e32 v78, 0x7f, v2
; %bb.7771:                             ;   in Loop: Header=BB6_6801 Depth=2
	s_or_b32 exec_lo, exec_lo, s7
	v_lshrrev_b16 v3, 8, v12
	v_mov_b32_e32 v2, 0
	s_mov_b32 s7, exec_lo
	s_delay_alu instid0(VALU_DEP_2)
	v_cmpx_ne_u16_e32 0, v3
	s_cbranch_execz .LBB6_7779
; %bb.7772:                             ;   in Loop: Header=BB6_6801 Depth=2
	v_bfrev_b32_e32 v2, 1
	s_mov_b32 s40, exec_lo
	v_cmpx_ne_u16_e32 0x80, v3
	s_cbranch_execz .LBB6_7778
; %bb.7773:                             ;   in Loop: Header=BB6_6801 Depth=2
	v_and_b32_e32 v5, 0xffff, v3
	v_mov_b32_e32 v2, 0x7f800001
	s_mov_b32 s41, exec_lo
	s_delay_alu instid0(VALU_DEP_2) | instskip(NEXT) | instid1(VALU_DEP_1)
	v_and_b32_e32 v3, 0x7f, v5
	v_cmpx_ne_u32_e32 0x7f, v3
	s_cbranch_execz .LBB6_7777
; %bb.7774:                             ;   in Loop: Header=BB6_6801 Depth=2
	v_dual_lshrrev_b32 v2, 3, v3 :: v_dual_bitop2_b32 v52, 7, v5 bitop3:0x40
	s_mov_b32 s42, exec_lo
	s_delay_alu instid0(VALU_DEP_1)
	v_mov_b64_e32 v[10:11], v[52:53]
	v_cmpx_gt_u32_e32 8, v3
; %bb.7775:                             ;   in Loop: Header=BB6_6801 Depth=2
	v_clz_i32_u32_e32 v2, v52
	s_delay_alu instid0(VALU_DEP_1) | instskip(NEXT) | instid1(VALU_DEP_1)
	v_min_u32_e32 v2, 32, v2
	v_subrev_nc_u32_e32 v3, 28, v2
	v_sub_nc_u32_e32 v2, 29, v2
	s_delay_alu instid0(VALU_DEP_2) | instskip(NEXT) | instid1(VALU_DEP_1)
	v_lshlrev_b64_e32 v[6:7], v3, v[52:53]
	v_and_b32_e32 v10, 7, v6
; %bb.7776:                             ;   in Loop: Header=BB6_6801 Depth=2
	s_or_b32 exec_lo, exec_lo, s42
	s_delay_alu instid0(VALU_DEP_1) | instskip(SKIP_1) | instid1(VALU_DEP_2)
	v_dual_lshlrev_b32 v3, 16, v12 :: v_dual_lshlrev_b32 v5, 20, v10
	v_lshl_add_u32 v2, v2, 23, 0x3c000000
	v_and_b32_e32 v3, 0x80000000, v3
	s_delay_alu instid0(VALU_DEP_1)
	v_or3_b32 v2, v5, v3, v2
.LBB6_7777:                             ;   in Loop: Header=BB6_6801 Depth=2
	s_or_b32 exec_lo, exec_lo, s41
.LBB6_7778:                             ;   in Loop: Header=BB6_6801 Depth=2
	s_delay_alu instid0(SALU_CYCLE_1)
	s_or_b32 exec_lo, exec_lo, s40
.LBB6_7779:                             ;   in Loop: Header=BB6_6801 Depth=2
	s_delay_alu instid0(SALU_CYCLE_1) | instskip(NEXT) | instid1(VALU_DEP_1)
	s_or_b32 exec_lo, exec_lo, s7
	v_mul_f32_e32 v3, s29, v2
                                        ; implicit-def: $vgpr31
	s_mov_b32 s7, exec_lo
	s_delay_alu instid0(VALU_DEP_1) | instskip(SKIP_1) | instid1(VALU_DEP_2)
	v_and_b32_e32 v52, 0x7f800000, v3
	v_lshrrev_b32_e32 v2, 24, v3
	v_cmpx_ne_u64_e32 0x7f800000, v[52:53]
	s_xor_b32 s40, exec_lo, s7
	s_cbranch_execz .LBB6_7793
; %bb.7780:                             ;   in Loop: Header=BB6_6801 Depth=2
	v_and_b32_e32 v52, 0x7fffffff, v3
	v_and_b32_e32 v2, 0x80, v2
                                        ; implicit-def: $vgpr31
	s_mov_b32 s7, exec_lo
	s_delay_alu instid0(VALU_DEP_2)
	v_cmpx_gt_u64_e32 0x43e00001, v[52:53]
	s_xor_b32 s41, exec_lo, s7
	s_cbranch_execz .LBB6_7790
; %bb.7781:                             ;   in Loop: Header=BB6_6801 Depth=2
	v_mov_b32_e32 v31, 0
	s_mov_b32 s42, exec_lo
	v_cmpx_ne_u32_e32 0, v3
	s_cbranch_execz .LBB6_7789
; %bb.7782:                             ;   in Loop: Header=BB6_6801 Depth=2
	v_bfe_u32 v5, v3, 23, 8
	v_and_b32_e32 v3, 0x7fffff, v3
	s_delay_alu instid0(VALU_DEP_2) | instskip(SKIP_1) | instid1(VALU_DEP_3)
	v_sub_nc_u32_e32 v6, 0x79, v5
	v_cmp_gt_u32_e32 vcc_lo, 0x7a, v5
	v_or_b32_e32 v10, 0x800000, v3
	s_delay_alu instid0(VALU_DEP_3) | instskip(SKIP_1) | instid1(VALU_DEP_3)
	v_cndmask_b32_e32 v6, 0, v6, vcc_lo
	v_cmp_eq_u32_e32 vcc_lo, 0, v5
	v_cndmask_b32_e32 v52, v10, v3, vcc_lo
	s_delay_alu instid0(VALU_DEP_3) | instskip(NEXT) | instid1(VALU_DEP_1)
	v_cndmask_b32_e64 v6, v6, 0x78, vcc_lo
	v_add_nc_u32_e32 v7, 20, v6
	s_delay_alu instid0(VALU_DEP_3) | instskip(NEXT) | instid1(VALU_DEP_2)
	v_lshrrev_b64 v[10:11], v6, v[52:53]
	v_lshlrev_b64_e64 v[8:9], v7, -1
	v_add_nc_u32_e32 v7, 19, v6
	s_delay_alu instid0(VALU_DEP_1) | instskip(NEXT) | instid1(VALU_DEP_3)
	v_lshlrev_b64_e64 v[14:15], v7, 1
	v_bfi_b32 v9, v9, 0, 0
	s_delay_alu instid0(VALU_DEP_4) | instskip(NEXT) | instid1(VALU_DEP_1)
	v_bfi_b32 v8, v8, 0, v52
	v_cmp_eq_u64_e64 s7, v[8:9], v[14:15]
	v_mov_b64_e32 v[14:15], v[10:11]
	s_and_saveexec_b32 s43, s7
; %bb.7783:                             ;   in Loop: Header=BB6_6801 Depth=2
	v_bfe_u32 v52, v10, 20, 1
	s_delay_alu instid0(VALU_DEP_1) | instskip(NEXT) | instid1(VALU_DEP_1)
	v_add_nc_u64_e32 v[8:9], v[10:11], v[52:53]
	v_add_nc_u64_e32 v[14:15], -1, v[8:9]
; %bb.7784:                             ;   in Loop: Header=BB6_6801 Depth=2
	s_or_b32 exec_lo, exec_lo, s43
	v_add_nc_u32_e32 v3, 0xffffff81, v5
	v_lshrrev_b32_e32 v5, 23, v10
	s_mov_b32 s7, exec_lo
	s_delay_alu instid0(VALU_DEP_2) | instskip(NEXT) | instid1(VALU_DEP_1)
	v_cndmask_b32_e64 v3, v3, 0xffffff82, vcc_lo
	v_add3_u32 v5, v6, v3, v5
	v_and_b32_e32 v3, 0xfffff, v14
	s_delay_alu instid0(VALU_DEP_1) | instskip(NEXT) | instid1(VALU_DEP_1)
	v_dual_add_nc_u32 v6, 6, v5 :: v_dual_add_nc_u32 v52, v3, v10
                                        ; implicit-def: $vgpr10_vgpr11
                                        ; implicit-def: $vgpr3
	v_cmpx_ne_u32_e32 0, v6
	s_xor_b32 s7, exec_lo, s7
; %bb.7785:                             ;   in Loop: Header=BB6_6801 Depth=2
	s_delay_alu instid0(VALU_DEP_2) | instskip(SKIP_2) | instid1(VALU_DEP_2)
	v_cmp_lt_u64_e32 vcc_lo, 0xffffff, v[52:53]
	v_add_nc_u32_e32 v3, 7, v5
	v_cndmask_b32_e64 v5, 0, 1, vcc_lo
	v_cndmask_b32_e32 v3, v6, v3, vcc_lo
	s_delay_alu instid0(VALU_DEP_2)
	v_lshrrev_b64 v[10:11], v5, v[52:53]
; %bb.7786:                             ;   in Loop: Header=BB6_6801 Depth=2
	s_and_not1_saveexec_b32 s7, s7
; %bb.7787:                             ;   in Loop: Header=BB6_6801 Depth=2
	v_mov_b64_e32 v[10:11], v[52:53]
	v_bfe_u32 v3, v52, 23, 1
; %bb.7788:                             ;   in Loop: Header=BB6_6801 Depth=2
	s_or_b32 exec_lo, exec_lo, s7
	s_delay_alu instid0(VALU_DEP_2) | instskip(NEXT) | instid1(VALU_DEP_2)
	v_lshrrev_b64 v[6:7], 20, v[10:11]
	v_cmp_gt_i32_e32 vcc_lo, 16, v3
	v_min_i32_e32 v5, 15, v3
	v_cmp_eq_u32_e64 s7, 0, v3
	s_delay_alu instid0(VALU_DEP_2) | instskip(SKIP_1) | instid1(VALU_DEP_2)
	v_dual_cndmask_b32 v6, 7, v6 :: v_dual_lshlrev_b32 v5, 3, v5
	v_cndmask_b32_e32 v7, 0, v7, vcc_lo
	v_and_b32_e32 v5, 0xf8, v5
	s_delay_alu instid0(VALU_DEP_2) | instskip(NEXT) | instid1(VALU_DEP_2)
	v_cmp_eq_u64_e32 vcc_lo, 0, v[6:7]
	v_and_or_b32 v3, v6, 7, v5
	s_and_b32 s7, s7, vcc_lo
	s_delay_alu instid0(VALU_DEP_1) | instid1(SALU_CYCLE_1)
	v_cndmask_b32_e64 v3, v3, 0, s7
	s_delay_alu instid0(VALU_DEP_1)
	v_or_b32_e32 v31, v3, v2
.LBB6_7789:                             ;   in Loop: Header=BB6_6801 Depth=2
	s_or_b32 exec_lo, exec_lo, s42
                                        ; implicit-def: $vgpr2
.LBB6_7790:                             ;   in Loop: Header=BB6_6801 Depth=2
	s_and_not1_saveexec_b32 s7, s41
; %bb.7791:                             ;   in Loop: Header=BB6_6801 Depth=2
	v_or_b32_e32 v31, 0x7e, v2
; %bb.7792:                             ;   in Loop: Header=BB6_6801 Depth=2
	s_or_b32 exec_lo, exec_lo, s7
                                        ; implicit-def: $vgpr2
.LBB6_7793:                             ;   in Loop: Header=BB6_6801 Depth=2
	s_and_not1_saveexec_b32 s7, s40
; %bb.7794:                             ;   in Loop: Header=BB6_6801 Depth=2
	v_or_b32_e32 v31, 0x7f, v2
; %bb.7795:                             ;   in Loop: Header=BB6_6801 Depth=2
	s_or_b32 exec_lo, exec_lo, s7
	v_dual_mov_b32 v3, 0 :: v_dual_lshrrev_b32 v2, 16, v12
	s_mov_b32 s7, exec_lo
	s_delay_alu instid0(VALU_DEP_1) | instskip(NEXT) | instid1(VALU_DEP_1)
	v_and_b32_e32 v5, 0xff, v2
	v_cmpx_ne_u16_e32 0, v5
	s_cbranch_execz .LBB6_7803
; %bb.7796:                             ;   in Loop: Header=BB6_6801 Depth=2
	v_bfrev_b32_e32 v3, 1
	s_mov_b32 s40, exec_lo
	v_cmpx_ne_u16_e32 0x80, v5
	s_cbranch_execz .LBB6_7802
; %bb.7797:                             ;   in Loop: Header=BB6_6801 Depth=2
	v_bfe_u32 v5, v12, 16, 7
	v_mov_b32_e32 v3, 0x7f800001
	s_mov_b32 s41, exec_lo
	s_delay_alu instid0(VALU_DEP_2)
	v_cmpx_ne_u32_e32 0x7f, v5
	s_cbranch_execz .LBB6_7801
; %bb.7798:                             ;   in Loop: Header=BB6_6801 Depth=2
	v_dual_lshrrev_b32 v3, 3, v5 :: v_dual_bitop2_b32 v52, 7, v2 bitop3:0x40
	s_mov_b32 s42, exec_lo
	s_delay_alu instid0(VALU_DEP_1)
	v_mov_b64_e32 v[10:11], v[52:53]
	v_cmpx_gt_u32_e32 8, v5
; %bb.7799:                             ;   in Loop: Header=BB6_6801 Depth=2
	v_clz_i32_u32_e32 v3, v52
	s_delay_alu instid0(VALU_DEP_1) | instskip(NEXT) | instid1(VALU_DEP_1)
	v_min_u32_e32 v3, 32, v3
	v_subrev_nc_u32_e32 v5, 28, v3
	s_delay_alu instid0(VALU_DEP_1) | instskip(NEXT) | instid1(VALU_DEP_1)
	v_lshlrev_b64_e32 v[6:7], v5, v[52:53]
	v_dual_sub_nc_u32 v3, 29, v3 :: v_dual_bitop2_b32 v10, 7, v6 bitop3:0x40
; %bb.7800:                             ;   in Loop: Header=BB6_6801 Depth=2
	s_or_b32 exec_lo, exec_lo, s42
	v_lshlrev_b32_e32 v2, 24, v2
	s_delay_alu instid0(VALU_DEP_2) | instskip(NEXT) | instid1(VALU_DEP_3)
	v_lshlrev_b32_e32 v5, 20, v10
	v_lshl_add_u32 v3, v3, 23, 0x3c000000
	s_delay_alu instid0(VALU_DEP_3) | instskip(NEXT) | instid1(VALU_DEP_1)
	v_and_b32_e32 v2, 0x80000000, v2
	v_or3_b32 v3, v5, v2, v3
.LBB6_7801:                             ;   in Loop: Header=BB6_6801 Depth=2
	s_or_b32 exec_lo, exec_lo, s41
.LBB6_7802:                             ;   in Loop: Header=BB6_6801 Depth=2
	s_delay_alu instid0(SALU_CYCLE_1)
	s_or_b32 exec_lo, exec_lo, s40
.LBB6_7803:                             ;   in Loop: Header=BB6_6801 Depth=2
	s_delay_alu instid0(SALU_CYCLE_1) | instskip(NEXT) | instid1(VALU_DEP_1)
	s_or_b32 exec_lo, exec_lo, s7
	v_mul_f32_e32 v3, s29, v3
                                        ; implicit-def: $vgpr90
	s_mov_b32 s7, exec_lo
	s_delay_alu instid0(VALU_DEP_1) | instskip(SKIP_1) | instid1(VALU_DEP_2)
	v_and_b32_e32 v52, 0x7f800000, v3
	v_lshrrev_b32_e32 v2, 24, v3
	v_cmpx_ne_u64_e32 0x7f800000, v[52:53]
	s_xor_b32 s40, exec_lo, s7
	s_cbranch_execz .LBB6_7817
; %bb.7804:                             ;   in Loop: Header=BB6_6801 Depth=2
	v_and_b32_e32 v52, 0x7fffffff, v3
	v_and_b32_e32 v2, 0x80, v2
                                        ; implicit-def: $vgpr90
	s_mov_b32 s7, exec_lo
	s_delay_alu instid0(VALU_DEP_2)
	v_cmpx_gt_u64_e32 0x43e00001, v[52:53]
	s_xor_b32 s41, exec_lo, s7
	s_cbranch_execz .LBB6_7814
; %bb.7805:                             ;   in Loop: Header=BB6_6801 Depth=2
	v_mov_b32_e32 v90, 0
	s_mov_b32 s42, exec_lo
	v_cmpx_ne_u32_e32 0, v3
	s_cbranch_execz .LBB6_7813
; %bb.7806:                             ;   in Loop: Header=BB6_6801 Depth=2
	v_bfe_u32 v5, v3, 23, 8
	v_and_b32_e32 v3, 0x7fffff, v3
	s_delay_alu instid0(VALU_DEP_2) | instskip(SKIP_1) | instid1(VALU_DEP_3)
	v_sub_nc_u32_e32 v6, 0x79, v5
	v_cmp_gt_u32_e32 vcc_lo, 0x7a, v5
	v_or_b32_e32 v10, 0x800000, v3
	s_delay_alu instid0(VALU_DEP_3) | instskip(SKIP_1) | instid1(VALU_DEP_3)
	v_cndmask_b32_e32 v6, 0, v6, vcc_lo
	v_cmp_eq_u32_e32 vcc_lo, 0, v5
	v_cndmask_b32_e32 v52, v10, v3, vcc_lo
	s_delay_alu instid0(VALU_DEP_3) | instskip(NEXT) | instid1(VALU_DEP_1)
	v_cndmask_b32_e64 v6, v6, 0x78, vcc_lo
	v_add_nc_u32_e32 v7, 20, v6
	s_delay_alu instid0(VALU_DEP_3) | instskip(NEXT) | instid1(VALU_DEP_2)
	v_lshrrev_b64 v[10:11], v6, v[52:53]
	v_lshlrev_b64_e64 v[8:9], v7, -1
	v_add_nc_u32_e32 v7, 19, v6
	s_delay_alu instid0(VALU_DEP_1) | instskip(NEXT) | instid1(VALU_DEP_3)
	v_lshlrev_b64_e64 v[14:15], v7, 1
	v_bfi_b32 v9, v9, 0, 0
	s_delay_alu instid0(VALU_DEP_4) | instskip(NEXT) | instid1(VALU_DEP_1)
	v_bfi_b32 v8, v8, 0, v52
	v_cmp_eq_u64_e64 s7, v[8:9], v[14:15]
	v_mov_b64_e32 v[14:15], v[10:11]
	s_and_saveexec_b32 s43, s7
; %bb.7807:                             ;   in Loop: Header=BB6_6801 Depth=2
	v_bfe_u32 v52, v10, 20, 1
	s_delay_alu instid0(VALU_DEP_1) | instskip(NEXT) | instid1(VALU_DEP_1)
	v_add_nc_u64_e32 v[8:9], v[10:11], v[52:53]
	v_add_nc_u64_e32 v[14:15], -1, v[8:9]
; %bb.7808:                             ;   in Loop: Header=BB6_6801 Depth=2
	s_or_b32 exec_lo, exec_lo, s43
	v_add_nc_u32_e32 v3, 0xffffff81, v5
	v_lshrrev_b32_e32 v5, 23, v10
	s_mov_b32 s7, exec_lo
	s_delay_alu instid0(VALU_DEP_2) | instskip(NEXT) | instid1(VALU_DEP_1)
	v_cndmask_b32_e64 v3, v3, 0xffffff82, vcc_lo
	v_add3_u32 v5, v6, v3, v5
	v_and_b32_e32 v3, 0xfffff, v14
	s_delay_alu instid0(VALU_DEP_1) | instskip(NEXT) | instid1(VALU_DEP_1)
	v_dual_add_nc_u32 v6, 6, v5 :: v_dual_add_nc_u32 v52, v3, v10
                                        ; implicit-def: $vgpr10_vgpr11
                                        ; implicit-def: $vgpr3
	v_cmpx_ne_u32_e32 0, v6
	s_xor_b32 s7, exec_lo, s7
; %bb.7809:                             ;   in Loop: Header=BB6_6801 Depth=2
	s_delay_alu instid0(VALU_DEP_2) | instskip(SKIP_2) | instid1(VALU_DEP_2)
	v_cmp_lt_u64_e32 vcc_lo, 0xffffff, v[52:53]
	v_add_nc_u32_e32 v3, 7, v5
	v_cndmask_b32_e64 v5, 0, 1, vcc_lo
	v_cndmask_b32_e32 v3, v6, v3, vcc_lo
	s_delay_alu instid0(VALU_DEP_2)
	v_lshrrev_b64 v[10:11], v5, v[52:53]
; %bb.7810:                             ;   in Loop: Header=BB6_6801 Depth=2
	s_and_not1_saveexec_b32 s7, s7
; %bb.7811:                             ;   in Loop: Header=BB6_6801 Depth=2
	v_mov_b64_e32 v[10:11], v[52:53]
	v_bfe_u32 v3, v52, 23, 1
; %bb.7812:                             ;   in Loop: Header=BB6_6801 Depth=2
	s_or_b32 exec_lo, exec_lo, s7
	s_delay_alu instid0(VALU_DEP_2) | instskip(NEXT) | instid1(VALU_DEP_2)
	v_lshrrev_b64 v[6:7], 20, v[10:11]
	v_cmp_gt_i32_e32 vcc_lo, 16, v3
	v_min_i32_e32 v5, 15, v3
	v_cmp_eq_u32_e64 s7, 0, v3
	s_delay_alu instid0(VALU_DEP_2) | instskip(SKIP_1) | instid1(VALU_DEP_2)
	v_dual_cndmask_b32 v6, 7, v6 :: v_dual_lshlrev_b32 v5, 3, v5
	v_cndmask_b32_e32 v7, 0, v7, vcc_lo
	v_and_b32_e32 v5, 0xf8, v5
	s_delay_alu instid0(VALU_DEP_2) | instskip(NEXT) | instid1(VALU_DEP_2)
	v_cmp_eq_u64_e32 vcc_lo, 0, v[6:7]
	v_and_or_b32 v3, v6, 7, v5
	s_and_b32 s7, s7, vcc_lo
	s_delay_alu instid0(VALU_DEP_1) | instid1(SALU_CYCLE_1)
	v_cndmask_b32_e64 v3, v3, 0, s7
	s_delay_alu instid0(VALU_DEP_1)
	v_or_b32_e32 v90, v3, v2
.LBB6_7813:                             ;   in Loop: Header=BB6_6801 Depth=2
	s_or_b32 exec_lo, exec_lo, s42
                                        ; implicit-def: $vgpr2
.LBB6_7814:                             ;   in Loop: Header=BB6_6801 Depth=2
	s_and_not1_saveexec_b32 s7, s41
; %bb.7815:                             ;   in Loop: Header=BB6_6801 Depth=2
	v_or_b32_e32 v90, 0x7e, v2
; %bb.7816:                             ;   in Loop: Header=BB6_6801 Depth=2
	s_or_b32 exec_lo, exec_lo, s7
                                        ; implicit-def: $vgpr2
.LBB6_7817:                             ;   in Loop: Header=BB6_6801 Depth=2
	s_and_not1_saveexec_b32 s7, s40
; %bb.7818:                             ;   in Loop: Header=BB6_6801 Depth=2
	v_or_b32_e32 v90, 0x7f, v2
; %bb.7819:                             ;   in Loop: Header=BB6_6801 Depth=2
	s_or_b32 exec_lo, exec_lo, s7
	v_mov_b32_e32 v3, 0
	s_mov_b32 s7, exec_lo
	v_cmpx_lt_u32_e32 0xffffff, v12
	s_cbranch_execz .LBB6_7827
; %bb.7820:                             ;   in Loop: Header=BB6_6801 Depth=2
	v_lshrrev_b32_e32 v2, 24, v12
	v_bfrev_b32_e32 v3, 1
	s_mov_b32 s40, exec_lo
	s_delay_alu instid0(VALU_DEP_2)
	v_cmpx_ne_u32_e32 0x80, v2
	s_cbranch_execz .LBB6_7826
; %bb.7821:                             ;   in Loop: Header=BB6_6801 Depth=2
	v_bfe_u32 v5, v12, 24, 7
	v_mov_b32_e32 v3, 0x7f800001
	s_mov_b32 s41, exec_lo
	s_delay_alu instid0(VALU_DEP_2)
	v_cmpx_ne_u32_e32 0x7f, v5
	s_cbranch_execz .LBB6_7825
; %bb.7822:                             ;   in Loop: Header=BB6_6801 Depth=2
	v_dual_lshrrev_b32 v3, 3, v5 :: v_dual_bitop2_b32 v52, 7, v2 bitop3:0x40
	s_mov_b32 s42, exec_lo
	s_delay_alu instid0(VALU_DEP_1)
	v_mov_b64_e32 v[10:11], v[52:53]
	v_cmpx_gt_u32_e32 8, v5
; %bb.7823:                             ;   in Loop: Header=BB6_6801 Depth=2
	v_clz_i32_u32_e32 v3, v52
	s_delay_alu instid0(VALU_DEP_1) | instskip(NEXT) | instid1(VALU_DEP_1)
	v_min_u32_e32 v3, 32, v3
	v_subrev_nc_u32_e32 v5, 28, v3
	s_delay_alu instid0(VALU_DEP_1) | instskip(NEXT) | instid1(VALU_DEP_1)
	v_lshlrev_b64_e32 v[6:7], v5, v[52:53]
	v_dual_sub_nc_u32 v3, 29, v3 :: v_dual_bitop2_b32 v10, 7, v6 bitop3:0x40
; %bb.7824:                             ;   in Loop: Header=BB6_6801 Depth=2
	s_or_b32 exec_lo, exec_lo, s42
	v_lshlrev_b32_e32 v2, 24, v2
	s_delay_alu instid0(VALU_DEP_2) | instskip(NEXT) | instid1(VALU_DEP_3)
	v_lshlrev_b32_e32 v5, 20, v10
	v_lshl_add_u32 v3, v3, 23, 0x3c000000
	s_delay_alu instid0(VALU_DEP_3) | instskip(NEXT) | instid1(VALU_DEP_1)
	v_and_b32_e32 v2, 0x80000000, v2
	v_or3_b32 v3, v5, v2, v3
.LBB6_7825:                             ;   in Loop: Header=BB6_6801 Depth=2
	s_or_b32 exec_lo, exec_lo, s41
.LBB6_7826:                             ;   in Loop: Header=BB6_6801 Depth=2
	s_delay_alu instid0(SALU_CYCLE_1)
	s_or_b32 exec_lo, exec_lo, s40
.LBB6_7827:                             ;   in Loop: Header=BB6_6801 Depth=2
	s_delay_alu instid0(SALU_CYCLE_1) | instskip(NEXT) | instid1(VALU_DEP_1)
	s_or_b32 exec_lo, exec_lo, s7
	v_mul_f32_e32 v3, s29, v3
                                        ; implicit-def: $vgpr93
	s_mov_b32 s7, exec_lo
	s_delay_alu instid0(VALU_DEP_1) | instskip(SKIP_1) | instid1(VALU_DEP_2)
	v_and_b32_e32 v52, 0x7f800000, v3
	v_lshrrev_b32_e32 v2, 24, v3
	v_cmpx_ne_u64_e32 0x7f800000, v[52:53]
	s_xor_b32 s40, exec_lo, s7
	s_cbranch_execz .LBB6_7841
; %bb.7828:                             ;   in Loop: Header=BB6_6801 Depth=2
	v_and_b32_e32 v52, 0x7fffffff, v3
	v_and_b32_e32 v2, 0x80, v2
                                        ; implicit-def: $vgpr93
	s_mov_b32 s7, exec_lo
	s_delay_alu instid0(VALU_DEP_2)
	v_cmpx_gt_u64_e32 0x43e00001, v[52:53]
	s_xor_b32 s41, exec_lo, s7
	s_cbranch_execz .LBB6_7838
; %bb.7829:                             ;   in Loop: Header=BB6_6801 Depth=2
	v_mov_b32_e32 v93, 0
	s_mov_b32 s42, exec_lo
	v_cmpx_ne_u32_e32 0, v3
	s_cbranch_execz .LBB6_7837
; %bb.7830:                             ;   in Loop: Header=BB6_6801 Depth=2
	v_bfe_u32 v5, v3, 23, 8
	v_and_b32_e32 v3, 0x7fffff, v3
	s_delay_alu instid0(VALU_DEP_2) | instskip(SKIP_1) | instid1(VALU_DEP_3)
	v_sub_nc_u32_e32 v6, 0x79, v5
	v_cmp_gt_u32_e32 vcc_lo, 0x7a, v5
	v_or_b32_e32 v10, 0x800000, v3
	s_delay_alu instid0(VALU_DEP_3) | instskip(SKIP_1) | instid1(VALU_DEP_3)
	v_cndmask_b32_e32 v6, 0, v6, vcc_lo
	v_cmp_eq_u32_e32 vcc_lo, 0, v5
	v_cndmask_b32_e32 v52, v10, v3, vcc_lo
	s_delay_alu instid0(VALU_DEP_3) | instskip(NEXT) | instid1(VALU_DEP_1)
	v_cndmask_b32_e64 v6, v6, 0x78, vcc_lo
	v_add_nc_u32_e32 v7, 20, v6
	s_delay_alu instid0(VALU_DEP_3) | instskip(NEXT) | instid1(VALU_DEP_2)
	v_lshrrev_b64 v[10:11], v6, v[52:53]
	v_lshlrev_b64_e64 v[8:9], v7, -1
	v_add_nc_u32_e32 v7, 19, v6
	s_delay_alu instid0(VALU_DEP_1) | instskip(NEXT) | instid1(VALU_DEP_3)
	v_lshlrev_b64_e64 v[14:15], v7, 1
	v_bfi_b32 v9, v9, 0, 0
	s_delay_alu instid0(VALU_DEP_4) | instskip(NEXT) | instid1(VALU_DEP_1)
	v_bfi_b32 v8, v8, 0, v52
	v_cmp_eq_u64_e64 s7, v[8:9], v[14:15]
	v_mov_b64_e32 v[14:15], v[10:11]
	s_and_saveexec_b32 s43, s7
; %bb.7831:                             ;   in Loop: Header=BB6_6801 Depth=2
	v_bfe_u32 v52, v10, 20, 1
	s_delay_alu instid0(VALU_DEP_1) | instskip(NEXT) | instid1(VALU_DEP_1)
	v_add_nc_u64_e32 v[8:9], v[10:11], v[52:53]
	v_add_nc_u64_e32 v[14:15], -1, v[8:9]
; %bb.7832:                             ;   in Loop: Header=BB6_6801 Depth=2
	s_or_b32 exec_lo, exec_lo, s43
	v_add_nc_u32_e32 v3, 0xffffff81, v5
	v_lshrrev_b32_e32 v5, 23, v10
	s_mov_b32 s7, exec_lo
	s_delay_alu instid0(VALU_DEP_2) | instskip(NEXT) | instid1(VALU_DEP_1)
	v_cndmask_b32_e64 v3, v3, 0xffffff82, vcc_lo
	v_add3_u32 v5, v6, v3, v5
	v_and_b32_e32 v3, 0xfffff, v14
	s_delay_alu instid0(VALU_DEP_1) | instskip(NEXT) | instid1(VALU_DEP_1)
	v_dual_add_nc_u32 v6, 6, v5 :: v_dual_add_nc_u32 v52, v3, v10
                                        ; implicit-def: $vgpr10_vgpr11
                                        ; implicit-def: $vgpr3
	v_cmpx_ne_u32_e32 0, v6
	s_xor_b32 s7, exec_lo, s7
; %bb.7833:                             ;   in Loop: Header=BB6_6801 Depth=2
	s_delay_alu instid0(VALU_DEP_2) | instskip(SKIP_2) | instid1(VALU_DEP_2)
	v_cmp_lt_u64_e32 vcc_lo, 0xffffff, v[52:53]
	v_add_nc_u32_e32 v3, 7, v5
	v_cndmask_b32_e64 v5, 0, 1, vcc_lo
	v_cndmask_b32_e32 v3, v6, v3, vcc_lo
	s_delay_alu instid0(VALU_DEP_2)
	v_lshrrev_b64 v[10:11], v5, v[52:53]
; %bb.7834:                             ;   in Loop: Header=BB6_6801 Depth=2
	s_and_not1_saveexec_b32 s7, s7
; %bb.7835:                             ;   in Loop: Header=BB6_6801 Depth=2
	v_mov_b64_e32 v[10:11], v[52:53]
	v_bfe_u32 v3, v52, 23, 1
; %bb.7836:                             ;   in Loop: Header=BB6_6801 Depth=2
	s_or_b32 exec_lo, exec_lo, s7
	s_delay_alu instid0(VALU_DEP_2) | instskip(NEXT) | instid1(VALU_DEP_2)
	v_lshrrev_b64 v[6:7], 20, v[10:11]
	v_cmp_gt_i32_e32 vcc_lo, 16, v3
	v_min_i32_e32 v5, 15, v3
	v_cmp_eq_u32_e64 s7, 0, v3
	s_delay_alu instid0(VALU_DEP_2) | instskip(SKIP_1) | instid1(VALU_DEP_2)
	v_dual_cndmask_b32 v6, 7, v6 :: v_dual_lshlrev_b32 v5, 3, v5
	v_cndmask_b32_e32 v7, 0, v7, vcc_lo
	v_and_b32_e32 v5, 0xf8, v5
	s_delay_alu instid0(VALU_DEP_2) | instskip(NEXT) | instid1(VALU_DEP_2)
	v_cmp_eq_u64_e32 vcc_lo, 0, v[6:7]
	v_and_or_b32 v3, v6, 7, v5
	s_and_b32 s7, s7, vcc_lo
	s_delay_alu instid0(VALU_DEP_1) | instid1(SALU_CYCLE_1)
	v_cndmask_b32_e64 v3, v3, 0, s7
	s_delay_alu instid0(VALU_DEP_1)
	v_or_b32_e32 v93, v3, v2
.LBB6_7837:                             ;   in Loop: Header=BB6_6801 Depth=2
	s_or_b32 exec_lo, exec_lo, s42
                                        ; implicit-def: $vgpr2
.LBB6_7838:                             ;   in Loop: Header=BB6_6801 Depth=2
	s_and_not1_saveexec_b32 s7, s41
; %bb.7839:                             ;   in Loop: Header=BB6_6801 Depth=2
	v_or_b32_e32 v93, 0x7e, v2
; %bb.7840:                             ;   in Loop: Header=BB6_6801 Depth=2
	s_or_b32 exec_lo, exec_lo, s7
                                        ; implicit-def: $vgpr2
.LBB6_7841:                             ;   in Loop: Header=BB6_6801 Depth=2
	s_and_not1_saveexec_b32 s7, s40
; %bb.7842:                             ;   in Loop: Header=BB6_6801 Depth=2
	v_or_b32_e32 v93, 0x7f, v2
; %bb.7843:                             ;   in Loop: Header=BB6_6801 Depth=2
	s_or_b32 exec_lo, exec_lo, s7
	v_and_b32_e32 v3, 0xff, v13
	v_dual_mov_b32 v52, v13 :: v_dual_mov_b32 v2, 0
	s_mov_b32 s7, exec_lo
	s_delay_alu instid0(VALU_DEP_2)
	v_cmpx_ne_u16_e32 0, v3
	s_cbranch_execz .LBB6_7849
; %bb.7844:                             ;   in Loop: Header=BB6_6801 Depth=2
	v_bfrev_b32_e32 v2, 1
	s_mov_b32 s40, exec_lo
	v_cmpx_ne_u16_e32 0x80, v3
	s_cbranch_execz .LBB6_7848
; %bb.7845:                             ;   in Loop: Header=BB6_6801 Depth=2
	v_and_b32_e32 v3, 0x7f, v13
	v_mov_b32_e32 v2, 0x7f800001
	s_mov_b32 s41, exec_lo
	s_delay_alu instid0(VALU_DEP_2)
	v_cmpx_ne_u32_e32 0x7f, v3
	s_cbranch_execz .LBB6_7847
; %bb.7846:                             ;   in Loop: Header=BB6_6801 Depth=2
	v_dual_lshrrev_b32 v5, 3, v3 :: v_dual_bitop2_b32 v2, 7, v13 bitop3:0x40
	v_cmp_gt_u32_e32 vcc_lo, 8, v3
	s_delay_alu instid0(VALU_DEP_2) | instskip(NEXT) | instid1(VALU_DEP_1)
	v_clz_i32_u32_e32 v2, v2
	v_min_u32_e32 v2, 32, v2
	s_delay_alu instid0(VALU_DEP_1) | instskip(SKIP_1) | instid1(VALU_DEP_1)
	v_subrev_nc_u32_e32 v6, 28, v2
	v_sub_nc_u32_e32 v2, 29, v2
	v_cndmask_b32_e32 v5, v5, v2, vcc_lo
	s_delay_alu instid0(VALU_DEP_3) | instskip(NEXT) | instid1(VALU_DEP_1)
	v_cndmask_b32_e32 v2, 0, v6, vcc_lo
	v_lshlrev_b64_e32 v[2:3], v2, v[52:53]
	v_lshlrev_b32_e32 v3, 24, v52
	s_delay_alu instid0(VALU_DEP_1) | instskip(NEXT) | instid1(VALU_DEP_3)
	v_and_b32_e32 v3, 0x80000000, v3
	v_lshlrev_b32_e32 v2, 20, v2
	v_lshl_add_u32 v5, v5, 23, 0x3c000000
	s_delay_alu instid0(VALU_DEP_2) | instskip(NEXT) | instid1(VALU_DEP_1)
	v_and_b32_e32 v2, 0x700000, v2
	v_or3_b32 v2, v2, v3, v5
.LBB6_7847:                             ;   in Loop: Header=BB6_6801 Depth=2
	s_or_b32 exec_lo, exec_lo, s41
.LBB6_7848:                             ;   in Loop: Header=BB6_6801 Depth=2
	s_delay_alu instid0(SALU_CYCLE_1)
	s_or_b32 exec_lo, exec_lo, s40
.LBB6_7849:                             ;   in Loop: Header=BB6_6801 Depth=2
	s_delay_alu instid0(SALU_CYCLE_1) | instskip(NEXT) | instid1(VALU_DEP_1)
	s_or_b32 exec_lo, exec_lo, s7
	v_dual_mul_f32 v3, s29, v2 :: v_dual_mov_b32 v7, v53
                                        ; implicit-def: $vgpr75
	s_mov_b32 s7, exec_lo
	s_delay_alu instid0(VALU_DEP_1) | instskip(SKIP_1) | instid1(VALU_DEP_2)
	v_and_b32_e32 v6, 0x7f800000, v3
	v_lshrrev_b32_e32 v2, 24, v3
	v_cmpx_ne_u64_e32 0x7f800000, v[6:7]
	s_xor_b32 s40, exec_lo, s7
	s_cbranch_execz .LBB6_7863
; %bb.7850:                             ;   in Loop: Header=BB6_6801 Depth=2
	v_and_b32_e32 v6, 0x7fffffff, v3
	v_mov_b32_e32 v7, v53
	v_and_b32_e32 v2, 0x80, v2
                                        ; implicit-def: $vgpr75
	s_mov_b32 s7, exec_lo
	s_delay_alu instid0(VALU_DEP_2)
	v_cmpx_gt_u64_e32 0x43e00001, v[6:7]
	s_xor_b32 s41, exec_lo, s7
	s_cbranch_execz .LBB6_7860
; %bb.7851:                             ;   in Loop: Header=BB6_6801 Depth=2
	v_mov_b32_e32 v75, 0
	s_mov_b32 s42, exec_lo
	v_cmpx_ne_u32_e32 0, v3
	s_cbranch_execz .LBB6_7859
; %bb.7852:                             ;   in Loop: Header=BB6_6801 Depth=2
	v_bfe_u32 v5, v3, 23, 8
	v_and_b32_e32 v3, 0x7fffff, v3
	s_delay_alu instid0(VALU_DEP_2) | instskip(SKIP_1) | instid1(VALU_DEP_3)
	v_dual_mov_b32 v11, v53 :: v_dual_sub_nc_u32 v6, 0x79, v5
	v_cmp_gt_u32_e32 vcc_lo, 0x7a, v5
	v_or_b32_e32 v10, 0x800000, v3
	s_delay_alu instid0(VALU_DEP_3) | instskip(SKIP_1) | instid1(VALU_DEP_3)
	v_cndmask_b32_e32 v6, 0, v6, vcc_lo
	v_cmp_eq_u32_e32 vcc_lo, 0, v5
	v_cndmask_b32_e32 v10, v10, v3, vcc_lo
	s_delay_alu instid0(VALU_DEP_3) | instskip(NEXT) | instid1(VALU_DEP_1)
	v_cndmask_b32_e64 v6, v6, 0x78, vcc_lo
	v_add_nc_u32_e32 v7, 20, v6
	s_delay_alu instid0(VALU_DEP_1) | instskip(SKIP_1) | instid1(VALU_DEP_1)
	v_lshlrev_b64_e64 v[8:9], v7, -1
	v_add_nc_u32_e32 v7, 19, v6
	v_lshlrev_b64_e64 v[14:15], v7, 1
	s_delay_alu instid0(VALU_DEP_3) | instskip(SKIP_2) | instid1(VALU_DEP_1)
	v_bfi_b32 v8, v8, 0, v10
	v_lshrrev_b64 v[10:11], v6, v[10:11]
	v_bfi_b32 v9, v9, 0, 0
	v_cmp_eq_u64_e64 s7, v[8:9], v[14:15]
	s_delay_alu instid0(VALU_DEP_3)
	v_mov_b64_e32 v[14:15], v[10:11]
	s_and_saveexec_b32 s43, s7
; %bb.7853:                             ;   in Loop: Header=BB6_6801 Depth=2
	v_bfe_u32 v8, v10, 20, 1
	v_mov_b32_e32 v9, v53
	s_delay_alu instid0(VALU_DEP_1) | instskip(NEXT) | instid1(VALU_DEP_1)
	v_add_nc_u64_e32 v[8:9], v[10:11], v[8:9]
	v_add_nc_u64_e32 v[14:15], -1, v[8:9]
; %bb.7854:                             ;   in Loop: Header=BB6_6801 Depth=2
	s_or_b32 exec_lo, exec_lo, s43
	v_add_nc_u32_e32 v3, 0xffffff81, v5
	v_lshrrev_b32_e32 v5, 23, v10
	s_mov_b32 s7, exec_lo
	v_mov_b32_e32 v11, v53
	s_delay_alu instid0(VALU_DEP_3) | instskip(NEXT) | instid1(VALU_DEP_1)
	v_cndmask_b32_e64 v3, v3, 0xffffff82, vcc_lo
	v_add3_u32 v5, v6, v3, v5
	v_and_b32_e32 v3, 0xfffff, v14
	s_delay_alu instid0(VALU_DEP_1) | instskip(NEXT) | instid1(VALU_DEP_1)
	v_dual_add_nc_u32 v6, 6, v5 :: v_dual_add_nc_u32 v10, v3, v10
                                        ; implicit-def: $vgpr3
	v_cmpx_ne_u32_e32 0, v6
	s_xor_b32 s7, exec_lo, s7
; %bb.7855:                             ;   in Loop: Header=BB6_6801 Depth=2
	s_delay_alu instid0(VALU_DEP_2) | instskip(SKIP_2) | instid1(VALU_DEP_2)
	v_cmp_lt_u64_e32 vcc_lo, 0xffffff, v[10:11]
	v_add_nc_u32_e32 v3, 7, v5
	v_cndmask_b32_e64 v5, 0, 1, vcc_lo
	v_cndmask_b32_e32 v3, v6, v3, vcc_lo
	s_delay_alu instid0(VALU_DEP_2)
	v_lshrrev_b64 v[10:11], v5, v[10:11]
; %bb.7856:                             ;   in Loop: Header=BB6_6801 Depth=2
	s_and_not1_saveexec_b32 s7, s7
; %bb.7857:                             ;   in Loop: Header=BB6_6801 Depth=2
	s_delay_alu instid0(VALU_DEP_1)
	v_bfe_u32 v3, v10, 23, 1
; %bb.7858:                             ;   in Loop: Header=BB6_6801 Depth=2
	s_or_b32 exec_lo, exec_lo, s7
	s_delay_alu instid0(VALU_DEP_2) | instskip(NEXT) | instid1(VALU_DEP_2)
	v_lshrrev_b64 v[6:7], 20, v[10:11]
	v_cmp_gt_i32_e32 vcc_lo, 16, v3
	v_min_i32_e32 v5, 15, v3
	v_cmp_eq_u32_e64 s7, 0, v3
	s_delay_alu instid0(VALU_DEP_2) | instskip(SKIP_1) | instid1(VALU_DEP_2)
	v_dual_cndmask_b32 v6, 7, v6 :: v_dual_lshlrev_b32 v5, 3, v5
	v_cndmask_b32_e32 v7, 0, v7, vcc_lo
	v_and_b32_e32 v5, 0xf8, v5
	s_delay_alu instid0(VALU_DEP_2) | instskip(NEXT) | instid1(VALU_DEP_2)
	v_cmp_eq_u64_e32 vcc_lo, 0, v[6:7]
	v_and_or_b32 v3, v6, 7, v5
	s_and_b32 s7, s7, vcc_lo
	s_delay_alu instid0(VALU_DEP_1) | instid1(SALU_CYCLE_1)
	v_cndmask_b32_e64 v3, v3, 0, s7
	s_delay_alu instid0(VALU_DEP_1)
	v_or_b32_e32 v75, v3, v2
.LBB6_7859:                             ;   in Loop: Header=BB6_6801 Depth=2
	s_or_b32 exec_lo, exec_lo, s42
                                        ; implicit-def: $vgpr2
.LBB6_7860:                             ;   in Loop: Header=BB6_6801 Depth=2
	s_and_not1_saveexec_b32 s7, s41
; %bb.7861:                             ;   in Loop: Header=BB6_6801 Depth=2
	v_or_b32_e32 v75, 0x7e, v2
; %bb.7862:                             ;   in Loop: Header=BB6_6801 Depth=2
	s_or_b32 exec_lo, exec_lo, s7
                                        ; implicit-def: $vgpr2
.LBB6_7863:                             ;   in Loop: Header=BB6_6801 Depth=2
	s_and_not1_saveexec_b32 s7, s40
; %bb.7864:                             ;   in Loop: Header=BB6_6801 Depth=2
	v_or_b32_e32 v75, 0x7f, v2
; %bb.7865:                             ;   in Loop: Header=BB6_6801 Depth=2
	s_or_b32 exec_lo, exec_lo, s7
	v_lshrrev_b16 v3, 8, v52
	v_mov_b32_e32 v2, 0
	s_mov_b32 s7, exec_lo
	s_delay_alu instid0(VALU_DEP_2)
	v_cmpx_ne_u16_e32 0, v3
	s_cbranch_execz .LBB6_7873
; %bb.7866:                             ;   in Loop: Header=BB6_6801 Depth=2
	v_bfrev_b32_e32 v2, 1
	s_mov_b32 s40, exec_lo
	v_cmpx_ne_u16_e32 0x80, v3
	s_cbranch_execz .LBB6_7872
; %bb.7867:                             ;   in Loop: Header=BB6_6801 Depth=2
	v_and_b32_e32 v5, 0xffff, v3
	v_mov_b32_e32 v2, 0x7f800001
	s_mov_b32 s41, exec_lo
	s_delay_alu instid0(VALU_DEP_2) | instskip(NEXT) | instid1(VALU_DEP_1)
	v_and_b32_e32 v3, 0x7f, v5
	v_cmpx_ne_u32_e32 0x7f, v3
	s_cbranch_execz .LBB6_7871
; %bb.7868:                             ;   in Loop: Header=BB6_6801 Depth=2
	v_dual_mov_b32 v11, v53 :: v_dual_bitop2_b32 v10, 7, v5 bitop3:0x40
	v_lshrrev_b32_e32 v2, 3, v3
	s_mov_b32 s42, exec_lo
	v_cmpx_gt_u32_e32 8, v3
; %bb.7869:                             ;   in Loop: Header=BB6_6801 Depth=2
	s_delay_alu instid0(VALU_DEP_3) | instskip(NEXT) | instid1(VALU_DEP_1)
	v_clz_i32_u32_e32 v2, v10
	v_min_u32_e32 v2, 32, v2
	s_delay_alu instid0(VALU_DEP_1) | instskip(SKIP_1) | instid1(VALU_DEP_2)
	v_subrev_nc_u32_e32 v3, 28, v2
	v_sub_nc_u32_e32 v2, 29, v2
	v_lshlrev_b64_e32 v[6:7], v3, v[10:11]
	s_delay_alu instid0(VALU_DEP_1)
	v_and_b32_e32 v10, 7, v6
; %bb.7870:                             ;   in Loop: Header=BB6_6801 Depth=2
	s_or_b32 exec_lo, exec_lo, s42
	s_delay_alu instid0(VALU_DEP_1) | instskip(SKIP_1) | instid1(VALU_DEP_2)
	v_dual_lshlrev_b32 v3, 16, v52 :: v_dual_lshlrev_b32 v5, 20, v10
	v_lshl_add_u32 v2, v2, 23, 0x3c000000
	v_and_b32_e32 v3, 0x80000000, v3
	s_delay_alu instid0(VALU_DEP_1)
	v_or3_b32 v2, v5, v3, v2
.LBB6_7871:                             ;   in Loop: Header=BB6_6801 Depth=2
	s_or_b32 exec_lo, exec_lo, s41
.LBB6_7872:                             ;   in Loop: Header=BB6_6801 Depth=2
	s_delay_alu instid0(SALU_CYCLE_1)
	s_or_b32 exec_lo, exec_lo, s40
.LBB6_7873:                             ;   in Loop: Header=BB6_6801 Depth=2
	s_delay_alu instid0(SALU_CYCLE_1) | instskip(NEXT) | instid1(VALU_DEP_1)
	s_or_b32 exec_lo, exec_lo, s7
	v_mul_f32_e32 v3, s29, v2
                                        ; implicit-def: $vgpr28
	s_mov_b32 s7, exec_lo
	s_delay_alu instid0(VALU_DEP_1) | instskip(SKIP_1) | instid1(VALU_DEP_2)
	v_and_b32_e32 v52, 0x7f800000, v3
	v_lshrrev_b32_e32 v2, 24, v3
	v_cmpx_ne_u64_e32 0x7f800000, v[52:53]
	s_xor_b32 s40, exec_lo, s7
	s_cbranch_execz .LBB6_7887
; %bb.7874:                             ;   in Loop: Header=BB6_6801 Depth=2
	v_and_b32_e32 v52, 0x7fffffff, v3
	v_and_b32_e32 v2, 0x80, v2
                                        ; implicit-def: $vgpr28
	s_mov_b32 s7, exec_lo
	s_delay_alu instid0(VALU_DEP_2)
	v_cmpx_gt_u64_e32 0x43e00001, v[52:53]
	s_xor_b32 s41, exec_lo, s7
	s_cbranch_execz .LBB6_7884
; %bb.7875:                             ;   in Loop: Header=BB6_6801 Depth=2
	v_mov_b32_e32 v28, 0
	s_mov_b32 s42, exec_lo
	v_cmpx_ne_u32_e32 0, v3
	s_cbranch_execz .LBB6_7883
; %bb.7876:                             ;   in Loop: Header=BB6_6801 Depth=2
	v_bfe_u32 v5, v3, 23, 8
	v_and_b32_e32 v3, 0x7fffff, v3
	s_delay_alu instid0(VALU_DEP_2) | instskip(SKIP_1) | instid1(VALU_DEP_3)
	v_sub_nc_u32_e32 v6, 0x79, v5
	v_cmp_gt_u32_e32 vcc_lo, 0x7a, v5
	v_or_b32_e32 v10, 0x800000, v3
	s_delay_alu instid0(VALU_DEP_3) | instskip(SKIP_1) | instid1(VALU_DEP_3)
	v_cndmask_b32_e32 v6, 0, v6, vcc_lo
	v_cmp_eq_u32_e32 vcc_lo, 0, v5
	v_cndmask_b32_e32 v52, v10, v3, vcc_lo
	s_delay_alu instid0(VALU_DEP_3) | instskip(NEXT) | instid1(VALU_DEP_1)
	v_cndmask_b32_e64 v6, v6, 0x78, vcc_lo
	v_add_nc_u32_e32 v7, 20, v6
	s_delay_alu instid0(VALU_DEP_3) | instskip(NEXT) | instid1(VALU_DEP_2)
	v_lshrrev_b64 v[10:11], v6, v[52:53]
	v_lshlrev_b64_e64 v[8:9], v7, -1
	v_add_nc_u32_e32 v7, 19, v6
	s_delay_alu instid0(VALU_DEP_1) | instskip(NEXT) | instid1(VALU_DEP_3)
	v_lshlrev_b64_e64 v[14:15], v7, 1
	v_bfi_b32 v9, v9, 0, 0
	s_delay_alu instid0(VALU_DEP_4) | instskip(NEXT) | instid1(VALU_DEP_1)
	v_bfi_b32 v8, v8, 0, v52
	v_cmp_eq_u64_e64 s7, v[8:9], v[14:15]
	v_mov_b64_e32 v[14:15], v[10:11]
	s_and_saveexec_b32 s43, s7
; %bb.7877:                             ;   in Loop: Header=BB6_6801 Depth=2
	v_bfe_u32 v52, v10, 20, 1
	s_delay_alu instid0(VALU_DEP_1) | instskip(NEXT) | instid1(VALU_DEP_1)
	v_add_nc_u64_e32 v[8:9], v[10:11], v[52:53]
	v_add_nc_u64_e32 v[14:15], -1, v[8:9]
; %bb.7878:                             ;   in Loop: Header=BB6_6801 Depth=2
	s_or_b32 exec_lo, exec_lo, s43
	v_add_nc_u32_e32 v3, 0xffffff81, v5
	v_lshrrev_b32_e32 v5, 23, v10
	s_mov_b32 s7, exec_lo
	s_delay_alu instid0(VALU_DEP_2) | instskip(NEXT) | instid1(VALU_DEP_1)
	v_cndmask_b32_e64 v3, v3, 0xffffff82, vcc_lo
	v_add3_u32 v5, v6, v3, v5
	v_and_b32_e32 v3, 0xfffff, v14
	s_delay_alu instid0(VALU_DEP_1) | instskip(NEXT) | instid1(VALU_DEP_1)
	v_dual_add_nc_u32 v6, 6, v5 :: v_dual_add_nc_u32 v52, v3, v10
                                        ; implicit-def: $vgpr10_vgpr11
                                        ; implicit-def: $vgpr3
	v_cmpx_ne_u32_e32 0, v6
	s_xor_b32 s7, exec_lo, s7
; %bb.7879:                             ;   in Loop: Header=BB6_6801 Depth=2
	s_delay_alu instid0(VALU_DEP_2) | instskip(SKIP_2) | instid1(VALU_DEP_2)
	v_cmp_lt_u64_e32 vcc_lo, 0xffffff, v[52:53]
	v_add_nc_u32_e32 v3, 7, v5
	v_cndmask_b32_e64 v5, 0, 1, vcc_lo
	v_cndmask_b32_e32 v3, v6, v3, vcc_lo
	s_delay_alu instid0(VALU_DEP_2)
	v_lshrrev_b64 v[10:11], v5, v[52:53]
; %bb.7880:                             ;   in Loop: Header=BB6_6801 Depth=2
	s_and_not1_saveexec_b32 s7, s7
; %bb.7881:                             ;   in Loop: Header=BB6_6801 Depth=2
	v_mov_b64_e32 v[10:11], v[52:53]
	v_bfe_u32 v3, v52, 23, 1
; %bb.7882:                             ;   in Loop: Header=BB6_6801 Depth=2
	s_or_b32 exec_lo, exec_lo, s7
	s_delay_alu instid0(VALU_DEP_2) | instskip(NEXT) | instid1(VALU_DEP_2)
	v_lshrrev_b64 v[6:7], 20, v[10:11]
	v_cmp_gt_i32_e32 vcc_lo, 16, v3
	v_min_i32_e32 v5, 15, v3
	v_cmp_eq_u32_e64 s7, 0, v3
	s_delay_alu instid0(VALU_DEP_2) | instskip(SKIP_1) | instid1(VALU_DEP_2)
	v_dual_cndmask_b32 v6, 7, v6 :: v_dual_lshlrev_b32 v5, 3, v5
	v_cndmask_b32_e32 v7, 0, v7, vcc_lo
	v_and_b32_e32 v5, 0xf8, v5
	s_delay_alu instid0(VALU_DEP_2) | instskip(NEXT) | instid1(VALU_DEP_2)
	v_cmp_eq_u64_e32 vcc_lo, 0, v[6:7]
	v_and_or_b32 v3, v6, 7, v5
	s_and_b32 s7, s7, vcc_lo
	s_delay_alu instid0(VALU_DEP_1) | instid1(SALU_CYCLE_1)
	v_cndmask_b32_e64 v3, v3, 0, s7
	s_delay_alu instid0(VALU_DEP_1)
	v_or_b32_e32 v28, v3, v2
.LBB6_7883:                             ;   in Loop: Header=BB6_6801 Depth=2
	s_or_b32 exec_lo, exec_lo, s42
                                        ; implicit-def: $vgpr2
.LBB6_7884:                             ;   in Loop: Header=BB6_6801 Depth=2
	s_and_not1_saveexec_b32 s7, s41
; %bb.7885:                             ;   in Loop: Header=BB6_6801 Depth=2
	v_or_b32_e32 v28, 0x7e, v2
; %bb.7886:                             ;   in Loop: Header=BB6_6801 Depth=2
	s_or_b32 exec_lo, exec_lo, s7
                                        ; implicit-def: $vgpr2
.LBB6_7887:                             ;   in Loop: Header=BB6_6801 Depth=2
	s_and_not1_saveexec_b32 s7, s40
; %bb.7888:                             ;   in Loop: Header=BB6_6801 Depth=2
	v_or_b32_e32 v28, 0x7f, v2
; %bb.7889:                             ;   in Loop: Header=BB6_6801 Depth=2
	s_or_b32 exec_lo, exec_lo, s7
	v_dual_mov_b32 v3, 0 :: v_dual_lshrrev_b32 v2, 16, v13
	s_mov_b32 s7, exec_lo
	s_delay_alu instid0(VALU_DEP_1) | instskip(NEXT) | instid1(VALU_DEP_1)
	v_and_b32_e32 v5, 0xff, v2
	v_cmpx_ne_u16_e32 0, v5
	s_cbranch_execz .LBB6_7897
; %bb.7890:                             ;   in Loop: Header=BB6_6801 Depth=2
	v_bfrev_b32_e32 v3, 1
	s_mov_b32 s40, exec_lo
	v_cmpx_ne_u16_e32 0x80, v5
	s_cbranch_execz .LBB6_7896
; %bb.7891:                             ;   in Loop: Header=BB6_6801 Depth=2
	v_bfe_u32 v5, v13, 16, 7
	v_mov_b32_e32 v3, 0x7f800001
	s_mov_b32 s41, exec_lo
	s_delay_alu instid0(VALU_DEP_2)
	v_cmpx_ne_u32_e32 0x7f, v5
	s_cbranch_execz .LBB6_7895
; %bb.7892:                             ;   in Loop: Header=BB6_6801 Depth=2
	v_dual_lshrrev_b32 v3, 3, v5 :: v_dual_bitop2_b32 v52, 7, v2 bitop3:0x40
	s_mov_b32 s42, exec_lo
	s_delay_alu instid0(VALU_DEP_1)
	v_mov_b64_e32 v[10:11], v[52:53]
	v_cmpx_gt_u32_e32 8, v5
; %bb.7893:                             ;   in Loop: Header=BB6_6801 Depth=2
	v_clz_i32_u32_e32 v3, v52
	s_delay_alu instid0(VALU_DEP_1) | instskip(NEXT) | instid1(VALU_DEP_1)
	v_min_u32_e32 v3, 32, v3
	v_subrev_nc_u32_e32 v5, 28, v3
	s_delay_alu instid0(VALU_DEP_1) | instskip(NEXT) | instid1(VALU_DEP_1)
	v_lshlrev_b64_e32 v[6:7], v5, v[52:53]
	v_dual_sub_nc_u32 v3, 29, v3 :: v_dual_bitop2_b32 v10, 7, v6 bitop3:0x40
; %bb.7894:                             ;   in Loop: Header=BB6_6801 Depth=2
	s_or_b32 exec_lo, exec_lo, s42
	v_lshlrev_b32_e32 v2, 24, v2
	s_delay_alu instid0(VALU_DEP_2) | instskip(NEXT) | instid1(VALU_DEP_3)
	v_lshlrev_b32_e32 v5, 20, v10
	v_lshl_add_u32 v3, v3, 23, 0x3c000000
	s_delay_alu instid0(VALU_DEP_3) | instskip(NEXT) | instid1(VALU_DEP_1)
	v_and_b32_e32 v2, 0x80000000, v2
	v_or3_b32 v3, v5, v2, v3
.LBB6_7895:                             ;   in Loop: Header=BB6_6801 Depth=2
	s_or_b32 exec_lo, exec_lo, s41
.LBB6_7896:                             ;   in Loop: Header=BB6_6801 Depth=2
	s_delay_alu instid0(SALU_CYCLE_1)
	s_or_b32 exec_lo, exec_lo, s40
.LBB6_7897:                             ;   in Loop: Header=BB6_6801 Depth=2
	s_delay_alu instid0(SALU_CYCLE_1) | instskip(NEXT) | instid1(VALU_DEP_1)
	s_or_b32 exec_lo, exec_lo, s7
	v_mul_f32_e32 v3, s29, v3
                                        ; implicit-def: $vgpr79
	s_mov_b32 s7, exec_lo
	s_delay_alu instid0(VALU_DEP_1) | instskip(SKIP_1) | instid1(VALU_DEP_2)
	v_and_b32_e32 v52, 0x7f800000, v3
	v_lshrrev_b32_e32 v2, 24, v3
	v_cmpx_ne_u64_e32 0x7f800000, v[52:53]
	s_xor_b32 s40, exec_lo, s7
	s_cbranch_execz .LBB6_7911
; %bb.7898:                             ;   in Loop: Header=BB6_6801 Depth=2
	v_and_b32_e32 v52, 0x7fffffff, v3
	v_and_b32_e32 v2, 0x80, v2
                                        ; implicit-def: $vgpr79
	s_mov_b32 s7, exec_lo
	s_delay_alu instid0(VALU_DEP_2)
	v_cmpx_gt_u64_e32 0x43e00001, v[52:53]
	s_xor_b32 s41, exec_lo, s7
	s_cbranch_execz .LBB6_7908
; %bb.7899:                             ;   in Loop: Header=BB6_6801 Depth=2
	v_mov_b32_e32 v79, 0
	s_mov_b32 s42, exec_lo
	v_cmpx_ne_u32_e32 0, v3
	s_cbranch_execz .LBB6_7907
; %bb.7900:                             ;   in Loop: Header=BB6_6801 Depth=2
	v_bfe_u32 v5, v3, 23, 8
	v_and_b32_e32 v3, 0x7fffff, v3
	s_delay_alu instid0(VALU_DEP_2) | instskip(SKIP_1) | instid1(VALU_DEP_3)
	v_sub_nc_u32_e32 v6, 0x79, v5
	v_cmp_gt_u32_e32 vcc_lo, 0x7a, v5
	v_or_b32_e32 v10, 0x800000, v3
	s_delay_alu instid0(VALU_DEP_3) | instskip(SKIP_1) | instid1(VALU_DEP_3)
	v_cndmask_b32_e32 v6, 0, v6, vcc_lo
	v_cmp_eq_u32_e32 vcc_lo, 0, v5
	v_cndmask_b32_e32 v52, v10, v3, vcc_lo
	s_delay_alu instid0(VALU_DEP_3) | instskip(NEXT) | instid1(VALU_DEP_1)
	v_cndmask_b32_e64 v6, v6, 0x78, vcc_lo
	v_add_nc_u32_e32 v7, 20, v6
	s_delay_alu instid0(VALU_DEP_3) | instskip(NEXT) | instid1(VALU_DEP_2)
	v_lshrrev_b64 v[10:11], v6, v[52:53]
	v_lshlrev_b64_e64 v[8:9], v7, -1
	v_add_nc_u32_e32 v7, 19, v6
	s_delay_alu instid0(VALU_DEP_1) | instskip(NEXT) | instid1(VALU_DEP_3)
	v_lshlrev_b64_e64 v[14:15], v7, 1
	v_bfi_b32 v9, v9, 0, 0
	s_delay_alu instid0(VALU_DEP_4) | instskip(NEXT) | instid1(VALU_DEP_1)
	v_bfi_b32 v8, v8, 0, v52
	v_cmp_eq_u64_e64 s7, v[8:9], v[14:15]
	v_mov_b64_e32 v[14:15], v[10:11]
	s_and_saveexec_b32 s43, s7
; %bb.7901:                             ;   in Loop: Header=BB6_6801 Depth=2
	v_bfe_u32 v52, v10, 20, 1
	s_delay_alu instid0(VALU_DEP_1) | instskip(NEXT) | instid1(VALU_DEP_1)
	v_add_nc_u64_e32 v[8:9], v[10:11], v[52:53]
	v_add_nc_u64_e32 v[14:15], -1, v[8:9]
; %bb.7902:                             ;   in Loop: Header=BB6_6801 Depth=2
	s_or_b32 exec_lo, exec_lo, s43
	v_add_nc_u32_e32 v3, 0xffffff81, v5
	v_lshrrev_b32_e32 v5, 23, v10
	s_mov_b32 s7, exec_lo
	s_delay_alu instid0(VALU_DEP_2) | instskip(NEXT) | instid1(VALU_DEP_1)
	v_cndmask_b32_e64 v3, v3, 0xffffff82, vcc_lo
	v_add3_u32 v5, v6, v3, v5
	v_and_b32_e32 v3, 0xfffff, v14
	s_delay_alu instid0(VALU_DEP_1) | instskip(NEXT) | instid1(VALU_DEP_1)
	v_dual_add_nc_u32 v6, 6, v5 :: v_dual_add_nc_u32 v52, v3, v10
                                        ; implicit-def: $vgpr10_vgpr11
                                        ; implicit-def: $vgpr3
	v_cmpx_ne_u32_e32 0, v6
	s_xor_b32 s7, exec_lo, s7
; %bb.7903:                             ;   in Loop: Header=BB6_6801 Depth=2
	s_delay_alu instid0(VALU_DEP_2) | instskip(SKIP_2) | instid1(VALU_DEP_2)
	v_cmp_lt_u64_e32 vcc_lo, 0xffffff, v[52:53]
	v_add_nc_u32_e32 v3, 7, v5
	v_cndmask_b32_e64 v5, 0, 1, vcc_lo
	v_cndmask_b32_e32 v3, v6, v3, vcc_lo
	s_delay_alu instid0(VALU_DEP_2)
	v_lshrrev_b64 v[10:11], v5, v[52:53]
; %bb.7904:                             ;   in Loop: Header=BB6_6801 Depth=2
	s_and_not1_saveexec_b32 s7, s7
; %bb.7905:                             ;   in Loop: Header=BB6_6801 Depth=2
	v_mov_b64_e32 v[10:11], v[52:53]
	v_bfe_u32 v3, v52, 23, 1
; %bb.7906:                             ;   in Loop: Header=BB6_6801 Depth=2
	s_or_b32 exec_lo, exec_lo, s7
	s_delay_alu instid0(VALU_DEP_2) | instskip(NEXT) | instid1(VALU_DEP_2)
	v_lshrrev_b64 v[6:7], 20, v[10:11]
	v_cmp_gt_i32_e32 vcc_lo, 16, v3
	v_min_i32_e32 v5, 15, v3
	v_cmp_eq_u32_e64 s7, 0, v3
	s_delay_alu instid0(VALU_DEP_2) | instskip(SKIP_1) | instid1(VALU_DEP_2)
	v_dual_cndmask_b32 v6, 7, v6 :: v_dual_lshlrev_b32 v5, 3, v5
	v_cndmask_b32_e32 v7, 0, v7, vcc_lo
	v_and_b32_e32 v5, 0xf8, v5
	s_delay_alu instid0(VALU_DEP_2) | instskip(NEXT) | instid1(VALU_DEP_2)
	v_cmp_eq_u64_e32 vcc_lo, 0, v[6:7]
	v_and_or_b32 v3, v6, 7, v5
	s_and_b32 s7, s7, vcc_lo
	s_delay_alu instid0(VALU_DEP_1) | instid1(SALU_CYCLE_1)
	v_cndmask_b32_e64 v3, v3, 0, s7
	s_delay_alu instid0(VALU_DEP_1)
	v_or_b32_e32 v79, v3, v2
.LBB6_7907:                             ;   in Loop: Header=BB6_6801 Depth=2
	s_or_b32 exec_lo, exec_lo, s42
                                        ; implicit-def: $vgpr2
.LBB6_7908:                             ;   in Loop: Header=BB6_6801 Depth=2
	s_and_not1_saveexec_b32 s7, s41
; %bb.7909:                             ;   in Loop: Header=BB6_6801 Depth=2
	v_or_b32_e32 v79, 0x7e, v2
; %bb.7910:                             ;   in Loop: Header=BB6_6801 Depth=2
	s_or_b32 exec_lo, exec_lo, s7
                                        ; implicit-def: $vgpr2
.LBB6_7911:                             ;   in Loop: Header=BB6_6801 Depth=2
	s_and_not1_saveexec_b32 s7, s40
; %bb.7912:                             ;   in Loop: Header=BB6_6801 Depth=2
	v_or_b32_e32 v79, 0x7f, v2
; %bb.7913:                             ;   in Loop: Header=BB6_6801 Depth=2
	s_or_b32 exec_lo, exec_lo, s7
	v_mov_b32_e32 v3, 0
	s_mov_b32 s7, exec_lo
	v_cmpx_lt_u64_e64 s[12:13], v[12:13]
	s_cbranch_execz .LBB6_7921
; %bb.7914:                             ;   in Loop: Header=BB6_6801 Depth=2
	v_lshrrev_b32_e32 v2, 24, v13
	v_bfrev_b32_e32 v3, 1
	s_mov_b32 s40, exec_lo
	s_delay_alu instid0(VALU_DEP_2)
	v_cmpx_ne_u32_e32 0x80, v2
	s_cbranch_execz .LBB6_7920
; %bb.7915:                             ;   in Loop: Header=BB6_6801 Depth=2
	v_bfe_u32 v5, v13, 24, 7
	v_mov_b32_e32 v3, 0x7f800001
	s_mov_b32 s41, exec_lo
	s_delay_alu instid0(VALU_DEP_2)
	v_cmpx_ne_u32_e32 0x7f, v5
	s_cbranch_execz .LBB6_7919
; %bb.7916:                             ;   in Loop: Header=BB6_6801 Depth=2
	v_dual_lshrrev_b32 v3, 3, v5 :: v_dual_bitop2_b32 v52, 7, v2 bitop3:0x40
	s_mov_b32 s42, exec_lo
	s_delay_alu instid0(VALU_DEP_1)
	v_mov_b64_e32 v[10:11], v[52:53]
	v_cmpx_gt_u32_e32 8, v5
; %bb.7917:                             ;   in Loop: Header=BB6_6801 Depth=2
	v_clz_i32_u32_e32 v3, v52
	s_delay_alu instid0(VALU_DEP_1) | instskip(NEXT) | instid1(VALU_DEP_1)
	v_min_u32_e32 v3, 32, v3
	v_subrev_nc_u32_e32 v5, 28, v3
	s_delay_alu instid0(VALU_DEP_1) | instskip(NEXT) | instid1(VALU_DEP_1)
	v_lshlrev_b64_e32 v[6:7], v5, v[52:53]
	v_dual_sub_nc_u32 v3, 29, v3 :: v_dual_bitop2_b32 v10, 7, v6 bitop3:0x40
; %bb.7918:                             ;   in Loop: Header=BB6_6801 Depth=2
	s_or_b32 exec_lo, exec_lo, s42
	v_lshlrev_b32_e32 v2, 24, v2
	s_delay_alu instid0(VALU_DEP_2) | instskip(NEXT) | instid1(VALU_DEP_3)
	v_lshlrev_b32_e32 v5, 20, v10
	v_lshl_add_u32 v3, v3, 23, 0x3c000000
	s_delay_alu instid0(VALU_DEP_3) | instskip(NEXT) | instid1(VALU_DEP_1)
	v_and_b32_e32 v2, 0x80000000, v2
	v_or3_b32 v3, v5, v2, v3
.LBB6_7919:                             ;   in Loop: Header=BB6_6801 Depth=2
	s_or_b32 exec_lo, exec_lo, s41
.LBB6_7920:                             ;   in Loop: Header=BB6_6801 Depth=2
	s_delay_alu instid0(SALU_CYCLE_1)
	s_or_b32 exec_lo, exec_lo, s40
.LBB6_7921:                             ;   in Loop: Header=BB6_6801 Depth=2
	s_delay_alu instid0(SALU_CYCLE_1) | instskip(NEXT) | instid1(VALU_DEP_1)
	s_or_b32 exec_lo, exec_lo, s7
	v_mul_f32_e32 v3, s29, v3
                                        ; implicit-def: $vgpr88
	s_mov_b32 s7, exec_lo
	s_delay_alu instid0(VALU_DEP_1) | instskip(SKIP_1) | instid1(VALU_DEP_2)
	v_and_b32_e32 v52, 0x7f800000, v3
	v_lshrrev_b32_e32 v2, 24, v3
	v_cmpx_ne_u64_e32 0x7f800000, v[52:53]
	s_xor_b32 s40, exec_lo, s7
	s_cbranch_execz .LBB6_7935
; %bb.7922:                             ;   in Loop: Header=BB6_6801 Depth=2
	v_and_b32_e32 v52, 0x7fffffff, v3
	v_and_b32_e32 v2, 0x80, v2
                                        ; implicit-def: $vgpr88
	s_mov_b32 s7, exec_lo
	s_delay_alu instid0(VALU_DEP_2)
	v_cmpx_gt_u64_e32 0x43e00001, v[52:53]
	s_xor_b32 s41, exec_lo, s7
	s_cbranch_execz .LBB6_7932
; %bb.7923:                             ;   in Loop: Header=BB6_6801 Depth=2
	v_mov_b32_e32 v88, 0
	s_mov_b32 s42, exec_lo
	v_cmpx_ne_u32_e32 0, v3
	s_cbranch_execz .LBB6_7931
; %bb.7924:                             ;   in Loop: Header=BB6_6801 Depth=2
	v_bfe_u32 v5, v3, 23, 8
	v_and_b32_e32 v3, 0x7fffff, v3
	s_delay_alu instid0(VALU_DEP_2) | instskip(SKIP_1) | instid1(VALU_DEP_3)
	v_sub_nc_u32_e32 v6, 0x79, v5
	v_cmp_gt_u32_e32 vcc_lo, 0x7a, v5
	v_or_b32_e32 v10, 0x800000, v3
	s_delay_alu instid0(VALU_DEP_3) | instskip(SKIP_1) | instid1(VALU_DEP_3)
	v_cndmask_b32_e32 v6, 0, v6, vcc_lo
	v_cmp_eq_u32_e32 vcc_lo, 0, v5
	v_cndmask_b32_e32 v52, v10, v3, vcc_lo
	s_delay_alu instid0(VALU_DEP_3) | instskip(NEXT) | instid1(VALU_DEP_1)
	v_cndmask_b32_e64 v6, v6, 0x78, vcc_lo
	v_add_nc_u32_e32 v7, 20, v6
	s_delay_alu instid0(VALU_DEP_3) | instskip(NEXT) | instid1(VALU_DEP_2)
	v_lshrrev_b64 v[10:11], v6, v[52:53]
	v_lshlrev_b64_e64 v[8:9], v7, -1
	v_add_nc_u32_e32 v7, 19, v6
	s_delay_alu instid0(VALU_DEP_1) | instskip(NEXT) | instid1(VALU_DEP_3)
	v_lshlrev_b64_e64 v[12:13], v7, 1
	v_bfi_b32 v9, v9, 0, 0
	s_delay_alu instid0(VALU_DEP_4) | instskip(NEXT) | instid1(VALU_DEP_1)
	v_bfi_b32 v8, v8, 0, v52
	v_cmp_eq_u64_e64 s7, v[8:9], v[12:13]
	v_mov_b64_e32 v[12:13], v[10:11]
	s_and_saveexec_b32 s43, s7
; %bb.7925:                             ;   in Loop: Header=BB6_6801 Depth=2
	v_bfe_u32 v52, v10, 20, 1
	s_delay_alu instid0(VALU_DEP_1) | instskip(NEXT) | instid1(VALU_DEP_1)
	v_add_nc_u64_e32 v[8:9], v[10:11], v[52:53]
	v_add_nc_u64_e32 v[12:13], -1, v[8:9]
; %bb.7926:                             ;   in Loop: Header=BB6_6801 Depth=2
	s_or_b32 exec_lo, exec_lo, s43
	v_add_nc_u32_e32 v3, 0xffffff81, v5
	v_lshrrev_b32_e32 v5, 23, v10
	s_mov_b32 s7, exec_lo
	s_delay_alu instid0(VALU_DEP_2) | instskip(NEXT) | instid1(VALU_DEP_1)
	v_cndmask_b32_e64 v3, v3, 0xffffff82, vcc_lo
	v_add3_u32 v5, v6, v3, v5
	v_and_b32_e32 v3, 0xfffff, v12
	s_delay_alu instid0(VALU_DEP_1) | instskip(NEXT) | instid1(VALU_DEP_1)
	v_dual_add_nc_u32 v6, 6, v5 :: v_dual_add_nc_u32 v52, v3, v10
                                        ; implicit-def: $vgpr10_vgpr11
                                        ; implicit-def: $vgpr3
	v_cmpx_ne_u32_e32 0, v6
	s_xor_b32 s7, exec_lo, s7
; %bb.7927:                             ;   in Loop: Header=BB6_6801 Depth=2
	s_delay_alu instid0(VALU_DEP_2) | instskip(SKIP_2) | instid1(VALU_DEP_2)
	v_cmp_lt_u64_e32 vcc_lo, 0xffffff, v[52:53]
	v_add_nc_u32_e32 v3, 7, v5
	v_cndmask_b32_e64 v5, 0, 1, vcc_lo
	v_cndmask_b32_e32 v3, v6, v3, vcc_lo
	s_delay_alu instid0(VALU_DEP_2)
	v_lshrrev_b64 v[10:11], v5, v[52:53]
; %bb.7928:                             ;   in Loop: Header=BB6_6801 Depth=2
	s_and_not1_saveexec_b32 s7, s7
; %bb.7929:                             ;   in Loop: Header=BB6_6801 Depth=2
	v_mov_b64_e32 v[10:11], v[52:53]
	v_bfe_u32 v3, v52, 23, 1
; %bb.7930:                             ;   in Loop: Header=BB6_6801 Depth=2
	s_or_b32 exec_lo, exec_lo, s7
	s_delay_alu instid0(VALU_DEP_2) | instskip(NEXT) | instid1(VALU_DEP_2)
	v_lshrrev_b64 v[6:7], 20, v[10:11]
	v_cmp_gt_i32_e32 vcc_lo, 16, v3
	v_min_i32_e32 v5, 15, v3
	v_cmp_eq_u32_e64 s7, 0, v3
	s_delay_alu instid0(VALU_DEP_2) | instskip(SKIP_1) | instid1(VALU_DEP_2)
	v_dual_cndmask_b32 v6, 7, v6 :: v_dual_lshlrev_b32 v5, 3, v5
	v_cndmask_b32_e32 v7, 0, v7, vcc_lo
	v_and_b32_e32 v5, 0xf8, v5
	s_delay_alu instid0(VALU_DEP_2) | instskip(NEXT) | instid1(VALU_DEP_2)
	v_cmp_eq_u64_e32 vcc_lo, 0, v[6:7]
	v_and_or_b32 v3, v6, 7, v5
	s_and_b32 s7, s7, vcc_lo
	s_delay_alu instid0(VALU_DEP_1) | instid1(SALU_CYCLE_1)
	v_cndmask_b32_e64 v3, v3, 0, s7
	s_delay_alu instid0(VALU_DEP_1)
	v_or_b32_e32 v88, v3, v2
.LBB6_7931:                             ;   in Loop: Header=BB6_6801 Depth=2
	s_or_b32 exec_lo, exec_lo, s42
                                        ; implicit-def: $vgpr2
.LBB6_7932:                             ;   in Loop: Header=BB6_6801 Depth=2
	s_and_not1_saveexec_b32 s7, s41
; %bb.7933:                             ;   in Loop: Header=BB6_6801 Depth=2
	v_or_b32_e32 v88, 0x7e, v2
; %bb.7934:                             ;   in Loop: Header=BB6_6801 Depth=2
	s_or_b32 exec_lo, exec_lo, s7
                                        ; implicit-def: $vgpr2
.LBB6_7935:                             ;   in Loop: Header=BB6_6801 Depth=2
	s_and_not1_saveexec_b32 s7, s40
; %bb.7936:                             ;   in Loop: Header=BB6_6801 Depth=2
	v_or_b32_e32 v88, 0x7f, v2
; %bb.7937:                             ;   in Loop: Header=BB6_6801 Depth=2
	s_or_b32 exec_lo, exec_lo, s7
	global_load_b128 v[10:13], v[98:99], off offset:1536 th:TH_LOAD_NT
	v_mov_b32_e32 v2, 0
	s_mov_b32 s7, exec_lo
	s_wait_loadcnt 0x0
	v_and_b32_e32 v3, 0xff, v10
	s_wait_xcnt 0x0
	s_delay_alu instid0(VALU_DEP_1)
	v_cmpx_ne_u16_e32 0, v3
	s_cbranch_execz .LBB6_7943
; %bb.7938:                             ;   in Loop: Header=BB6_6801 Depth=2
	v_bfrev_b32_e32 v2, 1
	s_mov_b32 s40, exec_lo
	v_cmpx_ne_u16_e32 0x80, v3
	s_cbranch_execz .LBB6_7942
; %bb.7939:                             ;   in Loop: Header=BB6_6801 Depth=2
	v_and_b32_e32 v3, 0x7f, v10
	v_mov_b32_e32 v2, 0x7f800001
	s_mov_b32 s41, exec_lo
	s_delay_alu instid0(VALU_DEP_2)
	v_cmpx_ne_u32_e32 0x7f, v3
	s_cbranch_execz .LBB6_7941
; %bb.7940:                             ;   in Loop: Header=BB6_6801 Depth=2
	v_dual_lshrrev_b32 v5, 3, v3 :: v_dual_bitop2_b32 v2, 7, v10 bitop3:0x40
	v_cmp_gt_u32_e32 vcc_lo, 8, v3
	s_delay_alu instid0(VALU_DEP_2) | instskip(NEXT) | instid1(VALU_DEP_1)
	v_clz_i32_u32_e32 v2, v2
	v_min_u32_e32 v2, 32, v2
	s_delay_alu instid0(VALU_DEP_1) | instskip(SKIP_1) | instid1(VALU_DEP_1)
	v_subrev_nc_u32_e32 v6, 28, v2
	v_sub_nc_u32_e32 v2, 29, v2
	v_cndmask_b32_e32 v5, v5, v2, vcc_lo
	s_delay_alu instid0(VALU_DEP_3) | instskip(NEXT) | instid1(VALU_DEP_1)
	v_cndmask_b32_e32 v2, 0, v6, vcc_lo
	v_lshlrev_b64_e32 v[2:3], v2, v[10:11]
	v_lshlrev_b32_e32 v3, 24, v10
	s_delay_alu instid0(VALU_DEP_1) | instskip(NEXT) | instid1(VALU_DEP_3)
	v_and_b32_e32 v3, 0x80000000, v3
	v_lshlrev_b32_e32 v2, 20, v2
	v_lshl_add_u32 v5, v5, 23, 0x3c000000
	s_delay_alu instid0(VALU_DEP_2) | instskip(NEXT) | instid1(VALU_DEP_1)
	v_and_b32_e32 v2, 0x700000, v2
	v_or3_b32 v2, v2, v3, v5
.LBB6_7941:                             ;   in Loop: Header=BB6_6801 Depth=2
	s_or_b32 exec_lo, exec_lo, s41
.LBB6_7942:                             ;   in Loop: Header=BB6_6801 Depth=2
	s_delay_alu instid0(SALU_CYCLE_1)
	s_or_b32 exec_lo, exec_lo, s40
.LBB6_7943:                             ;   in Loop: Header=BB6_6801 Depth=2
	s_delay_alu instid0(SALU_CYCLE_1) | instskip(NEXT) | instid1(VALU_DEP_1)
	s_or_b32 exec_lo, exec_lo, s7
	v_mul_f32_e32 v3, s29, v2
                                        ; implicit-def: $vgpr61
	s_mov_b32 s7, exec_lo
	s_delay_alu instid0(VALU_DEP_1) | instskip(SKIP_1) | instid1(VALU_DEP_2)
	v_and_b32_e32 v52, 0x7f800000, v3
	v_lshrrev_b32_e32 v2, 24, v3
	v_cmpx_ne_u64_e32 0x7f800000, v[52:53]
	s_xor_b32 s40, exec_lo, s7
	s_cbranch_execz .LBB6_7957
; %bb.7944:                             ;   in Loop: Header=BB6_6801 Depth=2
	v_and_b32_e32 v52, 0x7fffffff, v3
	v_and_b32_e32 v2, 0x80, v2
                                        ; implicit-def: $vgpr61
	s_mov_b32 s7, exec_lo
	s_delay_alu instid0(VALU_DEP_2)
	v_cmpx_gt_u64_e32 0x43e00001, v[52:53]
	s_xor_b32 s41, exec_lo, s7
	s_cbranch_execz .LBB6_7954
; %bb.7945:                             ;   in Loop: Header=BB6_6801 Depth=2
	v_mov_b32_e32 v61, 0
	s_mov_b32 s42, exec_lo
	v_cmpx_ne_u32_e32 0, v3
	s_cbranch_execz .LBB6_7953
; %bb.7946:                             ;   in Loop: Header=BB6_6801 Depth=2
	v_bfe_u32 v5, v3, 23, 8
	v_and_b32_e32 v3, 0x7fffff, v3
	s_delay_alu instid0(VALU_DEP_2) | instskip(SKIP_1) | instid1(VALU_DEP_3)
	v_sub_nc_u32_e32 v6, 0x79, v5
	v_cmp_gt_u32_e32 vcc_lo, 0x7a, v5
	v_or_b32_e32 v14, 0x800000, v3
	s_delay_alu instid0(VALU_DEP_3) | instskip(SKIP_1) | instid1(VALU_DEP_3)
	v_cndmask_b32_e32 v6, 0, v6, vcc_lo
	v_cmp_eq_u32_e32 vcc_lo, 0, v5
	v_cndmask_b32_e32 v52, v14, v3, vcc_lo
	s_delay_alu instid0(VALU_DEP_3) | instskip(NEXT) | instid1(VALU_DEP_1)
	v_cndmask_b32_e64 v6, v6, 0x78, vcc_lo
	v_add_nc_u32_e32 v7, 20, v6
	s_delay_alu instid0(VALU_DEP_3) | instskip(NEXT) | instid1(VALU_DEP_2)
	v_lshrrev_b64 v[14:15], v6, v[52:53]
	v_lshlrev_b64_e64 v[8:9], v7, -1
	v_add_nc_u32_e32 v7, 19, v6
	s_delay_alu instid0(VALU_DEP_1) | instskip(NEXT) | instid1(VALU_DEP_3)
	v_lshlrev_b64_e64 v[16:17], v7, 1
	v_bfi_b32 v9, v9, 0, 0
	s_delay_alu instid0(VALU_DEP_4) | instskip(NEXT) | instid1(VALU_DEP_1)
	v_bfi_b32 v8, v8, 0, v52
	v_cmp_eq_u64_e64 s7, v[8:9], v[16:17]
	v_mov_b64_e32 v[16:17], v[14:15]
	s_and_saveexec_b32 s43, s7
; %bb.7947:                             ;   in Loop: Header=BB6_6801 Depth=2
	v_bfe_u32 v52, v14, 20, 1
	s_delay_alu instid0(VALU_DEP_1) | instskip(NEXT) | instid1(VALU_DEP_1)
	v_add_nc_u64_e32 v[8:9], v[14:15], v[52:53]
	v_add_nc_u64_e32 v[16:17], -1, v[8:9]
; %bb.7948:                             ;   in Loop: Header=BB6_6801 Depth=2
	s_or_b32 exec_lo, exec_lo, s43
	v_add_nc_u32_e32 v3, 0xffffff81, v5
	v_lshrrev_b32_e32 v5, 23, v14
	s_mov_b32 s7, exec_lo
	s_delay_alu instid0(VALU_DEP_2) | instskip(NEXT) | instid1(VALU_DEP_1)
	v_cndmask_b32_e64 v3, v3, 0xffffff82, vcc_lo
	v_add3_u32 v5, v6, v3, v5
	v_and_b32_e32 v3, 0xfffff, v16
	s_delay_alu instid0(VALU_DEP_1) | instskip(NEXT) | instid1(VALU_DEP_1)
	v_dual_add_nc_u32 v6, 6, v5 :: v_dual_add_nc_u32 v52, v3, v14
                                        ; implicit-def: $vgpr14_vgpr15
                                        ; implicit-def: $vgpr3
	v_cmpx_ne_u32_e32 0, v6
	s_xor_b32 s7, exec_lo, s7
; %bb.7949:                             ;   in Loop: Header=BB6_6801 Depth=2
	s_delay_alu instid0(VALU_DEP_2) | instskip(SKIP_2) | instid1(VALU_DEP_2)
	v_cmp_lt_u64_e32 vcc_lo, 0xffffff, v[52:53]
	v_add_nc_u32_e32 v3, 7, v5
	v_cndmask_b32_e64 v5, 0, 1, vcc_lo
	v_cndmask_b32_e32 v3, v6, v3, vcc_lo
	s_delay_alu instid0(VALU_DEP_2)
	v_lshrrev_b64 v[14:15], v5, v[52:53]
; %bb.7950:                             ;   in Loop: Header=BB6_6801 Depth=2
	s_and_not1_saveexec_b32 s7, s7
; %bb.7951:                             ;   in Loop: Header=BB6_6801 Depth=2
	v_mov_b64_e32 v[14:15], v[52:53]
	v_bfe_u32 v3, v52, 23, 1
; %bb.7952:                             ;   in Loop: Header=BB6_6801 Depth=2
	s_or_b32 exec_lo, exec_lo, s7
	s_delay_alu instid0(VALU_DEP_2) | instskip(NEXT) | instid1(VALU_DEP_2)
	v_lshrrev_b64 v[6:7], 20, v[14:15]
	v_cmp_gt_i32_e32 vcc_lo, 16, v3
	v_min_i32_e32 v5, 15, v3
	v_cmp_eq_u32_e64 s7, 0, v3
	s_delay_alu instid0(VALU_DEP_2) | instskip(SKIP_1) | instid1(VALU_DEP_2)
	v_dual_cndmask_b32 v6, 7, v6 :: v_dual_lshlrev_b32 v5, 3, v5
	v_cndmask_b32_e32 v7, 0, v7, vcc_lo
	v_and_b32_e32 v5, 0xf8, v5
	s_delay_alu instid0(VALU_DEP_2) | instskip(NEXT) | instid1(VALU_DEP_2)
	v_cmp_eq_u64_e32 vcc_lo, 0, v[6:7]
	v_and_or_b32 v3, v6, 7, v5
	s_and_b32 s7, s7, vcc_lo
	s_delay_alu instid0(VALU_DEP_1) | instid1(SALU_CYCLE_1)
	v_cndmask_b32_e64 v3, v3, 0, s7
	s_delay_alu instid0(VALU_DEP_1)
	v_or_b32_e32 v61, v3, v2
.LBB6_7953:                             ;   in Loop: Header=BB6_6801 Depth=2
	s_or_b32 exec_lo, exec_lo, s42
                                        ; implicit-def: $vgpr2
.LBB6_7954:                             ;   in Loop: Header=BB6_6801 Depth=2
	s_and_not1_saveexec_b32 s7, s41
; %bb.7955:                             ;   in Loop: Header=BB6_6801 Depth=2
	v_or_b32_e32 v61, 0x7e, v2
; %bb.7956:                             ;   in Loop: Header=BB6_6801 Depth=2
	s_or_b32 exec_lo, exec_lo, s7
                                        ; implicit-def: $vgpr2
.LBB6_7957:                             ;   in Loop: Header=BB6_6801 Depth=2
	s_and_not1_saveexec_b32 s7, s40
; %bb.7958:                             ;   in Loop: Header=BB6_6801 Depth=2
	v_or_b32_e32 v61, 0x7f, v2
; %bb.7959:                             ;   in Loop: Header=BB6_6801 Depth=2
	s_or_b32 exec_lo, exec_lo, s7
	v_lshrrev_b16 v3, 8, v10
	v_mov_b32_e32 v2, 0
	s_mov_b32 s7, exec_lo
	s_delay_alu instid0(VALU_DEP_2)
	v_cmpx_ne_u16_e32 0, v3
	s_cbranch_execz .LBB6_7967
; %bb.7960:                             ;   in Loop: Header=BB6_6801 Depth=2
	v_bfrev_b32_e32 v2, 1
	s_mov_b32 s40, exec_lo
	v_cmpx_ne_u16_e32 0x80, v3
	s_cbranch_execz .LBB6_7966
; %bb.7961:                             ;   in Loop: Header=BB6_6801 Depth=2
	v_and_b32_e32 v5, 0xffff, v3
	v_mov_b32_e32 v2, 0x7f800001
	s_mov_b32 s41, exec_lo
	s_delay_alu instid0(VALU_DEP_2) | instskip(NEXT) | instid1(VALU_DEP_1)
	v_and_b32_e32 v3, 0x7f, v5
	v_cmpx_ne_u32_e32 0x7f, v3
	s_cbranch_execz .LBB6_7965
; %bb.7962:                             ;   in Loop: Header=BB6_6801 Depth=2
	v_dual_lshrrev_b32 v2, 3, v3 :: v_dual_bitop2_b32 v52, 7, v5 bitop3:0x40
	s_mov_b32 s42, exec_lo
	s_delay_alu instid0(VALU_DEP_1)
	v_mov_b64_e32 v[14:15], v[52:53]
	v_cmpx_gt_u32_e32 8, v3
; %bb.7963:                             ;   in Loop: Header=BB6_6801 Depth=2
	v_clz_i32_u32_e32 v2, v52
	s_delay_alu instid0(VALU_DEP_1) | instskip(NEXT) | instid1(VALU_DEP_1)
	v_min_u32_e32 v2, 32, v2
	v_subrev_nc_u32_e32 v3, 28, v2
	v_sub_nc_u32_e32 v2, 29, v2
	s_delay_alu instid0(VALU_DEP_2) | instskip(NEXT) | instid1(VALU_DEP_1)
	v_lshlrev_b64_e32 v[6:7], v3, v[52:53]
	v_and_b32_e32 v14, 7, v6
; %bb.7964:                             ;   in Loop: Header=BB6_6801 Depth=2
	s_or_b32 exec_lo, exec_lo, s42
	v_lshlrev_b32_e32 v3, 16, v10
	s_delay_alu instid0(VALU_DEP_2) | instskip(SKIP_1) | instid1(VALU_DEP_3)
	v_lshlrev_b32_e32 v5, 20, v14
	v_lshl_add_u32 v2, v2, 23, 0x3c000000
	v_and_b32_e32 v3, 0x80000000, v3
	s_delay_alu instid0(VALU_DEP_1)
	v_or3_b32 v2, v5, v3, v2
.LBB6_7965:                             ;   in Loop: Header=BB6_6801 Depth=2
	s_or_b32 exec_lo, exec_lo, s41
.LBB6_7966:                             ;   in Loop: Header=BB6_6801 Depth=2
	s_delay_alu instid0(SALU_CYCLE_1)
	s_or_b32 exec_lo, exec_lo, s40
.LBB6_7967:                             ;   in Loop: Header=BB6_6801 Depth=2
	s_delay_alu instid0(SALU_CYCLE_1) | instskip(NEXT) | instid1(VALU_DEP_1)
	s_or_b32 exec_lo, exec_lo, s7
	v_mul_f32_e32 v3, s29, v2
                                        ; implicit-def: $vgpr73
	s_mov_b32 s7, exec_lo
	s_delay_alu instid0(VALU_DEP_1) | instskip(SKIP_1) | instid1(VALU_DEP_2)
	v_and_b32_e32 v52, 0x7f800000, v3
	v_lshrrev_b32_e32 v2, 24, v3
	v_cmpx_ne_u64_e32 0x7f800000, v[52:53]
	s_xor_b32 s40, exec_lo, s7
	s_cbranch_execz .LBB6_7981
; %bb.7968:                             ;   in Loop: Header=BB6_6801 Depth=2
	v_and_b32_e32 v52, 0x7fffffff, v3
	v_and_b32_e32 v2, 0x80, v2
                                        ; implicit-def: $vgpr73
	s_mov_b32 s7, exec_lo
	s_delay_alu instid0(VALU_DEP_2)
	v_cmpx_gt_u64_e32 0x43e00001, v[52:53]
	s_xor_b32 s41, exec_lo, s7
	s_cbranch_execz .LBB6_7978
; %bb.7969:                             ;   in Loop: Header=BB6_6801 Depth=2
	v_mov_b32_e32 v73, 0
	s_mov_b32 s42, exec_lo
	v_cmpx_ne_u32_e32 0, v3
	s_cbranch_execz .LBB6_7977
; %bb.7970:                             ;   in Loop: Header=BB6_6801 Depth=2
	v_bfe_u32 v5, v3, 23, 8
	v_and_b32_e32 v3, 0x7fffff, v3
	s_delay_alu instid0(VALU_DEP_2) | instskip(SKIP_1) | instid1(VALU_DEP_3)
	v_sub_nc_u32_e32 v6, 0x79, v5
	v_cmp_gt_u32_e32 vcc_lo, 0x7a, v5
	v_or_b32_e32 v14, 0x800000, v3
	s_delay_alu instid0(VALU_DEP_3) | instskip(SKIP_1) | instid1(VALU_DEP_3)
	v_cndmask_b32_e32 v6, 0, v6, vcc_lo
	v_cmp_eq_u32_e32 vcc_lo, 0, v5
	v_cndmask_b32_e32 v52, v14, v3, vcc_lo
	s_delay_alu instid0(VALU_DEP_3) | instskip(NEXT) | instid1(VALU_DEP_1)
	v_cndmask_b32_e64 v6, v6, 0x78, vcc_lo
	v_add_nc_u32_e32 v7, 20, v6
	s_delay_alu instid0(VALU_DEP_3) | instskip(NEXT) | instid1(VALU_DEP_2)
	v_lshrrev_b64 v[14:15], v6, v[52:53]
	v_lshlrev_b64_e64 v[8:9], v7, -1
	v_add_nc_u32_e32 v7, 19, v6
	s_delay_alu instid0(VALU_DEP_1) | instskip(NEXT) | instid1(VALU_DEP_3)
	v_lshlrev_b64_e64 v[16:17], v7, 1
	v_bfi_b32 v9, v9, 0, 0
	s_delay_alu instid0(VALU_DEP_4) | instskip(NEXT) | instid1(VALU_DEP_1)
	v_bfi_b32 v8, v8, 0, v52
	v_cmp_eq_u64_e64 s7, v[8:9], v[16:17]
	v_mov_b64_e32 v[16:17], v[14:15]
	s_and_saveexec_b32 s43, s7
; %bb.7971:                             ;   in Loop: Header=BB6_6801 Depth=2
	v_bfe_u32 v52, v14, 20, 1
	s_delay_alu instid0(VALU_DEP_1) | instskip(NEXT) | instid1(VALU_DEP_1)
	v_add_nc_u64_e32 v[8:9], v[14:15], v[52:53]
	v_add_nc_u64_e32 v[16:17], -1, v[8:9]
; %bb.7972:                             ;   in Loop: Header=BB6_6801 Depth=2
	s_or_b32 exec_lo, exec_lo, s43
	v_add_nc_u32_e32 v3, 0xffffff81, v5
	v_lshrrev_b32_e32 v5, 23, v14
	s_mov_b32 s7, exec_lo
	s_delay_alu instid0(VALU_DEP_2) | instskip(NEXT) | instid1(VALU_DEP_1)
	v_cndmask_b32_e64 v3, v3, 0xffffff82, vcc_lo
	v_add3_u32 v5, v6, v3, v5
	v_and_b32_e32 v3, 0xfffff, v16
	s_delay_alu instid0(VALU_DEP_1) | instskip(NEXT) | instid1(VALU_DEP_1)
	v_dual_add_nc_u32 v6, 6, v5 :: v_dual_add_nc_u32 v52, v3, v14
                                        ; implicit-def: $vgpr14_vgpr15
                                        ; implicit-def: $vgpr3
	v_cmpx_ne_u32_e32 0, v6
	s_xor_b32 s7, exec_lo, s7
; %bb.7973:                             ;   in Loop: Header=BB6_6801 Depth=2
	s_delay_alu instid0(VALU_DEP_2) | instskip(SKIP_2) | instid1(VALU_DEP_2)
	v_cmp_lt_u64_e32 vcc_lo, 0xffffff, v[52:53]
	v_add_nc_u32_e32 v3, 7, v5
	v_cndmask_b32_e64 v5, 0, 1, vcc_lo
	v_cndmask_b32_e32 v3, v6, v3, vcc_lo
	s_delay_alu instid0(VALU_DEP_2)
	v_lshrrev_b64 v[14:15], v5, v[52:53]
; %bb.7974:                             ;   in Loop: Header=BB6_6801 Depth=2
	s_and_not1_saveexec_b32 s7, s7
; %bb.7975:                             ;   in Loop: Header=BB6_6801 Depth=2
	v_mov_b64_e32 v[14:15], v[52:53]
	v_bfe_u32 v3, v52, 23, 1
; %bb.7976:                             ;   in Loop: Header=BB6_6801 Depth=2
	s_or_b32 exec_lo, exec_lo, s7
	s_delay_alu instid0(VALU_DEP_2) | instskip(NEXT) | instid1(VALU_DEP_2)
	v_lshrrev_b64 v[6:7], 20, v[14:15]
	v_cmp_gt_i32_e32 vcc_lo, 16, v3
	v_min_i32_e32 v5, 15, v3
	v_cmp_eq_u32_e64 s7, 0, v3
	s_delay_alu instid0(VALU_DEP_2) | instskip(SKIP_1) | instid1(VALU_DEP_2)
	v_dual_cndmask_b32 v6, 7, v6 :: v_dual_lshlrev_b32 v5, 3, v5
	v_cndmask_b32_e32 v7, 0, v7, vcc_lo
	v_and_b32_e32 v5, 0xf8, v5
	s_delay_alu instid0(VALU_DEP_2) | instskip(NEXT) | instid1(VALU_DEP_2)
	v_cmp_eq_u64_e32 vcc_lo, 0, v[6:7]
	v_and_or_b32 v3, v6, 7, v5
	s_and_b32 s7, s7, vcc_lo
	s_delay_alu instid0(VALU_DEP_1) | instid1(SALU_CYCLE_1)
	v_cndmask_b32_e64 v3, v3, 0, s7
	s_delay_alu instid0(VALU_DEP_1)
	v_or_b32_e32 v73, v3, v2
.LBB6_7977:                             ;   in Loop: Header=BB6_6801 Depth=2
	s_or_b32 exec_lo, exec_lo, s42
                                        ; implicit-def: $vgpr2
.LBB6_7978:                             ;   in Loop: Header=BB6_6801 Depth=2
	s_and_not1_saveexec_b32 s7, s41
; %bb.7979:                             ;   in Loop: Header=BB6_6801 Depth=2
	v_or_b32_e32 v73, 0x7e, v2
; %bb.7980:                             ;   in Loop: Header=BB6_6801 Depth=2
	s_or_b32 exec_lo, exec_lo, s7
                                        ; implicit-def: $vgpr2
.LBB6_7981:                             ;   in Loop: Header=BB6_6801 Depth=2
	s_and_not1_saveexec_b32 s7, s40
; %bb.7982:                             ;   in Loop: Header=BB6_6801 Depth=2
	v_or_b32_e32 v73, 0x7f, v2
; %bb.7983:                             ;   in Loop: Header=BB6_6801 Depth=2
	s_or_b32 exec_lo, exec_lo, s7
	v_dual_mov_b32 v3, 0 :: v_dual_lshrrev_b32 v2, 16, v10
	s_mov_b32 s7, exec_lo
	s_delay_alu instid0(VALU_DEP_1) | instskip(NEXT) | instid1(VALU_DEP_1)
	v_and_b32_e32 v5, 0xff, v2
	v_cmpx_ne_u16_e32 0, v5
	s_cbranch_execz .LBB6_7991
; %bb.7984:                             ;   in Loop: Header=BB6_6801 Depth=2
	v_bfrev_b32_e32 v3, 1
	s_mov_b32 s40, exec_lo
	v_cmpx_ne_u16_e32 0x80, v5
	s_cbranch_execz .LBB6_7990
; %bb.7985:                             ;   in Loop: Header=BB6_6801 Depth=2
	v_bfe_u32 v5, v10, 16, 7
	v_mov_b32_e32 v3, 0x7f800001
	s_mov_b32 s41, exec_lo
	s_delay_alu instid0(VALU_DEP_2)
	v_cmpx_ne_u32_e32 0x7f, v5
	s_cbranch_execz .LBB6_7989
; %bb.7986:                             ;   in Loop: Header=BB6_6801 Depth=2
	v_dual_lshrrev_b32 v3, 3, v5 :: v_dual_bitop2_b32 v52, 7, v2 bitop3:0x40
	s_mov_b32 s42, exec_lo
	s_delay_alu instid0(VALU_DEP_1)
	v_mov_b64_e32 v[14:15], v[52:53]
	v_cmpx_gt_u32_e32 8, v5
; %bb.7987:                             ;   in Loop: Header=BB6_6801 Depth=2
	v_clz_i32_u32_e32 v3, v52
	s_delay_alu instid0(VALU_DEP_1) | instskip(NEXT) | instid1(VALU_DEP_1)
	v_min_u32_e32 v3, 32, v3
	v_subrev_nc_u32_e32 v5, 28, v3
	s_delay_alu instid0(VALU_DEP_1) | instskip(NEXT) | instid1(VALU_DEP_1)
	v_lshlrev_b64_e32 v[6:7], v5, v[52:53]
	v_dual_sub_nc_u32 v3, 29, v3 :: v_dual_bitop2_b32 v14, 7, v6 bitop3:0x40
; %bb.7988:                             ;   in Loop: Header=BB6_6801 Depth=2
	s_or_b32 exec_lo, exec_lo, s42
	v_lshlrev_b32_e32 v2, 24, v2
	s_delay_alu instid0(VALU_DEP_2) | instskip(NEXT) | instid1(VALU_DEP_3)
	v_lshlrev_b32_e32 v5, 20, v14
	v_lshl_add_u32 v3, v3, 23, 0x3c000000
	s_delay_alu instid0(VALU_DEP_3) | instskip(NEXT) | instid1(VALU_DEP_1)
	v_and_b32_e32 v2, 0x80000000, v2
	v_or3_b32 v3, v5, v2, v3
.LBB6_7989:                             ;   in Loop: Header=BB6_6801 Depth=2
	s_or_b32 exec_lo, exec_lo, s41
.LBB6_7990:                             ;   in Loop: Header=BB6_6801 Depth=2
	s_delay_alu instid0(SALU_CYCLE_1)
	s_or_b32 exec_lo, exec_lo, s40
.LBB6_7991:                             ;   in Loop: Header=BB6_6801 Depth=2
	s_delay_alu instid0(SALU_CYCLE_1) | instskip(NEXT) | instid1(VALU_DEP_1)
	s_or_b32 exec_lo, exec_lo, s7
	v_mul_f32_e32 v3, s29, v3
                                        ; implicit-def: $vgpr76
	s_mov_b32 s7, exec_lo
	s_delay_alu instid0(VALU_DEP_1) | instskip(SKIP_1) | instid1(VALU_DEP_2)
	v_and_b32_e32 v52, 0x7f800000, v3
	v_lshrrev_b32_e32 v2, 24, v3
	v_cmpx_ne_u64_e32 0x7f800000, v[52:53]
	s_xor_b32 s40, exec_lo, s7
	s_cbranch_execz .LBB6_8005
; %bb.7992:                             ;   in Loop: Header=BB6_6801 Depth=2
	v_and_b32_e32 v52, 0x7fffffff, v3
	v_and_b32_e32 v2, 0x80, v2
                                        ; implicit-def: $vgpr76
	s_mov_b32 s7, exec_lo
	s_delay_alu instid0(VALU_DEP_2)
	v_cmpx_gt_u64_e32 0x43e00001, v[52:53]
	s_xor_b32 s41, exec_lo, s7
	s_cbranch_execz .LBB6_8002
; %bb.7993:                             ;   in Loop: Header=BB6_6801 Depth=2
	v_mov_b32_e32 v76, 0
	s_mov_b32 s42, exec_lo
	v_cmpx_ne_u32_e32 0, v3
	s_cbranch_execz .LBB6_8001
; %bb.7994:                             ;   in Loop: Header=BB6_6801 Depth=2
	v_bfe_u32 v5, v3, 23, 8
	v_and_b32_e32 v3, 0x7fffff, v3
	s_delay_alu instid0(VALU_DEP_2) | instskip(SKIP_1) | instid1(VALU_DEP_3)
	v_sub_nc_u32_e32 v6, 0x79, v5
	v_cmp_gt_u32_e32 vcc_lo, 0x7a, v5
	v_or_b32_e32 v14, 0x800000, v3
	s_delay_alu instid0(VALU_DEP_3) | instskip(SKIP_1) | instid1(VALU_DEP_3)
	v_cndmask_b32_e32 v6, 0, v6, vcc_lo
	v_cmp_eq_u32_e32 vcc_lo, 0, v5
	v_cndmask_b32_e32 v52, v14, v3, vcc_lo
	s_delay_alu instid0(VALU_DEP_3) | instskip(NEXT) | instid1(VALU_DEP_1)
	v_cndmask_b32_e64 v6, v6, 0x78, vcc_lo
	v_add_nc_u32_e32 v7, 20, v6
	s_delay_alu instid0(VALU_DEP_3) | instskip(NEXT) | instid1(VALU_DEP_2)
	v_lshrrev_b64 v[14:15], v6, v[52:53]
	v_lshlrev_b64_e64 v[8:9], v7, -1
	v_add_nc_u32_e32 v7, 19, v6
	s_delay_alu instid0(VALU_DEP_1) | instskip(NEXT) | instid1(VALU_DEP_3)
	v_lshlrev_b64_e64 v[16:17], v7, 1
	v_bfi_b32 v9, v9, 0, 0
	s_delay_alu instid0(VALU_DEP_4) | instskip(NEXT) | instid1(VALU_DEP_1)
	v_bfi_b32 v8, v8, 0, v52
	v_cmp_eq_u64_e64 s7, v[8:9], v[16:17]
	v_mov_b64_e32 v[16:17], v[14:15]
	s_and_saveexec_b32 s43, s7
; %bb.7995:                             ;   in Loop: Header=BB6_6801 Depth=2
	v_bfe_u32 v52, v14, 20, 1
	s_delay_alu instid0(VALU_DEP_1) | instskip(NEXT) | instid1(VALU_DEP_1)
	v_add_nc_u64_e32 v[8:9], v[14:15], v[52:53]
	v_add_nc_u64_e32 v[16:17], -1, v[8:9]
; %bb.7996:                             ;   in Loop: Header=BB6_6801 Depth=2
	s_or_b32 exec_lo, exec_lo, s43
	v_add_nc_u32_e32 v3, 0xffffff81, v5
	v_lshrrev_b32_e32 v5, 23, v14
	s_mov_b32 s7, exec_lo
	s_delay_alu instid0(VALU_DEP_2) | instskip(NEXT) | instid1(VALU_DEP_1)
	v_cndmask_b32_e64 v3, v3, 0xffffff82, vcc_lo
	v_add3_u32 v5, v6, v3, v5
	v_and_b32_e32 v3, 0xfffff, v16
	s_delay_alu instid0(VALU_DEP_1) | instskip(NEXT) | instid1(VALU_DEP_1)
	v_dual_add_nc_u32 v6, 6, v5 :: v_dual_add_nc_u32 v52, v3, v14
                                        ; implicit-def: $vgpr14_vgpr15
                                        ; implicit-def: $vgpr3
	v_cmpx_ne_u32_e32 0, v6
	s_xor_b32 s7, exec_lo, s7
; %bb.7997:                             ;   in Loop: Header=BB6_6801 Depth=2
	s_delay_alu instid0(VALU_DEP_2) | instskip(SKIP_2) | instid1(VALU_DEP_2)
	v_cmp_lt_u64_e32 vcc_lo, 0xffffff, v[52:53]
	v_add_nc_u32_e32 v3, 7, v5
	v_cndmask_b32_e64 v5, 0, 1, vcc_lo
	v_cndmask_b32_e32 v3, v6, v3, vcc_lo
	s_delay_alu instid0(VALU_DEP_2)
	v_lshrrev_b64 v[14:15], v5, v[52:53]
; %bb.7998:                             ;   in Loop: Header=BB6_6801 Depth=2
	s_and_not1_saveexec_b32 s7, s7
; %bb.7999:                             ;   in Loop: Header=BB6_6801 Depth=2
	v_mov_b64_e32 v[14:15], v[52:53]
	v_bfe_u32 v3, v52, 23, 1
; %bb.8000:                             ;   in Loop: Header=BB6_6801 Depth=2
	s_or_b32 exec_lo, exec_lo, s7
	s_delay_alu instid0(VALU_DEP_2) | instskip(NEXT) | instid1(VALU_DEP_2)
	v_lshrrev_b64 v[6:7], 20, v[14:15]
	v_cmp_gt_i32_e32 vcc_lo, 16, v3
	v_min_i32_e32 v5, 15, v3
	v_cmp_eq_u32_e64 s7, 0, v3
	s_delay_alu instid0(VALU_DEP_2) | instskip(SKIP_1) | instid1(VALU_DEP_2)
	v_dual_cndmask_b32 v6, 7, v6 :: v_dual_lshlrev_b32 v5, 3, v5
	v_cndmask_b32_e32 v7, 0, v7, vcc_lo
	v_and_b32_e32 v5, 0xf8, v5
	s_delay_alu instid0(VALU_DEP_2) | instskip(NEXT) | instid1(VALU_DEP_2)
	v_cmp_eq_u64_e32 vcc_lo, 0, v[6:7]
	v_and_or_b32 v3, v6, 7, v5
	s_and_b32 s7, s7, vcc_lo
	s_delay_alu instid0(VALU_DEP_1) | instid1(SALU_CYCLE_1)
	v_cndmask_b32_e64 v3, v3, 0, s7
	s_delay_alu instid0(VALU_DEP_1)
	v_or_b32_e32 v76, v3, v2
.LBB6_8001:                             ;   in Loop: Header=BB6_6801 Depth=2
	s_or_b32 exec_lo, exec_lo, s42
                                        ; implicit-def: $vgpr2
.LBB6_8002:                             ;   in Loop: Header=BB6_6801 Depth=2
	s_and_not1_saveexec_b32 s7, s41
; %bb.8003:                             ;   in Loop: Header=BB6_6801 Depth=2
	v_or_b32_e32 v76, 0x7e, v2
; %bb.8004:                             ;   in Loop: Header=BB6_6801 Depth=2
	s_or_b32 exec_lo, exec_lo, s7
                                        ; implicit-def: $vgpr2
.LBB6_8005:                             ;   in Loop: Header=BB6_6801 Depth=2
	s_and_not1_saveexec_b32 s7, s40
; %bb.8006:                             ;   in Loop: Header=BB6_6801 Depth=2
	v_or_b32_e32 v76, 0x7f, v2
; %bb.8007:                             ;   in Loop: Header=BB6_6801 Depth=2
	s_or_b32 exec_lo, exec_lo, s7
	v_mov_b32_e32 v3, 0
	s_mov_b32 s7, exec_lo
	v_cmpx_lt_u32_e32 0xffffff, v10
	s_cbranch_execz .LBB6_8015
; %bb.8008:                             ;   in Loop: Header=BB6_6801 Depth=2
	v_lshrrev_b32_e32 v2, 24, v10
	v_bfrev_b32_e32 v3, 1
	s_mov_b32 s40, exec_lo
	s_delay_alu instid0(VALU_DEP_2)
	v_cmpx_ne_u32_e32 0x80, v2
	s_cbranch_execz .LBB6_8014
; %bb.8009:                             ;   in Loop: Header=BB6_6801 Depth=2
	v_bfe_u32 v5, v10, 24, 7
	v_mov_b32_e32 v3, 0x7f800001
	s_mov_b32 s41, exec_lo
	s_delay_alu instid0(VALU_DEP_2)
	v_cmpx_ne_u32_e32 0x7f, v5
	s_cbranch_execz .LBB6_8013
; %bb.8010:                             ;   in Loop: Header=BB6_6801 Depth=2
	v_dual_lshrrev_b32 v3, 3, v5 :: v_dual_bitop2_b32 v52, 7, v2 bitop3:0x40
	s_mov_b32 s42, exec_lo
	s_delay_alu instid0(VALU_DEP_1)
	v_mov_b64_e32 v[14:15], v[52:53]
	v_cmpx_gt_u32_e32 8, v5
; %bb.8011:                             ;   in Loop: Header=BB6_6801 Depth=2
	v_clz_i32_u32_e32 v3, v52
	s_delay_alu instid0(VALU_DEP_1) | instskip(NEXT) | instid1(VALU_DEP_1)
	v_min_u32_e32 v3, 32, v3
	v_subrev_nc_u32_e32 v5, 28, v3
	s_delay_alu instid0(VALU_DEP_1) | instskip(NEXT) | instid1(VALU_DEP_1)
	v_lshlrev_b64_e32 v[6:7], v5, v[52:53]
	v_dual_sub_nc_u32 v3, 29, v3 :: v_dual_bitop2_b32 v14, 7, v6 bitop3:0x40
; %bb.8012:                             ;   in Loop: Header=BB6_6801 Depth=2
	s_or_b32 exec_lo, exec_lo, s42
	v_lshlrev_b32_e32 v2, 24, v2
	s_delay_alu instid0(VALU_DEP_2) | instskip(NEXT) | instid1(VALU_DEP_3)
	v_lshlrev_b32_e32 v5, 20, v14
	v_lshl_add_u32 v3, v3, 23, 0x3c000000
	s_delay_alu instid0(VALU_DEP_3) | instskip(NEXT) | instid1(VALU_DEP_1)
	v_and_b32_e32 v2, 0x80000000, v2
	v_or3_b32 v3, v5, v2, v3
.LBB6_8013:                             ;   in Loop: Header=BB6_6801 Depth=2
	s_or_b32 exec_lo, exec_lo, s41
.LBB6_8014:                             ;   in Loop: Header=BB6_6801 Depth=2
	s_delay_alu instid0(SALU_CYCLE_1)
	s_or_b32 exec_lo, exec_lo, s40
.LBB6_8015:                             ;   in Loop: Header=BB6_6801 Depth=2
	s_delay_alu instid0(SALU_CYCLE_1) | instskip(NEXT) | instid1(VALU_DEP_1)
	s_or_b32 exec_lo, exec_lo, s7
	v_mul_f32_e32 v3, s29, v3
                                        ; implicit-def: $vgpr29
	s_mov_b32 s7, exec_lo
	s_delay_alu instid0(VALU_DEP_1) | instskip(SKIP_1) | instid1(VALU_DEP_2)
	v_and_b32_e32 v52, 0x7f800000, v3
	v_lshrrev_b32_e32 v2, 24, v3
	v_cmpx_ne_u64_e32 0x7f800000, v[52:53]
	s_xor_b32 s40, exec_lo, s7
	s_cbranch_execz .LBB6_8029
; %bb.8016:                             ;   in Loop: Header=BB6_6801 Depth=2
	v_and_b32_e32 v52, 0x7fffffff, v3
	v_and_b32_e32 v2, 0x80, v2
                                        ; implicit-def: $vgpr29
	s_mov_b32 s7, exec_lo
	s_delay_alu instid0(VALU_DEP_2)
	v_cmpx_gt_u64_e32 0x43e00001, v[52:53]
	s_xor_b32 s41, exec_lo, s7
	s_cbranch_execz .LBB6_8026
; %bb.8017:                             ;   in Loop: Header=BB6_6801 Depth=2
	v_mov_b32_e32 v29, 0
	s_mov_b32 s42, exec_lo
	v_cmpx_ne_u32_e32 0, v3
	s_cbranch_execz .LBB6_8025
; %bb.8018:                             ;   in Loop: Header=BB6_6801 Depth=2
	v_bfe_u32 v5, v3, 23, 8
	v_and_b32_e32 v3, 0x7fffff, v3
	s_delay_alu instid0(VALU_DEP_2) | instskip(SKIP_1) | instid1(VALU_DEP_3)
	v_sub_nc_u32_e32 v6, 0x79, v5
	v_cmp_gt_u32_e32 vcc_lo, 0x7a, v5
	v_or_b32_e32 v14, 0x800000, v3
	s_delay_alu instid0(VALU_DEP_3) | instskip(SKIP_1) | instid1(VALU_DEP_3)
	v_cndmask_b32_e32 v6, 0, v6, vcc_lo
	v_cmp_eq_u32_e32 vcc_lo, 0, v5
	v_cndmask_b32_e32 v52, v14, v3, vcc_lo
	s_delay_alu instid0(VALU_DEP_3) | instskip(NEXT) | instid1(VALU_DEP_1)
	v_cndmask_b32_e64 v6, v6, 0x78, vcc_lo
	v_add_nc_u32_e32 v7, 20, v6
	s_delay_alu instid0(VALU_DEP_3) | instskip(NEXT) | instid1(VALU_DEP_2)
	v_lshrrev_b64 v[14:15], v6, v[52:53]
	v_lshlrev_b64_e64 v[8:9], v7, -1
	v_add_nc_u32_e32 v7, 19, v6
	s_delay_alu instid0(VALU_DEP_1) | instskip(NEXT) | instid1(VALU_DEP_3)
	v_lshlrev_b64_e64 v[16:17], v7, 1
	v_bfi_b32 v9, v9, 0, 0
	s_delay_alu instid0(VALU_DEP_4) | instskip(NEXT) | instid1(VALU_DEP_1)
	v_bfi_b32 v8, v8, 0, v52
	v_cmp_eq_u64_e64 s7, v[8:9], v[16:17]
	v_mov_b64_e32 v[16:17], v[14:15]
	s_and_saveexec_b32 s43, s7
; %bb.8019:                             ;   in Loop: Header=BB6_6801 Depth=2
	v_bfe_u32 v52, v14, 20, 1
	s_delay_alu instid0(VALU_DEP_1) | instskip(NEXT) | instid1(VALU_DEP_1)
	v_add_nc_u64_e32 v[8:9], v[14:15], v[52:53]
	v_add_nc_u64_e32 v[16:17], -1, v[8:9]
; %bb.8020:                             ;   in Loop: Header=BB6_6801 Depth=2
	s_or_b32 exec_lo, exec_lo, s43
	v_add_nc_u32_e32 v3, 0xffffff81, v5
	v_lshrrev_b32_e32 v5, 23, v14
	s_mov_b32 s7, exec_lo
	s_delay_alu instid0(VALU_DEP_2) | instskip(NEXT) | instid1(VALU_DEP_1)
	v_cndmask_b32_e64 v3, v3, 0xffffff82, vcc_lo
	v_add3_u32 v5, v6, v3, v5
	v_and_b32_e32 v3, 0xfffff, v16
	s_delay_alu instid0(VALU_DEP_1) | instskip(NEXT) | instid1(VALU_DEP_1)
	v_dual_add_nc_u32 v6, 6, v5 :: v_dual_add_nc_u32 v52, v3, v14
                                        ; implicit-def: $vgpr14_vgpr15
                                        ; implicit-def: $vgpr3
	v_cmpx_ne_u32_e32 0, v6
	s_xor_b32 s7, exec_lo, s7
; %bb.8021:                             ;   in Loop: Header=BB6_6801 Depth=2
	s_delay_alu instid0(VALU_DEP_2) | instskip(SKIP_2) | instid1(VALU_DEP_2)
	v_cmp_lt_u64_e32 vcc_lo, 0xffffff, v[52:53]
	v_add_nc_u32_e32 v3, 7, v5
	v_cndmask_b32_e64 v5, 0, 1, vcc_lo
	v_cndmask_b32_e32 v3, v6, v3, vcc_lo
	s_delay_alu instid0(VALU_DEP_2)
	v_lshrrev_b64 v[14:15], v5, v[52:53]
; %bb.8022:                             ;   in Loop: Header=BB6_6801 Depth=2
	s_and_not1_saveexec_b32 s7, s7
; %bb.8023:                             ;   in Loop: Header=BB6_6801 Depth=2
	v_mov_b64_e32 v[14:15], v[52:53]
	v_bfe_u32 v3, v52, 23, 1
; %bb.8024:                             ;   in Loop: Header=BB6_6801 Depth=2
	s_or_b32 exec_lo, exec_lo, s7
	s_delay_alu instid0(VALU_DEP_2) | instskip(NEXT) | instid1(VALU_DEP_2)
	v_lshrrev_b64 v[6:7], 20, v[14:15]
	v_cmp_gt_i32_e32 vcc_lo, 16, v3
	v_min_i32_e32 v5, 15, v3
	v_cmp_eq_u32_e64 s7, 0, v3
	s_delay_alu instid0(VALU_DEP_2) | instskip(SKIP_1) | instid1(VALU_DEP_2)
	v_dual_cndmask_b32 v6, 7, v6 :: v_dual_lshlrev_b32 v5, 3, v5
	v_cndmask_b32_e32 v7, 0, v7, vcc_lo
	v_and_b32_e32 v5, 0xf8, v5
	s_delay_alu instid0(VALU_DEP_2) | instskip(NEXT) | instid1(VALU_DEP_2)
	v_cmp_eq_u64_e32 vcc_lo, 0, v[6:7]
	v_and_or_b32 v3, v6, 7, v5
	s_and_b32 s7, s7, vcc_lo
	s_delay_alu instid0(VALU_DEP_1) | instid1(SALU_CYCLE_1)
	v_cndmask_b32_e64 v3, v3, 0, s7
	s_delay_alu instid0(VALU_DEP_1)
	v_or_b32_e32 v29, v3, v2
.LBB6_8025:                             ;   in Loop: Header=BB6_6801 Depth=2
	s_or_b32 exec_lo, exec_lo, s42
                                        ; implicit-def: $vgpr2
.LBB6_8026:                             ;   in Loop: Header=BB6_6801 Depth=2
	s_and_not1_saveexec_b32 s7, s41
; %bb.8027:                             ;   in Loop: Header=BB6_6801 Depth=2
	v_or_b32_e32 v29, 0x7e, v2
; %bb.8028:                             ;   in Loop: Header=BB6_6801 Depth=2
	s_or_b32 exec_lo, exec_lo, s7
                                        ; implicit-def: $vgpr2
.LBB6_8029:                             ;   in Loop: Header=BB6_6801 Depth=2
	s_and_not1_saveexec_b32 s7, s40
; %bb.8030:                             ;   in Loop: Header=BB6_6801 Depth=2
	v_or_b32_e32 v29, 0x7f, v2
; %bb.8031:                             ;   in Loop: Header=BB6_6801 Depth=2
	s_or_b32 exec_lo, exec_lo, s7
	v_and_b32_e32 v3, 0xff, v11
	v_dual_mov_b32 v52, v11 :: v_dual_mov_b32 v2, 0
	s_mov_b32 s7, exec_lo
	s_delay_alu instid0(VALU_DEP_2)
	v_cmpx_ne_u16_e32 0, v3
	s_cbranch_execz .LBB6_8037
; %bb.8032:                             ;   in Loop: Header=BB6_6801 Depth=2
	v_bfrev_b32_e32 v2, 1
	s_mov_b32 s40, exec_lo
	v_cmpx_ne_u16_e32 0x80, v3
	s_cbranch_execz .LBB6_8036
; %bb.8033:                             ;   in Loop: Header=BB6_6801 Depth=2
	v_and_b32_e32 v3, 0x7f, v11
	v_mov_b32_e32 v2, 0x7f800001
	s_mov_b32 s41, exec_lo
	s_delay_alu instid0(VALU_DEP_2)
	v_cmpx_ne_u32_e32 0x7f, v3
	s_cbranch_execz .LBB6_8035
; %bb.8034:                             ;   in Loop: Header=BB6_6801 Depth=2
	v_and_b32_e32 v2, 7, v11
	v_cmp_gt_u32_e32 vcc_lo, 8, v3
	s_delay_alu instid0(VALU_DEP_2) | instskip(NEXT) | instid1(VALU_DEP_1)
	v_clz_i32_u32_e32 v2, v2
	v_min_u32_e32 v2, 32, v2
	v_lshrrev_b32_e32 v5, 3, v3
	s_delay_alu instid0(VALU_DEP_2) | instskip(SKIP_1) | instid1(VALU_DEP_1)
	v_subrev_nc_u32_e32 v6, 28, v2
	v_sub_nc_u32_e32 v2, 29, v2
	v_cndmask_b32_e32 v5, v5, v2, vcc_lo
	s_delay_alu instid0(VALU_DEP_3) | instskip(NEXT) | instid1(VALU_DEP_1)
	v_cndmask_b32_e32 v2, 0, v6, vcc_lo
	v_lshlrev_b64_e32 v[2:3], v2, v[52:53]
	v_lshlrev_b32_e32 v3, 24, v52
	s_delay_alu instid0(VALU_DEP_1) | instskip(NEXT) | instid1(VALU_DEP_3)
	v_and_b32_e32 v3, 0x80000000, v3
	v_lshlrev_b32_e32 v2, 20, v2
	v_lshl_add_u32 v5, v5, 23, 0x3c000000
	s_delay_alu instid0(VALU_DEP_2) | instskip(NEXT) | instid1(VALU_DEP_1)
	v_and_b32_e32 v2, 0x700000, v2
	v_or3_b32 v2, v2, v3, v5
.LBB6_8035:                             ;   in Loop: Header=BB6_6801 Depth=2
	s_or_b32 exec_lo, exec_lo, s41
.LBB6_8036:                             ;   in Loop: Header=BB6_6801 Depth=2
	s_delay_alu instid0(SALU_CYCLE_1)
	s_or_b32 exec_lo, exec_lo, s40
.LBB6_8037:                             ;   in Loop: Header=BB6_6801 Depth=2
	s_delay_alu instid0(SALU_CYCLE_1) | instskip(NEXT) | instid1(VALU_DEP_1)
	s_or_b32 exec_lo, exec_lo, s7
	v_dual_mul_f32 v3, s29, v2 :: v_dual_mov_b32 v7, v53
                                        ; implicit-def: $vgpr57
	s_mov_b32 s7, exec_lo
	s_delay_alu instid0(VALU_DEP_1) | instskip(SKIP_1) | instid1(VALU_DEP_2)
	v_and_b32_e32 v6, 0x7f800000, v3
	v_lshrrev_b32_e32 v2, 24, v3
	v_cmpx_ne_u64_e32 0x7f800000, v[6:7]
	s_xor_b32 s40, exec_lo, s7
	s_cbranch_execz .LBB6_8051
; %bb.8038:                             ;   in Loop: Header=BB6_6801 Depth=2
	v_and_b32_e32 v6, 0x7fffffff, v3
	v_mov_b32_e32 v7, v53
	v_and_b32_e32 v2, 0x80, v2
                                        ; implicit-def: $vgpr57
	s_mov_b32 s7, exec_lo
	s_delay_alu instid0(VALU_DEP_2)
	v_cmpx_gt_u64_e32 0x43e00001, v[6:7]
	s_xor_b32 s41, exec_lo, s7
	s_cbranch_execz .LBB6_8048
; %bb.8039:                             ;   in Loop: Header=BB6_6801 Depth=2
	v_mov_b32_e32 v57, 0
	s_mov_b32 s42, exec_lo
	v_cmpx_ne_u32_e32 0, v3
	s_cbranch_execz .LBB6_8047
; %bb.8040:                             ;   in Loop: Header=BB6_6801 Depth=2
	v_and_b32_e32 v6, 0x7fffff, v3
	v_bfe_u32 v3, v3, 23, 8
	s_delay_alu instid0(VALU_DEP_2) | instskip(NEXT) | instid1(VALU_DEP_2)
	v_or_b32_e32 v7, 0x800000, v6
	v_cmp_eq_u32_e32 vcc_lo, 0, v3
	v_cmp_gt_u32_e64 s7, 0x7a, v3
	s_delay_alu instid0(VALU_DEP_3) | instskip(NEXT) | instid1(VALU_DEP_1)
	v_dual_cndmask_b32 v6, v7, v6 :: v_dual_sub_nc_u32 v5, 0x79, v3
	v_dual_mov_b32 v7, v53 :: v_dual_cndmask_b32 v5, 0, v5, s7
	s_delay_alu instid0(VALU_DEP_1) | instskip(NEXT) | instid1(VALU_DEP_1)
	v_cndmask_b32_e64 v5, v5, 0x78, vcc_lo
	v_dual_add_nc_u32 v8, 20, v5 :: v_dual_add_nc_u32 v14, 19, v5
	s_delay_alu instid0(VALU_DEP_1) | instskip(NEXT) | instid1(VALU_DEP_2)
	v_lshlrev_b64_e64 v[8:9], v8, -1
	v_lshlrev_b64_e64 v[14:15], v14, 1
	s_delay_alu instid0(VALU_DEP_2) | instskip(NEXT) | instid1(VALU_DEP_3)
	v_bfi_b32 v9, v9, 0, 0
	v_bfi_b32 v8, v8, 0, v6
	s_delay_alu instid0(VALU_DEP_1) | instskip(SKIP_1) | instid1(VALU_DEP_1)
	v_cmp_eq_u64_e64 s7, v[8:9], v[14:15]
	v_lshrrev_b64 v[14:15], v5, v[6:7]
	v_mov_b64_e32 v[16:17], v[14:15]
	s_and_saveexec_b32 s43, s7
; %bb.8041:                             ;   in Loop: Header=BB6_6801 Depth=2
	v_bfe_u32 v6, v14, 20, 1
	v_mov_b32_e32 v7, v53
	s_delay_alu instid0(VALU_DEP_1) | instskip(NEXT) | instid1(VALU_DEP_1)
	v_add_nc_u64_e32 v[6:7], v[14:15], v[6:7]
	v_add_nc_u64_e32 v[16:17], -1, v[6:7]
; %bb.8042:                             ;   in Loop: Header=BB6_6801 Depth=2
	s_or_b32 exec_lo, exec_lo, s43
	v_add_nc_u32_e32 v3, 0xffffff81, v3
	v_lshrrev_b32_e32 v6, 23, v14
	s_mov_b32 s7, exec_lo
	v_mov_b32_e32 v15, v53
	s_delay_alu instid0(VALU_DEP_3) | instskip(NEXT) | instid1(VALU_DEP_1)
	v_cndmask_b32_e64 v3, v3, 0xffffff82, vcc_lo
	v_add3_u32 v5, v5, v3, v6
	v_and_b32_e32 v3, 0xfffff, v16
	s_delay_alu instid0(VALU_DEP_1) | instskip(NEXT) | instid1(VALU_DEP_1)
	v_dual_add_nc_u32 v6, 6, v5 :: v_dual_add_nc_u32 v14, v3, v14
                                        ; implicit-def: $vgpr3
	v_cmpx_ne_u32_e32 0, v6
	s_xor_b32 s7, exec_lo, s7
; %bb.8043:                             ;   in Loop: Header=BB6_6801 Depth=2
	s_delay_alu instid0(VALU_DEP_2) | instskip(SKIP_2) | instid1(VALU_DEP_2)
	v_cmp_lt_u64_e32 vcc_lo, 0xffffff, v[14:15]
	v_add_nc_u32_e32 v3, 7, v5
	v_cndmask_b32_e64 v5, 0, 1, vcc_lo
	v_cndmask_b32_e32 v3, v6, v3, vcc_lo
	s_delay_alu instid0(VALU_DEP_2)
	v_lshrrev_b64 v[14:15], v5, v[14:15]
; %bb.8044:                             ;   in Loop: Header=BB6_6801 Depth=2
	s_and_not1_saveexec_b32 s7, s7
; %bb.8045:                             ;   in Loop: Header=BB6_6801 Depth=2
	s_delay_alu instid0(VALU_DEP_1)
	v_bfe_u32 v3, v14, 23, 1
; %bb.8046:                             ;   in Loop: Header=BB6_6801 Depth=2
	s_or_b32 exec_lo, exec_lo, s7
	s_delay_alu instid0(VALU_DEP_2) | instskip(NEXT) | instid1(VALU_DEP_2)
	v_lshrrev_b64 v[6:7], 20, v[14:15]
	v_cmp_gt_i32_e32 vcc_lo, 16, v3
	v_min_i32_e32 v5, 15, v3
	v_cmp_eq_u32_e64 s7, 0, v3
	s_delay_alu instid0(VALU_DEP_2) | instskip(SKIP_1) | instid1(VALU_DEP_2)
	v_dual_cndmask_b32 v6, 7, v6 :: v_dual_lshlrev_b32 v5, 3, v5
	v_cndmask_b32_e32 v7, 0, v7, vcc_lo
	v_and_b32_e32 v5, 0xf8, v5
	s_delay_alu instid0(VALU_DEP_2) | instskip(NEXT) | instid1(VALU_DEP_2)
	v_cmp_eq_u64_e32 vcc_lo, 0, v[6:7]
	v_and_or_b32 v3, v6, 7, v5
	s_and_b32 s7, s7, vcc_lo
	s_delay_alu instid0(VALU_DEP_1) | instid1(SALU_CYCLE_1)
	v_cndmask_b32_e64 v3, v3, 0, s7
	s_delay_alu instid0(VALU_DEP_1)
	v_or_b32_e32 v57, v3, v2
.LBB6_8047:                             ;   in Loop: Header=BB6_6801 Depth=2
	s_or_b32 exec_lo, exec_lo, s42
                                        ; implicit-def: $vgpr2
.LBB6_8048:                             ;   in Loop: Header=BB6_6801 Depth=2
	s_and_not1_saveexec_b32 s7, s41
; %bb.8049:                             ;   in Loop: Header=BB6_6801 Depth=2
	v_or_b32_e32 v57, 0x7e, v2
; %bb.8050:                             ;   in Loop: Header=BB6_6801 Depth=2
	s_or_b32 exec_lo, exec_lo, s7
                                        ; implicit-def: $vgpr2
.LBB6_8051:                             ;   in Loop: Header=BB6_6801 Depth=2
	s_and_not1_saveexec_b32 s7, s40
; %bb.8052:                             ;   in Loop: Header=BB6_6801 Depth=2
	v_or_b32_e32 v57, 0x7f, v2
; %bb.8053:                             ;   in Loop: Header=BB6_6801 Depth=2
	s_or_b32 exec_lo, exec_lo, s7
	v_lshrrev_b16 v3, 8, v52
	v_mov_b32_e32 v2, 0
	s_mov_b32 s7, exec_lo
	s_delay_alu instid0(VALU_DEP_2)
	v_cmpx_ne_u16_e32 0, v3
	s_cbranch_execz .LBB6_8061
; %bb.8054:                             ;   in Loop: Header=BB6_6801 Depth=2
	v_bfrev_b32_e32 v2, 1
	s_mov_b32 s40, exec_lo
	v_cmpx_ne_u16_e32 0x80, v3
	s_cbranch_execz .LBB6_8060
; %bb.8055:                             ;   in Loop: Header=BB6_6801 Depth=2
	v_and_b32_e32 v5, 0xffff, v3
	v_mov_b32_e32 v2, 0x7f800001
	s_mov_b32 s41, exec_lo
	s_delay_alu instid0(VALU_DEP_2) | instskip(NEXT) | instid1(VALU_DEP_1)
	v_and_b32_e32 v3, 0x7f, v5
	v_cmpx_ne_u32_e32 0x7f, v3
	s_cbranch_execz .LBB6_8059
; %bb.8056:                             ;   in Loop: Header=BB6_6801 Depth=2
	v_dual_mov_b32 v15, v53 :: v_dual_bitop2_b32 v14, 7, v5 bitop3:0x40
	v_lshrrev_b32_e32 v2, 3, v3
	s_mov_b32 s42, exec_lo
	v_cmpx_gt_u32_e32 8, v3
; %bb.8057:                             ;   in Loop: Header=BB6_6801 Depth=2
	s_delay_alu instid0(VALU_DEP_3) | instskip(NEXT) | instid1(VALU_DEP_1)
	v_clz_i32_u32_e32 v2, v14
	v_min_u32_e32 v2, 32, v2
	s_delay_alu instid0(VALU_DEP_1) | instskip(SKIP_1) | instid1(VALU_DEP_2)
	v_subrev_nc_u32_e32 v3, 28, v2
	v_sub_nc_u32_e32 v2, 29, v2
	v_lshlrev_b64_e32 v[6:7], v3, v[14:15]
	s_delay_alu instid0(VALU_DEP_1)
	v_and_b32_e32 v14, 7, v6
; %bb.8058:                             ;   in Loop: Header=BB6_6801 Depth=2
	s_or_b32 exec_lo, exec_lo, s42
	s_delay_alu instid0(VALU_DEP_1) | instskip(SKIP_1) | instid1(VALU_DEP_2)
	v_dual_lshlrev_b32 v3, 16, v52 :: v_dual_lshlrev_b32 v5, 20, v14
	v_lshl_add_u32 v2, v2, 23, 0x3c000000
	v_and_b32_e32 v3, 0x80000000, v3
	s_delay_alu instid0(VALU_DEP_1)
	v_or3_b32 v2, v5, v3, v2
.LBB6_8059:                             ;   in Loop: Header=BB6_6801 Depth=2
	s_or_b32 exec_lo, exec_lo, s41
.LBB6_8060:                             ;   in Loop: Header=BB6_6801 Depth=2
	s_delay_alu instid0(SALU_CYCLE_1)
	s_or_b32 exec_lo, exec_lo, s40
.LBB6_8061:                             ;   in Loop: Header=BB6_6801 Depth=2
	s_delay_alu instid0(SALU_CYCLE_1) | instskip(NEXT) | instid1(VALU_DEP_1)
	s_or_b32 exec_lo, exec_lo, s7
	v_mul_f32_e32 v3, s29, v2
                                        ; implicit-def: $vgpr60
	s_mov_b32 s7, exec_lo
	s_delay_alu instid0(VALU_DEP_1) | instskip(SKIP_1) | instid1(VALU_DEP_2)
	v_and_b32_e32 v52, 0x7f800000, v3
	v_lshrrev_b32_e32 v2, 24, v3
	v_cmpx_ne_u64_e32 0x7f800000, v[52:53]
	s_xor_b32 s40, exec_lo, s7
	s_cbranch_execz .LBB6_8075
; %bb.8062:                             ;   in Loop: Header=BB6_6801 Depth=2
	v_and_b32_e32 v52, 0x7fffffff, v3
	v_and_b32_e32 v2, 0x80, v2
                                        ; implicit-def: $vgpr60
	s_mov_b32 s7, exec_lo
	s_delay_alu instid0(VALU_DEP_2)
	v_cmpx_gt_u64_e32 0x43e00001, v[52:53]
	s_xor_b32 s41, exec_lo, s7
	s_cbranch_execz .LBB6_8072
; %bb.8063:                             ;   in Loop: Header=BB6_6801 Depth=2
	v_mov_b32_e32 v60, 0
	s_mov_b32 s42, exec_lo
	v_cmpx_ne_u32_e32 0, v3
	s_cbranch_execz .LBB6_8071
; %bb.8064:                             ;   in Loop: Header=BB6_6801 Depth=2
	v_and_b32_e32 v6, 0x7fffff, v3
	v_bfe_u32 v3, v3, 23, 8
	s_mov_b32 s43, exec_lo
	s_delay_alu instid0(VALU_DEP_2) | instskip(NEXT) | instid1(VALU_DEP_2)
	v_or_b32_e32 v7, 0x800000, v6
	v_cmp_eq_u32_e32 vcc_lo, 0, v3
	v_cmp_gt_u32_e64 s7, 0x7a, v3
	s_delay_alu instid0(VALU_DEP_3) | instskip(NEXT) | instid1(VALU_DEP_1)
	v_dual_cndmask_b32 v52, v7, v6 :: v_dual_sub_nc_u32 v5, 0x79, v3
	v_cndmask_b32_e64 v5, 0, v5, s7
	s_delay_alu instid0(VALU_DEP_1) | instskip(NEXT) | instid1(VALU_DEP_1)
	v_cndmask_b32_e64 v5, v5, 0x78, vcc_lo
	v_dual_add_nc_u32 v6, 20, v5 :: v_dual_add_nc_u32 v8, 19, v5
	s_delay_alu instid0(VALU_DEP_4) | instskip(NEXT) | instid1(VALU_DEP_2)
	v_lshrrev_b64 v[14:15], v5, v[52:53]
	v_lshlrev_b64_e64 v[6:7], v6, -1
	s_delay_alu instid0(VALU_DEP_3) | instskip(NEXT) | instid1(VALU_DEP_3)
	v_lshlrev_b64_e64 v[8:9], v8, 1
	v_mov_b64_e32 v[16:17], v[14:15]
	s_delay_alu instid0(VALU_DEP_3) | instskip(NEXT) | instid1(VALU_DEP_4)
	v_bfi_b32 v7, v7, 0, 0
	v_bfi_b32 v6, v6, 0, v52
	s_delay_alu instid0(VALU_DEP_1)
	v_cmpx_eq_u64_e64 v[6:7], v[8:9]
; %bb.8065:                             ;   in Loop: Header=BB6_6801 Depth=2
	v_bfe_u32 v52, v14, 20, 1
	s_delay_alu instid0(VALU_DEP_1) | instskip(NEXT) | instid1(VALU_DEP_1)
	v_add_nc_u64_e32 v[6:7], v[14:15], v[52:53]
	v_add_nc_u64_e32 v[16:17], -1, v[6:7]
; %bb.8066:                             ;   in Loop: Header=BB6_6801 Depth=2
	s_or_b32 exec_lo, exec_lo, s43
	v_add_nc_u32_e32 v3, 0xffffff81, v3
	v_lshrrev_b32_e32 v6, 23, v14
	s_mov_b32 s7, exec_lo
	s_delay_alu instid0(VALU_DEP_2) | instskip(NEXT) | instid1(VALU_DEP_1)
	v_cndmask_b32_e64 v3, v3, 0xffffff82, vcc_lo
	v_add3_u32 v5, v5, v3, v6
	v_and_b32_e32 v3, 0xfffff, v16
	s_delay_alu instid0(VALU_DEP_1) | instskip(NEXT) | instid1(VALU_DEP_1)
	v_dual_add_nc_u32 v6, 6, v5 :: v_dual_add_nc_u32 v52, v3, v14
                                        ; implicit-def: $vgpr14_vgpr15
                                        ; implicit-def: $vgpr3
	v_cmpx_ne_u32_e32 0, v6
	s_xor_b32 s7, exec_lo, s7
; %bb.8067:                             ;   in Loop: Header=BB6_6801 Depth=2
	s_delay_alu instid0(VALU_DEP_2) | instskip(SKIP_2) | instid1(VALU_DEP_2)
	v_cmp_lt_u64_e32 vcc_lo, 0xffffff, v[52:53]
	v_add_nc_u32_e32 v3, 7, v5
	v_cndmask_b32_e64 v5, 0, 1, vcc_lo
	v_cndmask_b32_e32 v3, v6, v3, vcc_lo
	s_delay_alu instid0(VALU_DEP_2)
	v_lshrrev_b64 v[14:15], v5, v[52:53]
; %bb.8068:                             ;   in Loop: Header=BB6_6801 Depth=2
	s_and_not1_saveexec_b32 s7, s7
; %bb.8069:                             ;   in Loop: Header=BB6_6801 Depth=2
	v_mov_b64_e32 v[14:15], v[52:53]
	v_bfe_u32 v3, v52, 23, 1
; %bb.8070:                             ;   in Loop: Header=BB6_6801 Depth=2
	s_or_b32 exec_lo, exec_lo, s7
	s_delay_alu instid0(VALU_DEP_2) | instskip(NEXT) | instid1(VALU_DEP_2)
	v_lshrrev_b64 v[6:7], 20, v[14:15]
	v_cmp_gt_i32_e32 vcc_lo, 16, v3
	v_min_i32_e32 v5, 15, v3
	v_cmp_eq_u32_e64 s7, 0, v3
	s_delay_alu instid0(VALU_DEP_2) | instskip(SKIP_1) | instid1(VALU_DEP_2)
	v_dual_cndmask_b32 v6, 7, v6 :: v_dual_lshlrev_b32 v5, 3, v5
	v_cndmask_b32_e32 v7, 0, v7, vcc_lo
	v_and_b32_e32 v5, 0xf8, v5
	s_delay_alu instid0(VALU_DEP_2) | instskip(NEXT) | instid1(VALU_DEP_2)
	v_cmp_eq_u64_e32 vcc_lo, 0, v[6:7]
	v_and_or_b32 v3, v6, 7, v5
	s_and_b32 s7, s7, vcc_lo
	s_delay_alu instid0(VALU_DEP_1) | instid1(SALU_CYCLE_1)
	v_cndmask_b32_e64 v3, v3, 0, s7
	s_delay_alu instid0(VALU_DEP_1)
	v_or_b32_e32 v60, v3, v2
.LBB6_8071:                             ;   in Loop: Header=BB6_6801 Depth=2
	s_or_b32 exec_lo, exec_lo, s42
                                        ; implicit-def: $vgpr2
.LBB6_8072:                             ;   in Loop: Header=BB6_6801 Depth=2
	s_and_not1_saveexec_b32 s7, s41
; %bb.8073:                             ;   in Loop: Header=BB6_6801 Depth=2
	v_or_b32_e32 v60, 0x7e, v2
; %bb.8074:                             ;   in Loop: Header=BB6_6801 Depth=2
	s_or_b32 exec_lo, exec_lo, s7
                                        ; implicit-def: $vgpr2
.LBB6_8075:                             ;   in Loop: Header=BB6_6801 Depth=2
	s_and_not1_saveexec_b32 s7, s40
; %bb.8076:                             ;   in Loop: Header=BB6_6801 Depth=2
	v_or_b32_e32 v60, 0x7f, v2
; %bb.8077:                             ;   in Loop: Header=BB6_6801 Depth=2
	s_or_b32 exec_lo, exec_lo, s7
	v_dual_mov_b32 v3, 0 :: v_dual_lshrrev_b32 v2, 16, v11
	s_mov_b32 s7, exec_lo
	s_delay_alu instid0(VALU_DEP_1) | instskip(NEXT) | instid1(VALU_DEP_1)
	v_and_b32_e32 v5, 0xff, v2
	v_cmpx_ne_u16_e32 0, v5
	s_cbranch_execz .LBB6_8085
; %bb.8078:                             ;   in Loop: Header=BB6_6801 Depth=2
	v_bfrev_b32_e32 v3, 1
	s_mov_b32 s40, exec_lo
	v_cmpx_ne_u16_e32 0x80, v5
	s_cbranch_execz .LBB6_8084
; %bb.8079:                             ;   in Loop: Header=BB6_6801 Depth=2
	v_bfe_u32 v5, v11, 16, 7
	v_mov_b32_e32 v3, 0x7f800001
	s_mov_b32 s41, exec_lo
	s_delay_alu instid0(VALU_DEP_2)
	v_cmpx_ne_u32_e32 0x7f, v5
	s_cbranch_execz .LBB6_8083
; %bb.8080:                             ;   in Loop: Header=BB6_6801 Depth=2
	v_dual_lshrrev_b32 v3, 3, v5 :: v_dual_bitop2_b32 v52, 7, v2 bitop3:0x40
	s_mov_b32 s42, exec_lo
	s_delay_alu instid0(VALU_DEP_1)
	v_mov_b64_e32 v[14:15], v[52:53]
	v_cmpx_gt_u32_e32 8, v5
; %bb.8081:                             ;   in Loop: Header=BB6_6801 Depth=2
	v_clz_i32_u32_e32 v3, v52
	s_delay_alu instid0(VALU_DEP_1) | instskip(NEXT) | instid1(VALU_DEP_1)
	v_min_u32_e32 v3, 32, v3
	v_subrev_nc_u32_e32 v5, 28, v3
	s_delay_alu instid0(VALU_DEP_1) | instskip(NEXT) | instid1(VALU_DEP_1)
	v_lshlrev_b64_e32 v[6:7], v5, v[52:53]
	v_dual_sub_nc_u32 v3, 29, v3 :: v_dual_bitop2_b32 v14, 7, v6 bitop3:0x40
; %bb.8082:                             ;   in Loop: Header=BB6_6801 Depth=2
	s_or_b32 exec_lo, exec_lo, s42
	v_lshlrev_b32_e32 v2, 24, v2
	s_delay_alu instid0(VALU_DEP_2) | instskip(NEXT) | instid1(VALU_DEP_3)
	v_lshlrev_b32_e32 v5, 20, v14
	v_lshl_add_u32 v3, v3, 23, 0x3c000000
	s_delay_alu instid0(VALU_DEP_3) | instskip(NEXT) | instid1(VALU_DEP_1)
	v_and_b32_e32 v2, 0x80000000, v2
	v_or3_b32 v3, v5, v2, v3
.LBB6_8083:                             ;   in Loop: Header=BB6_6801 Depth=2
	s_or_b32 exec_lo, exec_lo, s41
.LBB6_8084:                             ;   in Loop: Header=BB6_6801 Depth=2
	s_delay_alu instid0(SALU_CYCLE_1)
	s_or_b32 exec_lo, exec_lo, s40
.LBB6_8085:                             ;   in Loop: Header=BB6_6801 Depth=2
	s_delay_alu instid0(SALU_CYCLE_1) | instskip(NEXT) | instid1(VALU_DEP_1)
	s_or_b32 exec_lo, exec_lo, s7
	v_mul_f32_e32 v3, s29, v3
                                        ; implicit-def: $vgpr63
	s_mov_b32 s7, exec_lo
	s_delay_alu instid0(VALU_DEP_1) | instskip(SKIP_1) | instid1(VALU_DEP_2)
	v_and_b32_e32 v52, 0x7f800000, v3
	v_lshrrev_b32_e32 v2, 24, v3
	v_cmpx_ne_u64_e32 0x7f800000, v[52:53]
	s_xor_b32 s40, exec_lo, s7
	s_cbranch_execz .LBB6_8099
; %bb.8086:                             ;   in Loop: Header=BB6_6801 Depth=2
	v_and_b32_e32 v52, 0x7fffffff, v3
	v_and_b32_e32 v2, 0x80, v2
                                        ; implicit-def: $vgpr63
	s_mov_b32 s7, exec_lo
	s_delay_alu instid0(VALU_DEP_2)
	v_cmpx_gt_u64_e32 0x43e00001, v[52:53]
	s_xor_b32 s41, exec_lo, s7
	s_cbranch_execz .LBB6_8096
; %bb.8087:                             ;   in Loop: Header=BB6_6801 Depth=2
	v_mov_b32_e32 v63, 0
	s_mov_b32 s42, exec_lo
	v_cmpx_ne_u32_e32 0, v3
	s_cbranch_execz .LBB6_8095
; %bb.8088:                             ;   in Loop: Header=BB6_6801 Depth=2
	v_and_b32_e32 v6, 0x7fffff, v3
	v_bfe_u32 v3, v3, 23, 8
	s_mov_b32 s43, exec_lo
	s_delay_alu instid0(VALU_DEP_2) | instskip(NEXT) | instid1(VALU_DEP_2)
	v_or_b32_e32 v7, 0x800000, v6
	v_cmp_eq_u32_e32 vcc_lo, 0, v3
	v_cmp_gt_u32_e64 s7, 0x7a, v3
	s_delay_alu instid0(VALU_DEP_3) | instskip(NEXT) | instid1(VALU_DEP_1)
	v_dual_cndmask_b32 v52, v7, v6 :: v_dual_sub_nc_u32 v5, 0x79, v3
	v_cndmask_b32_e64 v5, 0, v5, s7
	s_delay_alu instid0(VALU_DEP_1) | instskip(NEXT) | instid1(VALU_DEP_1)
	v_cndmask_b32_e64 v5, v5, 0x78, vcc_lo
	v_dual_add_nc_u32 v6, 20, v5 :: v_dual_add_nc_u32 v8, 19, v5
	s_delay_alu instid0(VALU_DEP_4) | instskip(NEXT) | instid1(VALU_DEP_2)
	v_lshrrev_b64 v[14:15], v5, v[52:53]
	v_lshlrev_b64_e64 v[6:7], v6, -1
	s_delay_alu instid0(VALU_DEP_3) | instskip(NEXT) | instid1(VALU_DEP_3)
	v_lshlrev_b64_e64 v[8:9], v8, 1
	v_mov_b64_e32 v[16:17], v[14:15]
	s_delay_alu instid0(VALU_DEP_3) | instskip(NEXT) | instid1(VALU_DEP_4)
	v_bfi_b32 v7, v7, 0, 0
	v_bfi_b32 v6, v6, 0, v52
	s_delay_alu instid0(VALU_DEP_1)
	v_cmpx_eq_u64_e64 v[6:7], v[8:9]
; %bb.8089:                             ;   in Loop: Header=BB6_6801 Depth=2
	v_bfe_u32 v52, v14, 20, 1
	s_delay_alu instid0(VALU_DEP_1) | instskip(NEXT) | instid1(VALU_DEP_1)
	v_add_nc_u64_e32 v[6:7], v[14:15], v[52:53]
	v_add_nc_u64_e32 v[16:17], -1, v[6:7]
; %bb.8090:                             ;   in Loop: Header=BB6_6801 Depth=2
	s_or_b32 exec_lo, exec_lo, s43
	v_add_nc_u32_e32 v3, 0xffffff81, v3
	v_lshrrev_b32_e32 v6, 23, v14
	s_mov_b32 s7, exec_lo
	s_delay_alu instid0(VALU_DEP_2) | instskip(NEXT) | instid1(VALU_DEP_1)
	v_cndmask_b32_e64 v3, v3, 0xffffff82, vcc_lo
	v_add3_u32 v5, v5, v3, v6
	v_and_b32_e32 v3, 0xfffff, v16
	s_delay_alu instid0(VALU_DEP_1) | instskip(NEXT) | instid1(VALU_DEP_1)
	v_dual_add_nc_u32 v6, 6, v5 :: v_dual_add_nc_u32 v52, v3, v14
                                        ; implicit-def: $vgpr14_vgpr15
                                        ; implicit-def: $vgpr3
	v_cmpx_ne_u32_e32 0, v6
	s_xor_b32 s7, exec_lo, s7
; %bb.8091:                             ;   in Loop: Header=BB6_6801 Depth=2
	s_delay_alu instid0(VALU_DEP_2) | instskip(SKIP_2) | instid1(VALU_DEP_2)
	v_cmp_lt_u64_e32 vcc_lo, 0xffffff, v[52:53]
	v_add_nc_u32_e32 v3, 7, v5
	v_cndmask_b32_e64 v5, 0, 1, vcc_lo
	v_cndmask_b32_e32 v3, v6, v3, vcc_lo
	s_delay_alu instid0(VALU_DEP_2)
	v_lshrrev_b64 v[14:15], v5, v[52:53]
; %bb.8092:                             ;   in Loop: Header=BB6_6801 Depth=2
	s_and_not1_saveexec_b32 s7, s7
; %bb.8093:                             ;   in Loop: Header=BB6_6801 Depth=2
	v_mov_b64_e32 v[14:15], v[52:53]
	v_bfe_u32 v3, v52, 23, 1
; %bb.8094:                             ;   in Loop: Header=BB6_6801 Depth=2
	s_or_b32 exec_lo, exec_lo, s7
	s_delay_alu instid0(VALU_DEP_2) | instskip(NEXT) | instid1(VALU_DEP_2)
	v_lshrrev_b64 v[6:7], 20, v[14:15]
	v_cmp_gt_i32_e32 vcc_lo, 16, v3
	v_min_i32_e32 v5, 15, v3
	v_cmp_eq_u32_e64 s7, 0, v3
	s_delay_alu instid0(VALU_DEP_2) | instskip(SKIP_1) | instid1(VALU_DEP_2)
	v_dual_cndmask_b32 v6, 7, v6 :: v_dual_lshlrev_b32 v5, 3, v5
	v_cndmask_b32_e32 v7, 0, v7, vcc_lo
	v_and_b32_e32 v5, 0xf8, v5
	s_delay_alu instid0(VALU_DEP_2) | instskip(NEXT) | instid1(VALU_DEP_2)
	v_cmp_eq_u64_e32 vcc_lo, 0, v[6:7]
	v_and_or_b32 v3, v6, 7, v5
	s_and_b32 s7, s7, vcc_lo
	s_delay_alu instid0(VALU_DEP_1) | instid1(SALU_CYCLE_1)
	v_cndmask_b32_e64 v3, v3, 0, s7
	s_delay_alu instid0(VALU_DEP_1)
	v_or_b32_e32 v63, v3, v2
.LBB6_8095:                             ;   in Loop: Header=BB6_6801 Depth=2
	s_or_b32 exec_lo, exec_lo, s42
                                        ; implicit-def: $vgpr2
.LBB6_8096:                             ;   in Loop: Header=BB6_6801 Depth=2
	s_and_not1_saveexec_b32 s7, s41
; %bb.8097:                             ;   in Loop: Header=BB6_6801 Depth=2
	v_or_b32_e32 v63, 0x7e, v2
; %bb.8098:                             ;   in Loop: Header=BB6_6801 Depth=2
	s_or_b32 exec_lo, exec_lo, s7
                                        ; implicit-def: $vgpr2
.LBB6_8099:                             ;   in Loop: Header=BB6_6801 Depth=2
	s_and_not1_saveexec_b32 s7, s40
; %bb.8100:                             ;   in Loop: Header=BB6_6801 Depth=2
	v_or_b32_e32 v63, 0x7f, v2
; %bb.8101:                             ;   in Loop: Header=BB6_6801 Depth=2
	s_or_b32 exec_lo, exec_lo, s7
	v_mov_b32_e32 v3, 0
	s_mov_b32 s7, exec_lo
	v_cmpx_lt_u64_e64 s[12:13], v[10:11]
	s_cbranch_execz .LBB6_8109
; %bb.8102:                             ;   in Loop: Header=BB6_6801 Depth=2
	v_lshrrev_b32_e32 v2, 24, v11
	v_bfrev_b32_e32 v3, 1
	s_mov_b32 s40, exec_lo
	s_delay_alu instid0(VALU_DEP_2)
	v_cmpx_ne_u32_e32 0x80, v2
	s_cbranch_execz .LBB6_8108
; %bb.8103:                             ;   in Loop: Header=BB6_6801 Depth=2
	v_bfe_u32 v5, v11, 24, 7
	v_mov_b32_e32 v3, 0x7f800001
	s_mov_b32 s41, exec_lo
	s_delay_alu instid0(VALU_DEP_2)
	v_cmpx_ne_u32_e32 0x7f, v5
	s_cbranch_execz .LBB6_8107
; %bb.8104:                             ;   in Loop: Header=BB6_6801 Depth=2
	v_dual_lshrrev_b32 v3, 3, v5 :: v_dual_bitop2_b32 v52, 7, v2 bitop3:0x40
	s_mov_b32 s42, exec_lo
	s_delay_alu instid0(VALU_DEP_1)
	v_mov_b64_e32 v[10:11], v[52:53]
	v_cmpx_gt_u32_e32 8, v5
; %bb.8105:                             ;   in Loop: Header=BB6_6801 Depth=2
	v_clz_i32_u32_e32 v3, v52
	s_delay_alu instid0(VALU_DEP_1) | instskip(NEXT) | instid1(VALU_DEP_1)
	v_min_u32_e32 v3, 32, v3
	v_subrev_nc_u32_e32 v5, 28, v3
	s_delay_alu instid0(VALU_DEP_1) | instskip(NEXT) | instid1(VALU_DEP_1)
	v_lshlrev_b64_e32 v[6:7], v5, v[52:53]
	v_dual_sub_nc_u32 v3, 29, v3 :: v_dual_bitop2_b32 v10, 7, v6 bitop3:0x40
; %bb.8106:                             ;   in Loop: Header=BB6_6801 Depth=2
	s_or_b32 exec_lo, exec_lo, s42
	v_lshlrev_b32_e32 v2, 24, v2
	s_delay_alu instid0(VALU_DEP_2) | instskip(NEXT) | instid1(VALU_DEP_3)
	v_lshlrev_b32_e32 v5, 20, v10
	v_lshl_add_u32 v3, v3, 23, 0x3c000000
	s_delay_alu instid0(VALU_DEP_3) | instskip(NEXT) | instid1(VALU_DEP_1)
	v_and_b32_e32 v2, 0x80000000, v2
	v_or3_b32 v3, v5, v2, v3
.LBB6_8107:                             ;   in Loop: Header=BB6_6801 Depth=2
	s_or_b32 exec_lo, exec_lo, s41
.LBB6_8108:                             ;   in Loop: Header=BB6_6801 Depth=2
	s_delay_alu instid0(SALU_CYCLE_1)
	s_or_b32 exec_lo, exec_lo, s40
.LBB6_8109:                             ;   in Loop: Header=BB6_6801 Depth=2
	s_delay_alu instid0(SALU_CYCLE_1) | instskip(NEXT) | instid1(VALU_DEP_1)
	s_or_b32 exec_lo, exec_lo, s7
	v_mul_f32_e32 v3, s29, v3
                                        ; implicit-def: $vgpr74
	s_mov_b32 s7, exec_lo
	s_delay_alu instid0(VALU_DEP_1) | instskip(SKIP_1) | instid1(VALU_DEP_2)
	v_and_b32_e32 v52, 0x7f800000, v3
	v_lshrrev_b32_e32 v2, 24, v3
	v_cmpx_ne_u64_e32 0x7f800000, v[52:53]
	s_xor_b32 s40, exec_lo, s7
	s_cbranch_execz .LBB6_8123
; %bb.8110:                             ;   in Loop: Header=BB6_6801 Depth=2
	v_and_b32_e32 v52, 0x7fffffff, v3
	v_and_b32_e32 v2, 0x80, v2
                                        ; implicit-def: $vgpr74
	s_mov_b32 s7, exec_lo
	s_delay_alu instid0(VALU_DEP_2)
	v_cmpx_gt_u64_e32 0x43e00001, v[52:53]
	s_xor_b32 s41, exec_lo, s7
	s_cbranch_execz .LBB6_8120
; %bb.8111:                             ;   in Loop: Header=BB6_6801 Depth=2
	v_mov_b32_e32 v74, 0
	s_mov_b32 s42, exec_lo
	v_cmpx_ne_u32_e32 0, v3
	s_cbranch_execz .LBB6_8119
; %bb.8112:                             ;   in Loop: Header=BB6_6801 Depth=2
	v_and_b32_e32 v6, 0x7fffff, v3
	v_bfe_u32 v3, v3, 23, 8
	s_mov_b32 s43, exec_lo
	s_delay_alu instid0(VALU_DEP_2) | instskip(NEXT) | instid1(VALU_DEP_2)
	v_or_b32_e32 v7, 0x800000, v6
	v_cmp_eq_u32_e32 vcc_lo, 0, v3
	v_cmp_gt_u32_e64 s7, 0x7a, v3
	s_delay_alu instid0(VALU_DEP_3) | instskip(NEXT) | instid1(VALU_DEP_1)
	v_dual_cndmask_b32 v52, v7, v6 :: v_dual_sub_nc_u32 v5, 0x79, v3
	v_cndmask_b32_e64 v5, 0, v5, s7
	s_delay_alu instid0(VALU_DEP_1) | instskip(NEXT) | instid1(VALU_DEP_1)
	v_cndmask_b32_e64 v5, v5, 0x78, vcc_lo
	v_dual_add_nc_u32 v6, 20, v5 :: v_dual_add_nc_u32 v8, 19, v5
	s_delay_alu instid0(VALU_DEP_4) | instskip(NEXT) | instid1(VALU_DEP_2)
	v_lshrrev_b64 v[10:11], v5, v[52:53]
	v_lshlrev_b64_e64 v[6:7], v6, -1
	s_delay_alu instid0(VALU_DEP_3) | instskip(NEXT) | instid1(VALU_DEP_3)
	v_lshlrev_b64_e64 v[8:9], v8, 1
	v_mov_b64_e32 v[14:15], v[10:11]
	s_delay_alu instid0(VALU_DEP_3) | instskip(NEXT) | instid1(VALU_DEP_4)
	v_bfi_b32 v7, v7, 0, 0
	v_bfi_b32 v6, v6, 0, v52
	s_delay_alu instid0(VALU_DEP_1)
	v_cmpx_eq_u64_e64 v[6:7], v[8:9]
; %bb.8113:                             ;   in Loop: Header=BB6_6801 Depth=2
	v_bfe_u32 v52, v10, 20, 1
	s_delay_alu instid0(VALU_DEP_1) | instskip(NEXT) | instid1(VALU_DEP_1)
	v_add_nc_u64_e32 v[6:7], v[10:11], v[52:53]
	v_add_nc_u64_e32 v[14:15], -1, v[6:7]
; %bb.8114:                             ;   in Loop: Header=BB6_6801 Depth=2
	s_or_b32 exec_lo, exec_lo, s43
	v_add_nc_u32_e32 v3, 0xffffff81, v3
	v_lshrrev_b32_e32 v6, 23, v10
	s_mov_b32 s7, exec_lo
	s_delay_alu instid0(VALU_DEP_2) | instskip(NEXT) | instid1(VALU_DEP_1)
	v_cndmask_b32_e64 v3, v3, 0xffffff82, vcc_lo
	v_add3_u32 v5, v5, v3, v6
	v_and_b32_e32 v3, 0xfffff, v14
	s_delay_alu instid0(VALU_DEP_1) | instskip(NEXT) | instid1(VALU_DEP_1)
	v_dual_add_nc_u32 v6, 6, v5 :: v_dual_add_nc_u32 v52, v3, v10
                                        ; implicit-def: $vgpr10_vgpr11
                                        ; implicit-def: $vgpr3
	v_cmpx_ne_u32_e32 0, v6
	s_xor_b32 s7, exec_lo, s7
; %bb.8115:                             ;   in Loop: Header=BB6_6801 Depth=2
	s_delay_alu instid0(VALU_DEP_2) | instskip(SKIP_2) | instid1(VALU_DEP_2)
	v_cmp_lt_u64_e32 vcc_lo, 0xffffff, v[52:53]
	v_add_nc_u32_e32 v3, 7, v5
	v_cndmask_b32_e64 v5, 0, 1, vcc_lo
	v_cndmask_b32_e32 v3, v6, v3, vcc_lo
	s_delay_alu instid0(VALU_DEP_2)
	v_lshrrev_b64 v[10:11], v5, v[52:53]
; %bb.8116:                             ;   in Loop: Header=BB6_6801 Depth=2
	s_and_not1_saveexec_b32 s7, s7
; %bb.8117:                             ;   in Loop: Header=BB6_6801 Depth=2
	v_mov_b64_e32 v[10:11], v[52:53]
	v_bfe_u32 v3, v52, 23, 1
; %bb.8118:                             ;   in Loop: Header=BB6_6801 Depth=2
	s_or_b32 exec_lo, exec_lo, s7
	s_delay_alu instid0(VALU_DEP_2) | instskip(NEXT) | instid1(VALU_DEP_2)
	v_lshrrev_b64 v[6:7], 20, v[10:11]
	v_cmp_gt_i32_e32 vcc_lo, 16, v3
	v_min_i32_e32 v5, 15, v3
	v_cmp_eq_u32_e64 s7, 0, v3
	s_delay_alu instid0(VALU_DEP_2) | instskip(SKIP_1) | instid1(VALU_DEP_2)
	v_dual_cndmask_b32 v6, 7, v6 :: v_dual_lshlrev_b32 v5, 3, v5
	v_cndmask_b32_e32 v7, 0, v7, vcc_lo
	v_and_b32_e32 v5, 0xf8, v5
	s_delay_alu instid0(VALU_DEP_2) | instskip(NEXT) | instid1(VALU_DEP_2)
	v_cmp_eq_u64_e32 vcc_lo, 0, v[6:7]
	v_and_or_b32 v3, v6, 7, v5
	s_and_b32 s7, s7, vcc_lo
	s_delay_alu instid0(VALU_DEP_1) | instid1(SALU_CYCLE_1)
	v_cndmask_b32_e64 v3, v3, 0, s7
	s_delay_alu instid0(VALU_DEP_1)
	v_or_b32_e32 v74, v3, v2
.LBB6_8119:                             ;   in Loop: Header=BB6_6801 Depth=2
	s_or_b32 exec_lo, exec_lo, s42
                                        ; implicit-def: $vgpr2
.LBB6_8120:                             ;   in Loop: Header=BB6_6801 Depth=2
	s_and_not1_saveexec_b32 s7, s41
; %bb.8121:                             ;   in Loop: Header=BB6_6801 Depth=2
	v_or_b32_e32 v74, 0x7e, v2
; %bb.8122:                             ;   in Loop: Header=BB6_6801 Depth=2
	s_or_b32 exec_lo, exec_lo, s7
                                        ; implicit-def: $vgpr2
.LBB6_8123:                             ;   in Loop: Header=BB6_6801 Depth=2
	s_and_not1_saveexec_b32 s7, s40
; %bb.8124:                             ;   in Loop: Header=BB6_6801 Depth=2
	v_or_b32_e32 v74, 0x7f, v2
; %bb.8125:                             ;   in Loop: Header=BB6_6801 Depth=2
	s_or_b32 exec_lo, exec_lo, s7
	v_and_b32_e32 v3, 0xff, v12
	v_mov_b32_e32 v2, 0
	s_mov_b32 s7, exec_lo
	s_delay_alu instid0(VALU_DEP_2)
	v_cmpx_ne_u16_e32 0, v3
	s_cbranch_execz .LBB6_8131
; %bb.8126:                             ;   in Loop: Header=BB6_6801 Depth=2
	v_bfrev_b32_e32 v2, 1
	s_mov_b32 s40, exec_lo
	v_cmpx_ne_u16_e32 0x80, v3
	s_cbranch_execz .LBB6_8130
; %bb.8127:                             ;   in Loop: Header=BB6_6801 Depth=2
	v_and_b32_e32 v3, 0x7f, v12
	v_mov_b32_e32 v2, 0x7f800001
	s_mov_b32 s41, exec_lo
	s_delay_alu instid0(VALU_DEP_2)
	v_cmpx_ne_u32_e32 0x7f, v3
	s_cbranch_execz .LBB6_8129
; %bb.8128:                             ;   in Loop: Header=BB6_6801 Depth=2
	v_dual_lshrrev_b32 v5, 3, v3 :: v_dual_bitop2_b32 v2, 7, v12 bitop3:0x40
	v_cmp_gt_u32_e32 vcc_lo, 8, v3
	s_delay_alu instid0(VALU_DEP_2) | instskip(NEXT) | instid1(VALU_DEP_1)
	v_clz_i32_u32_e32 v2, v2
	v_min_u32_e32 v2, 32, v2
	s_delay_alu instid0(VALU_DEP_1) | instskip(SKIP_1) | instid1(VALU_DEP_1)
	v_subrev_nc_u32_e32 v6, 28, v2
	v_sub_nc_u32_e32 v2, 29, v2
	v_cndmask_b32_e32 v5, v5, v2, vcc_lo
	s_delay_alu instid0(VALU_DEP_3) | instskip(NEXT) | instid1(VALU_DEP_1)
	v_cndmask_b32_e32 v2, 0, v6, vcc_lo
	v_lshlrev_b64_e32 v[2:3], v2, v[12:13]
	v_lshlrev_b32_e32 v3, 24, v12
	s_delay_alu instid0(VALU_DEP_1) | instskip(NEXT) | instid1(VALU_DEP_3)
	v_and_b32_e32 v3, 0x80000000, v3
	v_lshlrev_b32_e32 v2, 20, v2
	v_lshl_add_u32 v5, v5, 23, 0x3c000000
	s_delay_alu instid0(VALU_DEP_2) | instskip(NEXT) | instid1(VALU_DEP_1)
	v_and_b32_e32 v2, 0x700000, v2
	v_or3_b32 v2, v2, v3, v5
.LBB6_8129:                             ;   in Loop: Header=BB6_6801 Depth=2
	s_or_b32 exec_lo, exec_lo, s41
.LBB6_8130:                             ;   in Loop: Header=BB6_6801 Depth=2
	s_delay_alu instid0(SALU_CYCLE_1)
	s_or_b32 exec_lo, exec_lo, s40
.LBB6_8131:                             ;   in Loop: Header=BB6_6801 Depth=2
	s_delay_alu instid0(SALU_CYCLE_1) | instskip(NEXT) | instid1(VALU_DEP_1)
	s_or_b32 exec_lo, exec_lo, s7
	v_mul_f32_e32 v5, s29, v2
                                        ; implicit-def: $vgpr2
	s_mov_b32 s7, exec_lo
	s_delay_alu instid0(VALU_DEP_1) | instskip(SKIP_1) | instid1(VALU_DEP_2)
	v_and_b32_e32 v52, 0x7f800000, v5
	v_lshrrev_b32_e32 v3, 24, v5
	v_cmpx_ne_u64_e32 0x7f800000, v[52:53]
	s_xor_b32 s40, exec_lo, s7
	s_cbranch_execz .LBB6_8145
; %bb.8132:                             ;   in Loop: Header=BB6_6801 Depth=2
	v_and_b32_e32 v52, 0x7fffffff, v5
	v_and_b32_e32 v3, 0x80, v3
                                        ; implicit-def: $vgpr2
	s_mov_b32 s7, exec_lo
	s_delay_alu instid0(VALU_DEP_2)
	v_cmpx_gt_u64_e32 0x43e00001, v[52:53]
	s_xor_b32 s41, exec_lo, s7
	s_cbranch_execz .LBB6_8142
; %bb.8133:                             ;   in Loop: Header=BB6_6801 Depth=2
	v_mov_b32_e32 v2, 0
	s_mov_b32 s42, exec_lo
	v_cmpx_ne_u32_e32 0, v5
	s_cbranch_execz .LBB6_8141
; %bb.8134:                             ;   in Loop: Header=BB6_6801 Depth=2
	v_bfe_u32 v2, v5, 23, 8
	v_and_b32_e32 v6, 0x7fffff, v5
	s_mov_b32 s43, exec_lo
	s_delay_alu instid0(VALU_DEP_2) | instskip(SKIP_3) | instid1(VALU_DEP_1)
	v_cmp_gt_u32_e64 s7, 0x7a, v2
	v_sub_nc_u32_e32 v5, 0x79, v2
	v_cmp_eq_u32_e32 vcc_lo, 0, v2
	v_or_b32_e32 v7, 0x800000, v6
	v_dual_cndmask_b32 v5, 0, v5, s7 :: v_dual_cndmask_b32 v52, v7, v6, vcc_lo
	s_delay_alu instid0(VALU_DEP_1) | instskip(NEXT) | instid1(VALU_DEP_1)
	v_cndmask_b32_e64 v5, v5, 0x78, vcc_lo
	v_dual_add_nc_u32 v6, 20, v5 :: v_dual_add_nc_u32 v8, 19, v5
	s_delay_alu instid0(VALU_DEP_3) | instskip(NEXT) | instid1(VALU_DEP_2)
	v_lshrrev_b64 v[10:11], v5, v[52:53]
	v_lshlrev_b64_e64 v[6:7], v6, -1
	s_delay_alu instid0(VALU_DEP_3) | instskip(NEXT) | instid1(VALU_DEP_3)
	v_lshlrev_b64_e64 v[8:9], v8, 1
	v_mov_b64_e32 v[14:15], v[10:11]
	s_delay_alu instid0(VALU_DEP_3) | instskip(NEXT) | instid1(VALU_DEP_4)
	v_bfi_b32 v7, v7, 0, 0
	v_bfi_b32 v6, v6, 0, v52
	s_delay_alu instid0(VALU_DEP_1)
	v_cmpx_eq_u64_e64 v[6:7], v[8:9]
; %bb.8135:                             ;   in Loop: Header=BB6_6801 Depth=2
	v_bfe_u32 v52, v10, 20, 1
	s_delay_alu instid0(VALU_DEP_1) | instskip(NEXT) | instid1(VALU_DEP_1)
	v_add_nc_u64_e32 v[6:7], v[10:11], v[52:53]
	v_add_nc_u64_e32 v[14:15], -1, v[6:7]
; %bb.8136:                             ;   in Loop: Header=BB6_6801 Depth=2
	s_or_b32 exec_lo, exec_lo, s43
	v_add_nc_u32_e32 v2, 0xffffff81, v2
	v_lshrrev_b32_e32 v6, 23, v10
	s_mov_b32 s7, exec_lo
	s_delay_alu instid0(VALU_DEP_2) | instskip(NEXT) | instid1(VALU_DEP_1)
	v_cndmask_b32_e64 v2, v2, 0xffffff82, vcc_lo
	v_add3_u32 v5, v5, v2, v6
	v_and_b32_e32 v2, 0xfffff, v14
	s_delay_alu instid0(VALU_DEP_1) | instskip(NEXT) | instid1(VALU_DEP_1)
	v_dual_add_nc_u32 v6, 6, v5 :: v_dual_add_nc_u32 v52, v2, v10
                                        ; implicit-def: $vgpr10_vgpr11
                                        ; implicit-def: $vgpr2
	v_cmpx_ne_u32_e32 0, v6
	s_xor_b32 s7, exec_lo, s7
; %bb.8137:                             ;   in Loop: Header=BB6_6801 Depth=2
	s_delay_alu instid0(VALU_DEP_2) | instskip(SKIP_2) | instid1(VALU_DEP_2)
	v_cmp_lt_u64_e32 vcc_lo, 0xffffff, v[52:53]
	v_add_nc_u32_e32 v2, 7, v5
	v_cndmask_b32_e64 v5, 0, 1, vcc_lo
	v_cndmask_b32_e32 v2, v6, v2, vcc_lo
	s_delay_alu instid0(VALU_DEP_2)
	v_lshrrev_b64 v[10:11], v5, v[52:53]
; %bb.8138:                             ;   in Loop: Header=BB6_6801 Depth=2
	s_and_not1_saveexec_b32 s7, s7
; %bb.8139:                             ;   in Loop: Header=BB6_6801 Depth=2
	v_mov_b64_e32 v[10:11], v[52:53]
	v_bfe_u32 v2, v52, 23, 1
; %bb.8140:                             ;   in Loop: Header=BB6_6801 Depth=2
	s_or_b32 exec_lo, exec_lo, s7
	s_delay_alu instid0(VALU_DEP_2) | instskip(NEXT) | instid1(VALU_DEP_2)
	v_lshrrev_b64 v[6:7], 20, v[10:11]
	v_cmp_gt_i32_e32 vcc_lo, 16, v2
	v_min_i32_e32 v5, 15, v2
	v_cmp_eq_u32_e64 s7, 0, v2
	s_delay_alu instid0(VALU_DEP_2) | instskip(SKIP_1) | instid1(VALU_DEP_2)
	v_dual_cndmask_b32 v7, 0, v7, vcc_lo :: v_dual_lshlrev_b32 v5, 3, v5
	v_cndmask_b32_e32 v6, 7, v6, vcc_lo
	v_and_b32_e32 v5, 0xf8, v5
	s_delay_alu instid0(VALU_DEP_2) | instskip(NEXT) | instid1(VALU_DEP_2)
	v_cmp_eq_u64_e32 vcc_lo, 0, v[6:7]
	v_and_or_b32 v2, v6, 7, v5
	s_and_b32 s7, s7, vcc_lo
	s_delay_alu instid0(VALU_DEP_1) | instid1(SALU_CYCLE_1)
	v_cndmask_b32_e64 v2, v2, 0, s7
	s_delay_alu instid0(VALU_DEP_1)
	v_or_b32_e32 v2, v2, v3
.LBB6_8141:                             ;   in Loop: Header=BB6_6801 Depth=2
	s_or_b32 exec_lo, exec_lo, s42
                                        ; implicit-def: $vgpr3
.LBB6_8142:                             ;   in Loop: Header=BB6_6801 Depth=2
	s_and_not1_saveexec_b32 s7, s41
; %bb.8143:                             ;   in Loop: Header=BB6_6801 Depth=2
	v_or_b32_e32 v2, 0x7e, v3
; %bb.8144:                             ;   in Loop: Header=BB6_6801 Depth=2
	s_or_b32 exec_lo, exec_lo, s7
                                        ; implicit-def: $vgpr3
.LBB6_8145:                             ;   in Loop: Header=BB6_6801 Depth=2
	s_and_not1_saveexec_b32 s7, s40
; %bb.8146:                             ;   in Loop: Header=BB6_6801 Depth=2
	v_or_b32_e32 v2, 0x7f, v3
; %bb.8147:                             ;   in Loop: Header=BB6_6801 Depth=2
	s_or_b32 exec_lo, exec_lo, s7
	v_lshrrev_b16 v5, 8, v12
	v_mov_b32_e32 v3, 0
	s_mov_b32 s7, exec_lo
	s_delay_alu instid0(VALU_DEP_2)
	v_cmpx_ne_u16_e32 0, v5
	s_cbranch_execz .LBB6_8155
; %bb.8148:                             ;   in Loop: Header=BB6_6801 Depth=2
	v_bfrev_b32_e32 v3, 1
	s_mov_b32 s40, exec_lo
	v_cmpx_ne_u16_e32 0x80, v5
	s_cbranch_execz .LBB6_8154
; %bb.8149:                             ;   in Loop: Header=BB6_6801 Depth=2
	v_and_b32_e32 v6, 0xffff, v5
	v_mov_b32_e32 v3, 0x7f800001
	s_mov_b32 s41, exec_lo
	s_delay_alu instid0(VALU_DEP_2) | instskip(NEXT) | instid1(VALU_DEP_1)
	v_and_b32_e32 v5, 0x7f, v6
	v_cmpx_ne_u32_e32 0x7f, v5
	s_cbranch_execz .LBB6_8153
; %bb.8150:                             ;   in Loop: Header=BB6_6801 Depth=2
	v_dual_lshrrev_b32 v3, 3, v5 :: v_dual_bitop2_b32 v52, 7, v6 bitop3:0x40
	s_mov_b32 s42, exec_lo
	s_delay_alu instid0(VALU_DEP_1)
	v_mov_b64_e32 v[10:11], v[52:53]
	v_cmpx_gt_u32_e32 8, v5
; %bb.8151:                             ;   in Loop: Header=BB6_6801 Depth=2
	v_clz_i32_u32_e32 v3, v52
	s_delay_alu instid0(VALU_DEP_1) | instskip(NEXT) | instid1(VALU_DEP_1)
	v_min_u32_e32 v3, 32, v3
	v_subrev_nc_u32_e32 v5, 28, v3
	s_delay_alu instid0(VALU_DEP_1) | instskip(NEXT) | instid1(VALU_DEP_1)
	v_lshlrev_b64_e32 v[6:7], v5, v[52:53]
	v_dual_sub_nc_u32 v3, 29, v3 :: v_dual_bitop2_b32 v10, 7, v6 bitop3:0x40
; %bb.8152:                             ;   in Loop: Header=BB6_6801 Depth=2
	s_or_b32 exec_lo, exec_lo, s42
	s_delay_alu instid0(VALU_DEP_1) | instskip(NEXT) | instid1(VALU_DEP_2)
	v_dual_lshlrev_b32 v5, 16, v12 :: v_dual_lshlrev_b32 v6, 20, v10
	v_lshl_add_u32 v3, v3, 23, 0x3c000000
	s_delay_alu instid0(VALU_DEP_2) | instskip(NEXT) | instid1(VALU_DEP_1)
	v_and_b32_e32 v5, 0x80000000, v5
	v_or3_b32 v3, v6, v5, v3
.LBB6_8153:                             ;   in Loop: Header=BB6_6801 Depth=2
	s_or_b32 exec_lo, exec_lo, s41
.LBB6_8154:                             ;   in Loop: Header=BB6_6801 Depth=2
	s_delay_alu instid0(SALU_CYCLE_1)
	s_or_b32 exec_lo, exec_lo, s40
.LBB6_8155:                             ;   in Loop: Header=BB6_6801 Depth=2
	s_delay_alu instid0(SALU_CYCLE_1) | instskip(NEXT) | instid1(VALU_DEP_1)
	s_or_b32 exec_lo, exec_lo, s7
	v_mul_f32_e32 v5, s29, v3
                                        ; implicit-def: $vgpr56
	s_mov_b32 s7, exec_lo
	s_delay_alu instid0(VALU_DEP_1) | instskip(SKIP_1) | instid1(VALU_DEP_2)
	v_and_b32_e32 v52, 0x7f800000, v5
	v_lshrrev_b32_e32 v3, 24, v5
	v_cmpx_ne_u64_e32 0x7f800000, v[52:53]
	s_xor_b32 s40, exec_lo, s7
	s_cbranch_execz .LBB6_8169
; %bb.8156:                             ;   in Loop: Header=BB6_6801 Depth=2
	v_and_b32_e32 v52, 0x7fffffff, v5
	v_and_b32_e32 v3, 0x80, v3
                                        ; implicit-def: $vgpr56
	s_mov_b32 s7, exec_lo
	s_delay_alu instid0(VALU_DEP_2)
	v_cmpx_gt_u64_e32 0x43e00001, v[52:53]
	s_xor_b32 s41, exec_lo, s7
	s_cbranch_execz .LBB6_8166
; %bb.8157:                             ;   in Loop: Header=BB6_6801 Depth=2
	v_mov_b32_e32 v56, 0
	s_mov_b32 s42, exec_lo
	v_cmpx_ne_u32_e32 0, v5
	s_cbranch_execz .LBB6_8165
; %bb.8158:                             ;   in Loop: Header=BB6_6801 Depth=2
	v_and_b32_e32 v7, 0x7fffff, v5
	v_bfe_u32 v5, v5, 23, 8
	s_delay_alu instid0(VALU_DEP_2) | instskip(NEXT) | instid1(VALU_DEP_2)
	v_or_b32_e32 v8, 0x800000, v7
	v_cmp_gt_u32_e64 s7, 0x7a, v5
	v_sub_nc_u32_e32 v6, 0x79, v5
	v_cmp_eq_u32_e32 vcc_lo, 0, v5
	s_delay_alu instid0(VALU_DEP_2) | instskip(NEXT) | instid1(VALU_DEP_1)
	v_dual_cndmask_b32 v6, 0, v6, s7 :: v_dual_cndmask_b32 v52, v8, v7, vcc_lo
	v_cndmask_b32_e64 v6, v6, 0x78, vcc_lo
	s_delay_alu instid0(VALU_DEP_1) | instskip(NEXT) | instid1(VALU_DEP_1)
	v_add_nc_u32_e32 v7, 20, v6
	v_lshlrev_b64_e64 v[8:9], v7, -1
	v_add_nc_u32_e32 v7, 19, v6
	s_delay_alu instid0(VALU_DEP_1) | instskip(NEXT) | instid1(VALU_DEP_3)
	v_lshlrev_b64_e64 v[10:11], v7, 1
	v_bfi_b32 v9, v9, 0, 0
	s_delay_alu instid0(VALU_DEP_4) | instskip(NEXT) | instid1(VALU_DEP_1)
	v_bfi_b32 v8, v8, 0, v52
	v_cmp_eq_u64_e64 s7, v[8:9], v[10:11]
	v_lshrrev_b64 v[10:11], v6, v[52:53]
	s_delay_alu instid0(VALU_DEP_1)
	v_mov_b64_e32 v[14:15], v[10:11]
	s_and_saveexec_b32 s43, s7
; %bb.8159:                             ;   in Loop: Header=BB6_6801 Depth=2
	v_bfe_u32 v52, v10, 20, 1
	s_delay_alu instid0(VALU_DEP_1) | instskip(NEXT) | instid1(VALU_DEP_1)
	v_add_nc_u64_e32 v[8:9], v[10:11], v[52:53]
	v_add_nc_u64_e32 v[14:15], -1, v[8:9]
; %bb.8160:                             ;   in Loop: Header=BB6_6801 Depth=2
	s_or_b32 exec_lo, exec_lo, s43
	v_add_nc_u32_e32 v5, 0xffffff81, v5
	v_lshrrev_b32_e32 v7, 23, v10
	s_mov_b32 s7, exec_lo
	s_delay_alu instid0(VALU_DEP_2) | instskip(NEXT) | instid1(VALU_DEP_1)
	v_cndmask_b32_e64 v5, v5, 0xffffff82, vcc_lo
	v_add3_u32 v6, v6, v5, v7
	v_and_b32_e32 v5, 0xfffff, v14
	s_delay_alu instid0(VALU_DEP_2) | instskip(NEXT) | instid1(VALU_DEP_2)
	v_add_nc_u32_e32 v7, 6, v6
	v_add_nc_u32_e32 v52, v5, v10
                                        ; implicit-def: $vgpr10_vgpr11
                                        ; implicit-def: $vgpr5
	s_delay_alu instid0(VALU_DEP_2)
	v_cmpx_ne_u32_e32 0, v7
	s_xor_b32 s7, exec_lo, s7
; %bb.8161:                             ;   in Loop: Header=BB6_6801 Depth=2
	s_delay_alu instid0(VALU_DEP_2) | instskip(SKIP_2) | instid1(VALU_DEP_2)
	v_cmp_lt_u64_e32 vcc_lo, 0xffffff, v[52:53]
	v_add_nc_u32_e32 v5, 7, v6
	v_cndmask_b32_e64 v6, 0, 1, vcc_lo
	v_cndmask_b32_e32 v5, v7, v5, vcc_lo
	s_delay_alu instid0(VALU_DEP_2)
	v_lshrrev_b64 v[10:11], v6, v[52:53]
; %bb.8162:                             ;   in Loop: Header=BB6_6801 Depth=2
	s_and_not1_saveexec_b32 s7, s7
; %bb.8163:                             ;   in Loop: Header=BB6_6801 Depth=2
	v_mov_b64_e32 v[10:11], v[52:53]
	v_bfe_u32 v5, v52, 23, 1
; %bb.8164:                             ;   in Loop: Header=BB6_6801 Depth=2
	s_or_b32 exec_lo, exec_lo, s7
	s_delay_alu instid0(VALU_DEP_2) | instskip(NEXT) | instid1(VALU_DEP_2)
	v_lshrrev_b64 v[6:7], 20, v[10:11]
	v_cmp_gt_i32_e32 vcc_lo, 16, v5
	v_min_i32_e32 v8, 15, v5
	v_cmp_eq_u32_e64 s7, 0, v5
	s_delay_alu instid0(VALU_DEP_2) | instskip(SKIP_1) | instid1(VALU_DEP_2)
	v_dual_cndmask_b32 v7, 0, v7 :: v_dual_lshlrev_b32 v8, 3, v8
	v_cndmask_b32_e32 v6, 7, v6, vcc_lo
	v_and_b32_e32 v8, 0xf8, v8
	s_delay_alu instid0(VALU_DEP_2) | instskip(NEXT) | instid1(VALU_DEP_2)
	v_cmp_eq_u64_e32 vcc_lo, 0, v[6:7]
	v_and_or_b32 v5, v6, 7, v8
	s_and_b32 s7, s7, vcc_lo
	s_delay_alu instid0(VALU_DEP_1) | instid1(SALU_CYCLE_1)
	v_cndmask_b32_e64 v5, v5, 0, s7
	s_delay_alu instid0(VALU_DEP_1)
	v_or_b32_e32 v56, v5, v3
.LBB6_8165:                             ;   in Loop: Header=BB6_6801 Depth=2
	s_or_b32 exec_lo, exec_lo, s42
                                        ; implicit-def: $vgpr3
.LBB6_8166:                             ;   in Loop: Header=BB6_6801 Depth=2
	s_and_not1_saveexec_b32 s7, s41
; %bb.8167:                             ;   in Loop: Header=BB6_6801 Depth=2
	v_or_b32_e32 v56, 0x7e, v3
; %bb.8168:                             ;   in Loop: Header=BB6_6801 Depth=2
	s_or_b32 exec_lo, exec_lo, s7
                                        ; implicit-def: $vgpr3
.LBB6_8169:                             ;   in Loop: Header=BB6_6801 Depth=2
	s_and_not1_saveexec_b32 s7, s40
; %bb.8170:                             ;   in Loop: Header=BB6_6801 Depth=2
	v_or_b32_e32 v56, 0x7f, v3
; %bb.8171:                             ;   in Loop: Header=BB6_6801 Depth=2
	s_or_b32 exec_lo, exec_lo, s7
	v_dual_lshrrev_b32 v3, 16, v12 :: v_dual_mov_b32 v5, 0
	s_mov_b32 s7, exec_lo
	s_delay_alu instid0(VALU_DEP_1) | instskip(NEXT) | instid1(VALU_DEP_1)
	v_and_b32_e32 v6, 0xff, v3
	v_cmpx_ne_u16_e32 0, v6
	s_cbranch_execz .LBB6_8179
; %bb.8172:                             ;   in Loop: Header=BB6_6801 Depth=2
	v_bfrev_b32_e32 v5, 1
	s_mov_b32 s40, exec_lo
	v_cmpx_ne_u16_e32 0x80, v6
	s_cbranch_execz .LBB6_8178
; %bb.8173:                             ;   in Loop: Header=BB6_6801 Depth=2
	v_bfe_u32 v6, v12, 16, 7
	v_mov_b32_e32 v5, 0x7f800001
	s_mov_b32 s41, exec_lo
	s_delay_alu instid0(VALU_DEP_2)
	v_cmpx_ne_u32_e32 0x7f, v6
	s_cbranch_execz .LBB6_8177
; %bb.8174:                             ;   in Loop: Header=BB6_6801 Depth=2
	v_dual_lshrrev_b32 v5, 3, v6 :: v_dual_bitop2_b32 v52, 7, v3 bitop3:0x40
	s_mov_b32 s42, exec_lo
	s_delay_alu instid0(VALU_DEP_1)
	v_mov_b64_e32 v[10:11], v[52:53]
	v_cmpx_gt_u32_e32 8, v6
; %bb.8175:                             ;   in Loop: Header=BB6_6801 Depth=2
	v_clz_i32_u32_e32 v5, v52
	s_delay_alu instid0(VALU_DEP_1) | instskip(NEXT) | instid1(VALU_DEP_1)
	v_min_u32_e32 v5, 32, v5
	v_subrev_nc_u32_e32 v6, 28, v5
	s_delay_alu instid0(VALU_DEP_1) | instskip(NEXT) | instid1(VALU_DEP_1)
	v_lshlrev_b64_e32 v[6:7], v6, v[52:53]
	v_dual_sub_nc_u32 v5, 29, v5 :: v_dual_bitop2_b32 v10, 7, v6 bitop3:0x40
; %bb.8176:                             ;   in Loop: Header=BB6_6801 Depth=2
	s_or_b32 exec_lo, exec_lo, s42
	s_delay_alu instid0(VALU_DEP_1) | instskip(NEXT) | instid1(VALU_DEP_2)
	v_dual_lshlrev_b32 v3, 24, v3 :: v_dual_lshlrev_b32 v6, 20, v10
	v_lshl_add_u32 v5, v5, 23, 0x3c000000
	s_delay_alu instid0(VALU_DEP_2) | instskip(NEXT) | instid1(VALU_DEP_1)
	v_and_b32_e32 v3, 0x80000000, v3
	v_or3_b32 v5, v6, v3, v5
.LBB6_8177:                             ;   in Loop: Header=BB6_6801 Depth=2
	s_or_b32 exec_lo, exec_lo, s41
.LBB6_8178:                             ;   in Loop: Header=BB6_6801 Depth=2
	s_delay_alu instid0(SALU_CYCLE_1)
	s_or_b32 exec_lo, exec_lo, s40
.LBB6_8179:                             ;   in Loop: Header=BB6_6801 Depth=2
	s_delay_alu instid0(SALU_CYCLE_1) | instskip(NEXT) | instid1(VALU_DEP_1)
	s_or_b32 exec_lo, exec_lo, s7
	v_mul_f32_e32 v5, s29, v5
                                        ; implicit-def: $vgpr59
	s_mov_b32 s7, exec_lo
	s_delay_alu instid0(VALU_DEP_1) | instskip(SKIP_1) | instid1(VALU_DEP_2)
	v_and_b32_e32 v52, 0x7f800000, v5
	v_lshrrev_b32_e32 v3, 24, v5
	v_cmpx_ne_u64_e32 0x7f800000, v[52:53]
	s_xor_b32 s40, exec_lo, s7
	s_cbranch_execz .LBB6_8193
; %bb.8180:                             ;   in Loop: Header=BB6_6801 Depth=2
	v_and_b32_e32 v52, 0x7fffffff, v5
	v_and_b32_e32 v3, 0x80, v3
                                        ; implicit-def: $vgpr59
	s_mov_b32 s7, exec_lo
	s_delay_alu instid0(VALU_DEP_2)
	v_cmpx_gt_u64_e32 0x43e00001, v[52:53]
	s_xor_b32 s41, exec_lo, s7
	s_cbranch_execz .LBB6_8190
; %bb.8181:                             ;   in Loop: Header=BB6_6801 Depth=2
	v_mov_b32_e32 v59, 0
	s_mov_b32 s42, exec_lo
	v_cmpx_ne_u32_e32 0, v5
	s_cbranch_execz .LBB6_8189
; %bb.8182:                             ;   in Loop: Header=BB6_6801 Depth=2
	v_and_b32_e32 v7, 0x7fffff, v5
	v_bfe_u32 v5, v5, 23, 8
	s_delay_alu instid0(VALU_DEP_2) | instskip(NEXT) | instid1(VALU_DEP_2)
	v_or_b32_e32 v8, 0x800000, v7
	v_cmp_gt_u32_e64 s7, 0x7a, v5
	v_sub_nc_u32_e32 v6, 0x79, v5
	v_cmp_eq_u32_e32 vcc_lo, 0, v5
	s_delay_alu instid0(VALU_DEP_2) | instskip(NEXT) | instid1(VALU_DEP_1)
	v_dual_cndmask_b32 v6, 0, v6, s7 :: v_dual_cndmask_b32 v52, v8, v7, vcc_lo
	v_cndmask_b32_e64 v6, v6, 0x78, vcc_lo
	s_delay_alu instid0(VALU_DEP_1) | instskip(NEXT) | instid1(VALU_DEP_1)
	v_add_nc_u32_e32 v7, 20, v6
	v_lshlrev_b64_e64 v[8:9], v7, -1
	v_add_nc_u32_e32 v7, 19, v6
	s_delay_alu instid0(VALU_DEP_1) | instskip(NEXT) | instid1(VALU_DEP_3)
	v_lshlrev_b64_e64 v[10:11], v7, 1
	v_bfi_b32 v9, v9, 0, 0
	s_delay_alu instid0(VALU_DEP_4) | instskip(NEXT) | instid1(VALU_DEP_1)
	v_bfi_b32 v8, v8, 0, v52
	v_cmp_eq_u64_e64 s7, v[8:9], v[10:11]
	v_lshrrev_b64 v[10:11], v6, v[52:53]
	s_delay_alu instid0(VALU_DEP_1)
	v_mov_b64_e32 v[14:15], v[10:11]
	s_and_saveexec_b32 s43, s7
; %bb.8183:                             ;   in Loop: Header=BB6_6801 Depth=2
	v_bfe_u32 v52, v10, 20, 1
	s_delay_alu instid0(VALU_DEP_1) | instskip(NEXT) | instid1(VALU_DEP_1)
	v_add_nc_u64_e32 v[8:9], v[10:11], v[52:53]
	v_add_nc_u64_e32 v[14:15], -1, v[8:9]
; %bb.8184:                             ;   in Loop: Header=BB6_6801 Depth=2
	s_or_b32 exec_lo, exec_lo, s43
	v_add_nc_u32_e32 v5, 0xffffff81, v5
	v_lshrrev_b32_e32 v7, 23, v10
	s_mov_b32 s7, exec_lo
	s_delay_alu instid0(VALU_DEP_2) | instskip(NEXT) | instid1(VALU_DEP_1)
	v_cndmask_b32_e64 v5, v5, 0xffffff82, vcc_lo
	v_add3_u32 v6, v6, v5, v7
	v_and_b32_e32 v5, 0xfffff, v14
	s_delay_alu instid0(VALU_DEP_2) | instskip(NEXT) | instid1(VALU_DEP_2)
	v_add_nc_u32_e32 v7, 6, v6
	v_add_nc_u32_e32 v52, v5, v10
                                        ; implicit-def: $vgpr10_vgpr11
                                        ; implicit-def: $vgpr5
	s_delay_alu instid0(VALU_DEP_2)
	v_cmpx_ne_u32_e32 0, v7
	s_xor_b32 s7, exec_lo, s7
; %bb.8185:                             ;   in Loop: Header=BB6_6801 Depth=2
	s_delay_alu instid0(VALU_DEP_2) | instskip(SKIP_2) | instid1(VALU_DEP_2)
	v_cmp_lt_u64_e32 vcc_lo, 0xffffff, v[52:53]
	v_add_nc_u32_e32 v5, 7, v6
	v_cndmask_b32_e64 v6, 0, 1, vcc_lo
	v_cndmask_b32_e32 v5, v7, v5, vcc_lo
	s_delay_alu instid0(VALU_DEP_2)
	v_lshrrev_b64 v[10:11], v6, v[52:53]
; %bb.8186:                             ;   in Loop: Header=BB6_6801 Depth=2
	s_and_not1_saveexec_b32 s7, s7
; %bb.8187:                             ;   in Loop: Header=BB6_6801 Depth=2
	v_mov_b64_e32 v[10:11], v[52:53]
	v_bfe_u32 v5, v52, 23, 1
; %bb.8188:                             ;   in Loop: Header=BB6_6801 Depth=2
	s_or_b32 exec_lo, exec_lo, s7
	s_delay_alu instid0(VALU_DEP_2) | instskip(NEXT) | instid1(VALU_DEP_2)
	v_lshrrev_b64 v[6:7], 20, v[10:11]
	v_cmp_gt_i32_e32 vcc_lo, 16, v5
	v_min_i32_e32 v8, 15, v5
	v_cmp_eq_u32_e64 s7, 0, v5
	s_delay_alu instid0(VALU_DEP_2) | instskip(SKIP_1) | instid1(VALU_DEP_2)
	v_dual_cndmask_b32 v7, 0, v7 :: v_dual_lshlrev_b32 v8, 3, v8
	v_cndmask_b32_e32 v6, 7, v6, vcc_lo
	v_and_b32_e32 v8, 0xf8, v8
	s_delay_alu instid0(VALU_DEP_2) | instskip(NEXT) | instid1(VALU_DEP_2)
	v_cmp_eq_u64_e32 vcc_lo, 0, v[6:7]
	v_and_or_b32 v5, v6, 7, v8
	s_and_b32 s7, s7, vcc_lo
	s_delay_alu instid0(VALU_DEP_1) | instid1(SALU_CYCLE_1)
	v_cndmask_b32_e64 v5, v5, 0, s7
	s_delay_alu instid0(VALU_DEP_1)
	v_or_b32_e32 v59, v5, v3
.LBB6_8189:                             ;   in Loop: Header=BB6_6801 Depth=2
	s_or_b32 exec_lo, exec_lo, s42
                                        ; implicit-def: $vgpr3
.LBB6_8190:                             ;   in Loop: Header=BB6_6801 Depth=2
	s_and_not1_saveexec_b32 s7, s41
; %bb.8191:                             ;   in Loop: Header=BB6_6801 Depth=2
	v_or_b32_e32 v59, 0x7e, v3
; %bb.8192:                             ;   in Loop: Header=BB6_6801 Depth=2
	s_or_b32 exec_lo, exec_lo, s7
                                        ; implicit-def: $vgpr3
.LBB6_8193:                             ;   in Loop: Header=BB6_6801 Depth=2
	s_and_not1_saveexec_b32 s7, s40
; %bb.8194:                             ;   in Loop: Header=BB6_6801 Depth=2
	v_or_b32_e32 v59, 0x7f, v3
; %bb.8195:                             ;   in Loop: Header=BB6_6801 Depth=2
	s_or_b32 exec_lo, exec_lo, s7
	v_mov_b32_e32 v5, 0
	s_mov_b32 s7, exec_lo
	v_cmpx_lt_u32_e32 0xffffff, v12
	s_cbranch_execz .LBB6_8203
; %bb.8196:                             ;   in Loop: Header=BB6_6801 Depth=2
	v_lshrrev_b32_e32 v3, 24, v12
	v_bfrev_b32_e32 v5, 1
	s_mov_b32 s40, exec_lo
	s_delay_alu instid0(VALU_DEP_2)
	v_cmpx_ne_u32_e32 0x80, v3
	s_cbranch_execz .LBB6_8202
; %bb.8197:                             ;   in Loop: Header=BB6_6801 Depth=2
	v_bfe_u32 v6, v12, 24, 7
	v_mov_b32_e32 v5, 0x7f800001
	s_mov_b32 s41, exec_lo
	s_delay_alu instid0(VALU_DEP_2)
	v_cmpx_ne_u32_e32 0x7f, v6
	s_cbranch_execz .LBB6_8201
; %bb.8198:                             ;   in Loop: Header=BB6_6801 Depth=2
	v_dual_lshrrev_b32 v5, 3, v6 :: v_dual_bitop2_b32 v52, 7, v3 bitop3:0x40
	s_mov_b32 s42, exec_lo
	s_delay_alu instid0(VALU_DEP_1)
	v_mov_b64_e32 v[10:11], v[52:53]
	v_cmpx_gt_u32_e32 8, v6
; %bb.8199:                             ;   in Loop: Header=BB6_6801 Depth=2
	v_clz_i32_u32_e32 v5, v52
	s_delay_alu instid0(VALU_DEP_1) | instskip(NEXT) | instid1(VALU_DEP_1)
	v_min_u32_e32 v5, 32, v5
	v_subrev_nc_u32_e32 v6, 28, v5
	s_delay_alu instid0(VALU_DEP_1) | instskip(NEXT) | instid1(VALU_DEP_1)
	v_lshlrev_b64_e32 v[6:7], v6, v[52:53]
	v_dual_sub_nc_u32 v5, 29, v5 :: v_dual_bitop2_b32 v10, 7, v6 bitop3:0x40
; %bb.8200:                             ;   in Loop: Header=BB6_6801 Depth=2
	s_or_b32 exec_lo, exec_lo, s42
	s_delay_alu instid0(VALU_DEP_1) | instskip(NEXT) | instid1(VALU_DEP_2)
	v_dual_lshlrev_b32 v3, 24, v3 :: v_dual_lshlrev_b32 v6, 20, v10
	v_lshl_add_u32 v5, v5, 23, 0x3c000000
	s_delay_alu instid0(VALU_DEP_2) | instskip(NEXT) | instid1(VALU_DEP_1)
	v_and_b32_e32 v3, 0x80000000, v3
	v_or3_b32 v5, v6, v3, v5
.LBB6_8201:                             ;   in Loop: Header=BB6_6801 Depth=2
	s_or_b32 exec_lo, exec_lo, s41
.LBB6_8202:                             ;   in Loop: Header=BB6_6801 Depth=2
	s_delay_alu instid0(SALU_CYCLE_1)
	s_or_b32 exec_lo, exec_lo, s40
.LBB6_8203:                             ;   in Loop: Header=BB6_6801 Depth=2
	s_delay_alu instid0(SALU_CYCLE_1) | instskip(NEXT) | instid1(VALU_DEP_1)
	s_or_b32 exec_lo, exec_lo, s7
	v_mul_f32_e32 v5, s29, v5
                                        ; implicit-def: $vgpr62
	s_mov_b32 s7, exec_lo
	s_delay_alu instid0(VALU_DEP_1) | instskip(SKIP_1) | instid1(VALU_DEP_2)
	v_and_b32_e32 v52, 0x7f800000, v5
	v_lshrrev_b32_e32 v3, 24, v5
	v_cmpx_ne_u64_e32 0x7f800000, v[52:53]
	s_xor_b32 s40, exec_lo, s7
	s_cbranch_execz .LBB6_8217
; %bb.8204:                             ;   in Loop: Header=BB6_6801 Depth=2
	v_and_b32_e32 v52, 0x7fffffff, v5
	v_and_b32_e32 v3, 0x80, v3
                                        ; implicit-def: $vgpr62
	s_mov_b32 s7, exec_lo
	s_delay_alu instid0(VALU_DEP_2)
	v_cmpx_gt_u64_e32 0x43e00001, v[52:53]
	s_xor_b32 s41, exec_lo, s7
	s_cbranch_execz .LBB6_8214
; %bb.8205:                             ;   in Loop: Header=BB6_6801 Depth=2
	v_mov_b32_e32 v62, 0
	s_mov_b32 s42, exec_lo
	v_cmpx_ne_u32_e32 0, v5
	s_cbranch_execz .LBB6_8213
; %bb.8206:                             ;   in Loop: Header=BB6_6801 Depth=2
	v_and_b32_e32 v7, 0x7fffff, v5
	v_bfe_u32 v5, v5, 23, 8
	s_delay_alu instid0(VALU_DEP_2) | instskip(NEXT) | instid1(VALU_DEP_2)
	v_or_b32_e32 v8, 0x800000, v7
	v_cmp_gt_u32_e64 s7, 0x7a, v5
	v_sub_nc_u32_e32 v6, 0x79, v5
	v_cmp_eq_u32_e32 vcc_lo, 0, v5
	s_delay_alu instid0(VALU_DEP_2) | instskip(NEXT) | instid1(VALU_DEP_1)
	v_dual_cndmask_b32 v6, 0, v6, s7 :: v_dual_cndmask_b32 v52, v8, v7, vcc_lo
	v_cndmask_b32_e64 v6, v6, 0x78, vcc_lo
	s_delay_alu instid0(VALU_DEP_1) | instskip(NEXT) | instid1(VALU_DEP_1)
	v_add_nc_u32_e32 v7, 20, v6
	v_lshlrev_b64_e64 v[8:9], v7, -1
	v_add_nc_u32_e32 v7, 19, v6
	s_delay_alu instid0(VALU_DEP_1) | instskip(NEXT) | instid1(VALU_DEP_3)
	v_lshlrev_b64_e64 v[10:11], v7, 1
	v_bfi_b32 v9, v9, 0, 0
	s_delay_alu instid0(VALU_DEP_4) | instskip(NEXT) | instid1(VALU_DEP_1)
	v_bfi_b32 v8, v8, 0, v52
	v_cmp_eq_u64_e64 s7, v[8:9], v[10:11]
	v_lshrrev_b64 v[10:11], v6, v[52:53]
	s_delay_alu instid0(VALU_DEP_1)
	v_mov_b64_e32 v[14:15], v[10:11]
	s_and_saveexec_b32 s43, s7
; %bb.8207:                             ;   in Loop: Header=BB6_6801 Depth=2
	v_bfe_u32 v52, v10, 20, 1
	s_delay_alu instid0(VALU_DEP_1) | instskip(NEXT) | instid1(VALU_DEP_1)
	v_add_nc_u64_e32 v[8:9], v[10:11], v[52:53]
	v_add_nc_u64_e32 v[14:15], -1, v[8:9]
; %bb.8208:                             ;   in Loop: Header=BB6_6801 Depth=2
	s_or_b32 exec_lo, exec_lo, s43
	v_add_nc_u32_e32 v5, 0xffffff81, v5
	v_lshrrev_b32_e32 v7, 23, v10
	s_mov_b32 s7, exec_lo
	s_delay_alu instid0(VALU_DEP_2) | instskip(NEXT) | instid1(VALU_DEP_1)
	v_cndmask_b32_e64 v5, v5, 0xffffff82, vcc_lo
	v_add3_u32 v7, v6, v5, v7
	v_and_b32_e32 v5, 0xfffff, v14
	s_delay_alu instid0(VALU_DEP_1) | instskip(NEXT) | instid1(VALU_DEP_1)
	v_dual_add_nc_u32 v6, 6, v7 :: v_dual_add_nc_u32 v52, v5, v10
                                        ; implicit-def: $vgpr10_vgpr11
                                        ; implicit-def: $vgpr5
	v_cmpx_ne_u32_e32 0, v6
	s_xor_b32 s7, exec_lo, s7
; %bb.8209:                             ;   in Loop: Header=BB6_6801 Depth=2
	s_delay_alu instid0(VALU_DEP_2) | instskip(SKIP_1) | instid1(VALU_DEP_1)
	v_cmp_lt_u64_e32 vcc_lo, 0xffffff, v[52:53]
	v_add_nc_u32_e32 v5, 7, v7
	v_cndmask_b32_e32 v5, v6, v5, vcc_lo
	v_cndmask_b32_e64 v6, 0, 1, vcc_lo
	s_delay_alu instid0(VALU_DEP_1)
	v_lshrrev_b64 v[10:11], v6, v[52:53]
; %bb.8210:                             ;   in Loop: Header=BB6_6801 Depth=2
	s_and_not1_saveexec_b32 s7, s7
; %bb.8211:                             ;   in Loop: Header=BB6_6801 Depth=2
	v_mov_b64_e32 v[10:11], v[52:53]
	v_bfe_u32 v5, v52, 23, 1
; %bb.8212:                             ;   in Loop: Header=BB6_6801 Depth=2
	s_or_b32 exec_lo, exec_lo, s7
	s_delay_alu instid0(VALU_DEP_2) | instskip(NEXT) | instid1(VALU_DEP_2)
	v_lshrrev_b64 v[6:7], 20, v[10:11]
	v_cmp_gt_i32_e32 vcc_lo, 16, v5
	v_min_i32_e32 v8, 15, v5
	v_cmp_eq_u32_e64 s7, 0, v5
	s_delay_alu instid0(VALU_DEP_2) | instskip(SKIP_1) | instid1(VALU_DEP_2)
	v_dual_cndmask_b32 v7, 0, v7 :: v_dual_lshlrev_b32 v8, 3, v8
	v_cndmask_b32_e32 v6, 7, v6, vcc_lo
	v_and_b32_e32 v8, 0xf8, v8
	s_delay_alu instid0(VALU_DEP_2) | instskip(NEXT) | instid1(VALU_DEP_2)
	v_cmp_eq_u64_e32 vcc_lo, 0, v[6:7]
	v_and_or_b32 v5, v6, 7, v8
	s_and_b32 s7, s7, vcc_lo
	s_delay_alu instid0(VALU_DEP_1) | instid1(SALU_CYCLE_1)
	v_cndmask_b32_e64 v5, v5, 0, s7
	s_delay_alu instid0(VALU_DEP_1)
	v_or_b32_e32 v62, v5, v3
.LBB6_8213:                             ;   in Loop: Header=BB6_6801 Depth=2
	s_or_b32 exec_lo, exec_lo, s42
                                        ; implicit-def: $vgpr3
.LBB6_8214:                             ;   in Loop: Header=BB6_6801 Depth=2
	s_and_not1_saveexec_b32 s7, s41
; %bb.8215:                             ;   in Loop: Header=BB6_6801 Depth=2
	v_or_b32_e32 v62, 0x7e, v3
; %bb.8216:                             ;   in Loop: Header=BB6_6801 Depth=2
	s_or_b32 exec_lo, exec_lo, s7
                                        ; implicit-def: $vgpr3
.LBB6_8217:                             ;   in Loop: Header=BB6_6801 Depth=2
	s_and_not1_saveexec_b32 s7, s40
; %bb.8218:                             ;   in Loop: Header=BB6_6801 Depth=2
	v_or_b32_e32 v62, 0x7f, v3
; %bb.8219:                             ;   in Loop: Header=BB6_6801 Depth=2
	s_or_b32 exec_lo, exec_lo, s7
	v_and_b32_e32 v5, 0xff, v13
	v_dual_mov_b32 v52, v13 :: v_dual_mov_b32 v3, 0
	s_mov_b32 s7, exec_lo
	s_delay_alu instid0(VALU_DEP_2)
	v_cmpx_ne_u16_e32 0, v5
	s_cbranch_execz .LBB6_8225
; %bb.8220:                             ;   in Loop: Header=BB6_6801 Depth=2
	v_bfrev_b32_e32 v3, 1
	s_mov_b32 s40, exec_lo
	v_cmpx_ne_u16_e32 0x80, v5
	s_cbranch_execz .LBB6_8224
; %bb.8221:                             ;   in Loop: Header=BB6_6801 Depth=2
	v_and_b32_e32 v5, 0x7f, v13
	v_mov_b32_e32 v3, 0x7f800001
	s_mov_b32 s41, exec_lo
	s_delay_alu instid0(VALU_DEP_2)
	v_cmpx_ne_u32_e32 0x7f, v5
	s_cbranch_execz .LBB6_8223
; %bb.8222:                             ;   in Loop: Header=BB6_6801 Depth=2
	v_and_b32_e32 v3, 7, v13
	v_cmp_gt_u32_e32 vcc_lo, 8, v5
	s_delay_alu instid0(VALU_DEP_2) | instskip(NEXT) | instid1(VALU_DEP_1)
	v_clz_i32_u32_e32 v3, v3
	v_min_u32_e32 v3, 32, v3
	v_lshrrev_b32_e32 v6, 3, v5
	s_delay_alu instid0(VALU_DEP_2) | instskip(NEXT) | instid1(VALU_DEP_1)
	v_subrev_nc_u32_e32 v5, 28, v3
	v_dual_sub_nc_u32 v3, 29, v3 :: v_dual_cndmask_b32 v5, 0, v5, vcc_lo
	s_delay_alu instid0(VALU_DEP_1) | instskip(NEXT) | instid1(VALU_DEP_2)
	v_cndmask_b32_e32 v3, v6, v3, vcc_lo
	v_lshlrev_b64_e32 v[6:7], v5, v[52:53]
	s_delay_alu instid0(VALU_DEP_2) | instskip(NEXT) | instid1(VALU_DEP_2)
	v_lshl_add_u32 v3, v3, 23, 0x3c000000
	v_dual_lshlrev_b32 v5, 20, v6 :: v_dual_lshlrev_b32 v6, 24, v52
	s_delay_alu instid0(VALU_DEP_1) | instskip(NEXT) | instid1(VALU_DEP_2)
	v_and_b32_e32 v5, 0x700000, v5
	v_and_b32_e32 v6, 0x80000000, v6
	s_delay_alu instid0(VALU_DEP_1)
	v_or3_b32 v3, v5, v6, v3
.LBB6_8223:                             ;   in Loop: Header=BB6_6801 Depth=2
	s_or_b32 exec_lo, exec_lo, s41
.LBB6_8224:                             ;   in Loop: Header=BB6_6801 Depth=2
	s_delay_alu instid0(SALU_CYCLE_1)
	s_or_b32 exec_lo, exec_lo, s40
.LBB6_8225:                             ;   in Loop: Header=BB6_6801 Depth=2
	s_delay_alu instid0(SALU_CYCLE_1) | instskip(NEXT) | instid1(VALU_DEP_1)
	s_or_b32 exec_lo, exec_lo, s7
	v_dual_mul_f32 v5, s29, v3 :: v_dual_mov_b32 v7, v53
                                        ; implicit-def: $vgpr44
	s_mov_b32 s7, exec_lo
	s_delay_alu instid0(VALU_DEP_1) | instskip(SKIP_1) | instid1(VALU_DEP_2)
	v_and_b32_e32 v6, 0x7f800000, v5
	v_lshrrev_b32_e32 v3, 24, v5
	v_cmpx_ne_u64_e32 0x7f800000, v[6:7]
	s_xor_b32 s40, exec_lo, s7
	s_cbranch_execz .LBB6_8239
; %bb.8226:                             ;   in Loop: Header=BB6_6801 Depth=2
	v_and_b32_e32 v6, 0x7fffffff, v5
	v_mov_b32_e32 v7, v53
	v_and_b32_e32 v3, 0x80, v3
                                        ; implicit-def: $vgpr44
	s_mov_b32 s7, exec_lo
	s_delay_alu instid0(VALU_DEP_2)
	v_cmpx_gt_u64_e32 0x43e00001, v[6:7]
	s_xor_b32 s41, exec_lo, s7
	s_cbranch_execz .LBB6_8236
; %bb.8227:                             ;   in Loop: Header=BB6_6801 Depth=2
	v_mov_b32_e32 v44, 0
	s_mov_b32 s42, exec_lo
	v_cmpx_ne_u32_e32 0, v5
	s_cbranch_execz .LBB6_8235
; %bb.8228:                             ;   in Loop: Header=BB6_6801 Depth=2
	v_and_b32_e32 v7, 0x7fffff, v5
	v_bfe_u32 v5, v5, 23, 8
	v_mov_b32_e32 v9, v53
	s_delay_alu instid0(VALU_DEP_3) | instskip(NEXT) | instid1(VALU_DEP_3)
	v_or_b32_e32 v8, 0x800000, v7
	v_cmp_gt_u32_e64 s7, 0x7a, v5
	v_sub_nc_u32_e32 v6, 0x79, v5
	v_cmp_eq_u32_e32 vcc_lo, 0, v5
	s_delay_alu instid0(VALU_DEP_2) | instskip(NEXT) | instid1(VALU_DEP_1)
	v_dual_cndmask_b32 v6, 0, v6, s7 :: v_dual_cndmask_b32 v8, v8, v7, vcc_lo
	v_cndmask_b32_e64 v6, v6, 0x78, vcc_lo
	s_delay_alu instid0(VALU_DEP_1) | instskip(NEXT) | instid1(VALU_DEP_1)
	v_add_nc_u32_e32 v7, 20, v6
	v_lshlrev_b64_e64 v[10:11], v7, -1
	v_add_nc_u32_e32 v7, 19, v6
	s_delay_alu instid0(VALU_DEP_1) | instskip(NEXT) | instid1(VALU_DEP_3)
	v_lshlrev_b64_e64 v[14:15], v7, 1
	v_bfi_b32 v11, v11, 0, 0
	s_delay_alu instid0(VALU_DEP_4) | instskip(NEXT) | instid1(VALU_DEP_1)
	v_bfi_b32 v10, v10, 0, v8
	v_cmp_eq_u64_e64 s7, v[10:11], v[14:15]
	v_lshrrev_b64 v[10:11], v6, v[8:9]
	s_delay_alu instid0(VALU_DEP_1)
	v_mov_b64_e32 v[14:15], v[10:11]
	s_and_saveexec_b32 s43, s7
; %bb.8229:                             ;   in Loop: Header=BB6_6801 Depth=2
	v_bfe_u32 v8, v10, 20, 1
	v_mov_b32_e32 v9, v53
	s_delay_alu instid0(VALU_DEP_1) | instskip(NEXT) | instid1(VALU_DEP_1)
	v_add_nc_u64_e32 v[8:9], v[10:11], v[8:9]
	v_add_nc_u64_e32 v[14:15], -1, v[8:9]
; %bb.8230:                             ;   in Loop: Header=BB6_6801 Depth=2
	s_or_b32 exec_lo, exec_lo, s43
	v_add_nc_u32_e32 v5, 0xffffff81, v5
	v_lshrrev_b32_e32 v7, 23, v10
	s_mov_b32 s7, exec_lo
	v_mov_b32_e32 v11, v53
	s_delay_alu instid0(VALU_DEP_3) | instskip(NEXT) | instid1(VALU_DEP_1)
	v_cndmask_b32_e64 v5, v5, 0xffffff82, vcc_lo
	v_add3_u32 v7, v6, v5, v7
	v_and_b32_e32 v5, 0xfffff, v14
	s_delay_alu instid0(VALU_DEP_1) | instskip(NEXT) | instid1(VALU_DEP_1)
	v_dual_add_nc_u32 v6, 6, v7 :: v_dual_add_nc_u32 v10, v5, v10
                                        ; implicit-def: $vgpr5
	v_cmpx_ne_u32_e32 0, v6
	s_xor_b32 s7, exec_lo, s7
; %bb.8231:                             ;   in Loop: Header=BB6_6801 Depth=2
	s_delay_alu instid0(VALU_DEP_2) | instskip(SKIP_1) | instid1(VALU_DEP_1)
	v_cmp_lt_u64_e32 vcc_lo, 0xffffff, v[10:11]
	v_add_nc_u32_e32 v5, 7, v7
	v_cndmask_b32_e32 v5, v6, v5, vcc_lo
	v_cndmask_b32_e64 v6, 0, 1, vcc_lo
	s_delay_alu instid0(VALU_DEP_1)
	v_lshrrev_b64 v[10:11], v6, v[10:11]
; %bb.8232:                             ;   in Loop: Header=BB6_6801 Depth=2
	s_and_not1_saveexec_b32 s7, s7
; %bb.8233:                             ;   in Loop: Header=BB6_6801 Depth=2
	s_delay_alu instid0(VALU_DEP_1)
	v_bfe_u32 v5, v10, 23, 1
; %bb.8234:                             ;   in Loop: Header=BB6_6801 Depth=2
	s_or_b32 exec_lo, exec_lo, s7
	s_delay_alu instid0(VALU_DEP_2) | instskip(NEXT) | instid1(VALU_DEP_2)
	v_lshrrev_b64 v[6:7], 20, v[10:11]
	v_cmp_gt_i32_e32 vcc_lo, 16, v5
	v_min_i32_e32 v8, 15, v5
	v_cmp_eq_u32_e64 s7, 0, v5
	s_delay_alu instid0(VALU_DEP_2) | instskip(SKIP_1) | instid1(VALU_DEP_2)
	v_dual_cndmask_b32 v7, 0, v7 :: v_dual_lshlrev_b32 v8, 3, v8
	v_cndmask_b32_e32 v6, 7, v6, vcc_lo
	v_and_b32_e32 v8, 0xf8, v8
	s_delay_alu instid0(VALU_DEP_2) | instskip(NEXT) | instid1(VALU_DEP_2)
	v_cmp_eq_u64_e32 vcc_lo, 0, v[6:7]
	v_and_or_b32 v5, v6, 7, v8
	s_and_b32 s7, s7, vcc_lo
	s_delay_alu instid0(VALU_DEP_1) | instid1(SALU_CYCLE_1)
	v_cndmask_b32_e64 v5, v5, 0, s7
	s_delay_alu instid0(VALU_DEP_1)
	v_or_b32_e32 v44, v5, v3
.LBB6_8235:                             ;   in Loop: Header=BB6_6801 Depth=2
	s_or_b32 exec_lo, exec_lo, s42
                                        ; implicit-def: $vgpr3
.LBB6_8236:                             ;   in Loop: Header=BB6_6801 Depth=2
	s_and_not1_saveexec_b32 s7, s41
; %bb.8237:                             ;   in Loop: Header=BB6_6801 Depth=2
	v_or_b32_e32 v44, 0x7e, v3
; %bb.8238:                             ;   in Loop: Header=BB6_6801 Depth=2
	s_or_b32 exec_lo, exec_lo, s7
                                        ; implicit-def: $vgpr3
.LBB6_8239:                             ;   in Loop: Header=BB6_6801 Depth=2
	s_and_not1_saveexec_b32 s7, s40
; %bb.8240:                             ;   in Loop: Header=BB6_6801 Depth=2
	v_or_b32_e32 v44, 0x7f, v3
; %bb.8241:                             ;   in Loop: Header=BB6_6801 Depth=2
	s_or_b32 exec_lo, exec_lo, s7
	v_lshrrev_b16 v5, 8, v52
	v_mov_b32_e32 v3, 0
	s_mov_b32 s7, exec_lo
	s_delay_alu instid0(VALU_DEP_2)
	v_cmpx_ne_u16_e32 0, v5
	s_cbranch_execz .LBB6_8249
; %bb.8242:                             ;   in Loop: Header=BB6_6801 Depth=2
	v_bfrev_b32_e32 v3, 1
	s_mov_b32 s40, exec_lo
	v_cmpx_ne_u16_e32 0x80, v5
	s_cbranch_execz .LBB6_8248
; %bb.8243:                             ;   in Loop: Header=BB6_6801 Depth=2
	v_and_b32_e32 v6, 0xffff, v5
	v_mov_b32_e32 v3, 0x7f800001
	s_mov_b32 s41, exec_lo
	s_delay_alu instid0(VALU_DEP_2) | instskip(NEXT) | instid1(VALU_DEP_1)
	v_and_b32_e32 v5, 0x7f, v6
	v_cmpx_ne_u32_e32 0x7f, v5
	s_cbranch_execz .LBB6_8247
; %bb.8244:                             ;   in Loop: Header=BB6_6801 Depth=2
	v_dual_mov_b32 v11, v53 :: v_dual_bitop2_b32 v10, 7, v6 bitop3:0x40
	v_lshrrev_b32_e32 v3, 3, v5
	s_mov_b32 s42, exec_lo
	v_cmpx_gt_u32_e32 8, v5
; %bb.8245:                             ;   in Loop: Header=BB6_6801 Depth=2
	s_delay_alu instid0(VALU_DEP_3) | instskip(NEXT) | instid1(VALU_DEP_1)
	v_clz_i32_u32_e32 v3, v10
	v_min_u32_e32 v3, 32, v3
	s_delay_alu instid0(VALU_DEP_1) | instskip(NEXT) | instid1(VALU_DEP_1)
	v_subrev_nc_u32_e32 v5, 28, v3
	v_lshlrev_b64_e32 v[6:7], v5, v[10:11]
	s_delay_alu instid0(VALU_DEP_1)
	v_dual_sub_nc_u32 v3, 29, v3 :: v_dual_bitop2_b32 v10, 7, v6 bitop3:0x40
; %bb.8246:                             ;   in Loop: Header=BB6_6801 Depth=2
	s_or_b32 exec_lo, exec_lo, s42
	s_delay_alu instid0(VALU_DEP_1) | instskip(NEXT) | instid1(VALU_DEP_2)
	v_dual_lshlrev_b32 v5, 16, v52 :: v_dual_lshlrev_b32 v6, 20, v10
	v_lshl_add_u32 v3, v3, 23, 0x3c000000
	s_delay_alu instid0(VALU_DEP_2) | instskip(NEXT) | instid1(VALU_DEP_1)
	v_and_b32_e32 v5, 0x80000000, v5
	v_or3_b32 v3, v6, v5, v3
.LBB6_8247:                             ;   in Loop: Header=BB6_6801 Depth=2
	s_or_b32 exec_lo, exec_lo, s41
.LBB6_8248:                             ;   in Loop: Header=BB6_6801 Depth=2
	s_delay_alu instid0(SALU_CYCLE_1)
	s_or_b32 exec_lo, exec_lo, s40
.LBB6_8249:                             ;   in Loop: Header=BB6_6801 Depth=2
	s_delay_alu instid0(SALU_CYCLE_1) | instskip(NEXT) | instid1(VALU_DEP_1)
	s_or_b32 exec_lo, exec_lo, s7
	v_mul_f32_e32 v6, s29, v3
                                        ; implicit-def: $vgpr3
	s_mov_b32 s7, exec_lo
	s_delay_alu instid0(VALU_DEP_1) | instskip(SKIP_1) | instid1(VALU_DEP_2)
	v_and_b32_e32 v52, 0x7f800000, v6
	v_lshrrev_b32_e32 v5, 24, v6
	v_cmpx_ne_u64_e32 0x7f800000, v[52:53]
	s_xor_b32 s40, exec_lo, s7
	s_cbranch_execz .LBB6_8263
; %bb.8250:                             ;   in Loop: Header=BB6_6801 Depth=2
	v_and_b32_e32 v52, 0x7fffffff, v6
	v_and_b32_e32 v5, 0x80, v5
                                        ; implicit-def: $vgpr3
	s_mov_b32 s7, exec_lo
	s_delay_alu instid0(VALU_DEP_2)
	v_cmpx_gt_u64_e32 0x43e00001, v[52:53]
	s_xor_b32 s41, exec_lo, s7
	s_cbranch_execz .LBB6_8260
; %bb.8251:                             ;   in Loop: Header=BB6_6801 Depth=2
	v_mov_b32_e32 v3, 0
	s_mov_b32 s42, exec_lo
	v_cmpx_ne_u32_e32 0, v6
	s_cbranch_execz .LBB6_8259
; %bb.8252:                             ;   in Loop: Header=BB6_6801 Depth=2
	v_bfe_u32 v3, v6, 23, 8
	v_and_b32_e32 v7, 0x7fffff, v6
	s_delay_alu instid0(VALU_DEP_2) | instskip(SKIP_2) | instid1(VALU_DEP_4)
	v_cmp_gt_u32_e64 s7, 0x7a, v3
	v_sub_nc_u32_e32 v6, 0x79, v3
	v_cmp_eq_u32_e32 vcc_lo, 0, v3
	v_or_b32_e32 v8, 0x800000, v7
	s_delay_alu instid0(VALU_DEP_1) | instskip(NEXT) | instid1(VALU_DEP_1)
	v_dual_cndmask_b32 v6, 0, v6, s7 :: v_dual_cndmask_b32 v52, v8, v7, vcc_lo
	v_cndmask_b32_e64 v6, v6, 0x78, vcc_lo
	s_delay_alu instid0(VALU_DEP_1) | instskip(NEXT) | instid1(VALU_DEP_1)
	v_add_nc_u32_e32 v7, 20, v6
	v_lshlrev_b64_e64 v[8:9], v7, -1
	v_add_nc_u32_e32 v7, 19, v6
	s_delay_alu instid0(VALU_DEP_1) | instskip(NEXT) | instid1(VALU_DEP_3)
	v_lshlrev_b64_e64 v[10:11], v7, 1
	v_bfi_b32 v9, v9, 0, 0
	s_delay_alu instid0(VALU_DEP_4) | instskip(NEXT) | instid1(VALU_DEP_1)
	v_bfi_b32 v8, v8, 0, v52
	v_cmp_eq_u64_e64 s7, v[8:9], v[10:11]
	v_lshrrev_b64 v[10:11], v6, v[52:53]
	s_delay_alu instid0(VALU_DEP_1)
	v_mov_b64_e32 v[14:15], v[10:11]
	s_and_saveexec_b32 s43, s7
; %bb.8253:                             ;   in Loop: Header=BB6_6801 Depth=2
	v_bfe_u32 v52, v10, 20, 1
	s_delay_alu instid0(VALU_DEP_1) | instskip(NEXT) | instid1(VALU_DEP_1)
	v_add_nc_u64_e32 v[8:9], v[10:11], v[52:53]
	v_add_nc_u64_e32 v[14:15], -1, v[8:9]
; %bb.8254:                             ;   in Loop: Header=BB6_6801 Depth=2
	s_or_b32 exec_lo, exec_lo, s43
	v_add_nc_u32_e32 v3, 0xffffff81, v3
	v_lshrrev_b32_e32 v7, 23, v10
	s_mov_b32 s7, exec_lo
	s_delay_alu instid0(VALU_DEP_2) | instskip(NEXT) | instid1(VALU_DEP_1)
	v_cndmask_b32_e64 v3, v3, 0xffffff82, vcc_lo
	v_add3_u32 v7, v6, v3, v7
	v_and_b32_e32 v3, 0xfffff, v14
	s_delay_alu instid0(VALU_DEP_1) | instskip(NEXT) | instid1(VALU_DEP_1)
	v_dual_add_nc_u32 v6, 6, v7 :: v_dual_add_nc_u32 v52, v3, v10
                                        ; implicit-def: $vgpr10_vgpr11
                                        ; implicit-def: $vgpr3
	v_cmpx_ne_u32_e32 0, v6
	s_xor_b32 s7, exec_lo, s7
; %bb.8255:                             ;   in Loop: Header=BB6_6801 Depth=2
	s_delay_alu instid0(VALU_DEP_2) | instskip(SKIP_1) | instid1(VALU_DEP_1)
	v_cmp_lt_u64_e32 vcc_lo, 0xffffff, v[52:53]
	v_add_nc_u32_e32 v3, 7, v7
	v_cndmask_b32_e32 v3, v6, v3, vcc_lo
	v_cndmask_b32_e64 v6, 0, 1, vcc_lo
	s_delay_alu instid0(VALU_DEP_1)
	v_lshrrev_b64 v[10:11], v6, v[52:53]
; %bb.8256:                             ;   in Loop: Header=BB6_6801 Depth=2
	s_and_not1_saveexec_b32 s7, s7
; %bb.8257:                             ;   in Loop: Header=BB6_6801 Depth=2
	v_mov_b64_e32 v[10:11], v[52:53]
	v_bfe_u32 v3, v52, 23, 1
; %bb.8258:                             ;   in Loop: Header=BB6_6801 Depth=2
	s_or_b32 exec_lo, exec_lo, s7
	s_delay_alu instid0(VALU_DEP_2) | instskip(NEXT) | instid1(VALU_DEP_2)
	v_lshrrev_b64 v[6:7], 20, v[10:11]
	v_cmp_gt_i32_e32 vcc_lo, 16, v3
	v_min_i32_e32 v8, 15, v3
	v_cmp_eq_u32_e64 s7, 0, v3
	s_delay_alu instid0(VALU_DEP_2) | instskip(SKIP_1) | instid1(VALU_DEP_2)
	v_dual_cndmask_b32 v6, 7, v6, vcc_lo :: v_dual_lshlrev_b32 v8, 3, v8
	v_cndmask_b32_e32 v7, 0, v7, vcc_lo
	v_and_b32_e32 v8, 0xf8, v8
	s_delay_alu instid0(VALU_DEP_2) | instskip(NEXT) | instid1(VALU_DEP_2)
	v_cmp_eq_u64_e32 vcc_lo, 0, v[6:7]
	v_and_or_b32 v3, v6, 7, v8
	s_and_b32 s7, s7, vcc_lo
	s_delay_alu instid0(VALU_DEP_1) | instid1(SALU_CYCLE_1)
	v_cndmask_b32_e64 v3, v3, 0, s7
	s_delay_alu instid0(VALU_DEP_1)
	v_or_b32_e32 v3, v3, v5
.LBB6_8259:                             ;   in Loop: Header=BB6_6801 Depth=2
	s_or_b32 exec_lo, exec_lo, s42
                                        ; implicit-def: $vgpr5
.LBB6_8260:                             ;   in Loop: Header=BB6_6801 Depth=2
	s_and_not1_saveexec_b32 s7, s41
; %bb.8261:                             ;   in Loop: Header=BB6_6801 Depth=2
	v_or_b32_e32 v3, 0x7e, v5
; %bb.8262:                             ;   in Loop: Header=BB6_6801 Depth=2
	s_or_b32 exec_lo, exec_lo, s7
                                        ; implicit-def: $vgpr5
.LBB6_8263:                             ;   in Loop: Header=BB6_6801 Depth=2
	s_and_not1_saveexec_b32 s7, s40
; %bb.8264:                             ;   in Loop: Header=BB6_6801 Depth=2
	v_or_b32_e32 v3, 0x7f, v5
; %bb.8265:                             ;   in Loop: Header=BB6_6801 Depth=2
	s_or_b32 exec_lo, exec_lo, s7
	v_dual_mov_b32 v6, 0 :: v_dual_lshrrev_b32 v5, 16, v13
	s_mov_b32 s7, exec_lo
	s_delay_alu instid0(VALU_DEP_1) | instskip(NEXT) | instid1(VALU_DEP_1)
	v_and_b32_e32 v7, 0xff, v5
	v_cmpx_ne_u16_e32 0, v7
	s_cbranch_execz .LBB6_8273
; %bb.8266:                             ;   in Loop: Header=BB6_6801 Depth=2
	v_bfrev_b32_e32 v6, 1
	s_mov_b32 s40, exec_lo
	v_cmpx_ne_u16_e32 0x80, v7
	s_cbranch_execz .LBB6_8272
; %bb.8267:                             ;   in Loop: Header=BB6_6801 Depth=2
	v_bfe_u32 v7, v13, 16, 7
	v_mov_b32_e32 v6, 0x7f800001
	s_mov_b32 s41, exec_lo
	s_delay_alu instid0(VALU_DEP_2)
	v_cmpx_ne_u32_e32 0x7f, v7
	s_cbranch_execz .LBB6_8271
; %bb.8268:                             ;   in Loop: Header=BB6_6801 Depth=2
	v_dual_lshrrev_b32 v6, 3, v7 :: v_dual_bitop2_b32 v52, 7, v5 bitop3:0x40
	s_mov_b32 s42, exec_lo
	s_delay_alu instid0(VALU_DEP_1)
	v_mov_b64_e32 v[10:11], v[52:53]
	v_cmpx_gt_u32_e32 8, v7
; %bb.8269:                             ;   in Loop: Header=BB6_6801 Depth=2
	v_clz_i32_u32_e32 v6, v52
	s_delay_alu instid0(VALU_DEP_1) | instskip(NEXT) | instid1(VALU_DEP_1)
	v_min_u32_e32 v6, 32, v6
	v_subrev_nc_u32_e32 v7, 28, v6
	s_delay_alu instid0(VALU_DEP_1) | instskip(NEXT) | instid1(VALU_DEP_1)
	v_lshlrev_b64_e32 v[8:9], v7, v[52:53]
	v_dual_sub_nc_u32 v6, 29, v6 :: v_dual_bitop2_b32 v10, 7, v8 bitop3:0x40
; %bb.8270:                             ;   in Loop: Header=BB6_6801 Depth=2
	s_or_b32 exec_lo, exec_lo, s42
	s_delay_alu instid0(VALU_DEP_1) | instskip(NEXT) | instid1(VALU_DEP_2)
	v_dual_lshlrev_b32 v5, 24, v5 :: v_dual_lshlrev_b32 v7, 20, v10
	v_lshl_add_u32 v6, v6, 23, 0x3c000000
	s_delay_alu instid0(VALU_DEP_2) | instskip(NEXT) | instid1(VALU_DEP_1)
	v_and_b32_e32 v5, 0x80000000, v5
	v_or3_b32 v6, v7, v5, v6
.LBB6_8271:                             ;   in Loop: Header=BB6_6801 Depth=2
	s_or_b32 exec_lo, exec_lo, s41
.LBB6_8272:                             ;   in Loop: Header=BB6_6801 Depth=2
	s_delay_alu instid0(SALU_CYCLE_1)
	s_or_b32 exec_lo, exec_lo, s40
.LBB6_8273:                             ;   in Loop: Header=BB6_6801 Depth=2
	s_delay_alu instid0(SALU_CYCLE_1) | instskip(NEXT) | instid1(VALU_DEP_1)
	s_or_b32 exec_lo, exec_lo, s7
	v_mul_f32_e32 v6, s29, v6
                                        ; implicit-def: $vgpr47
	s_mov_b32 s7, exec_lo
	s_delay_alu instid0(VALU_DEP_1) | instskip(SKIP_1) | instid1(VALU_DEP_2)
	v_and_b32_e32 v52, 0x7f800000, v6
	v_lshrrev_b32_e32 v5, 24, v6
	v_cmpx_ne_u64_e32 0x7f800000, v[52:53]
	s_xor_b32 s40, exec_lo, s7
	s_cbranch_execz .LBB6_8287
; %bb.8274:                             ;   in Loop: Header=BB6_6801 Depth=2
	v_and_b32_e32 v52, 0x7fffffff, v6
	v_and_b32_e32 v5, 0x80, v5
                                        ; implicit-def: $vgpr47
	s_mov_b32 s7, exec_lo
	s_delay_alu instid0(VALU_DEP_2)
	v_cmpx_gt_u64_e32 0x43e00001, v[52:53]
	s_xor_b32 s41, exec_lo, s7
	s_cbranch_execz .LBB6_8284
; %bb.8275:                             ;   in Loop: Header=BB6_6801 Depth=2
	v_mov_b32_e32 v47, 0
	s_mov_b32 s42, exec_lo
	v_cmpx_ne_u32_e32 0, v6
	s_cbranch_execz .LBB6_8283
; %bb.8276:                             ;   in Loop: Header=BB6_6801 Depth=2
	v_and_b32_e32 v8, 0x7fffff, v6
	v_bfe_u32 v6, v6, 23, 8
	s_delay_alu instid0(VALU_DEP_2) | instskip(NEXT) | instid1(VALU_DEP_2)
	v_or_b32_e32 v9, 0x800000, v8
	v_cmp_eq_u32_e32 vcc_lo, 0, v6
	v_cmp_gt_u32_e64 s7, 0x7a, v6
	s_delay_alu instid0(VALU_DEP_3) | instskip(NEXT) | instid1(VALU_DEP_1)
	v_dual_cndmask_b32 v52, v9, v8 :: v_dual_sub_nc_u32 v7, 0x79, v6
	v_cndmask_b32_e64 v7, 0, v7, s7
	s_delay_alu instid0(VALU_DEP_1) | instskip(NEXT) | instid1(VALU_DEP_1)
	v_cndmask_b32_e64 v7, v7, 0x78, vcc_lo
	v_dual_add_nc_u32 v8, 20, v7 :: v_dual_add_nc_u32 v10, 19, v7
	s_delay_alu instid0(VALU_DEP_1) | instskip(NEXT) | instid1(VALU_DEP_2)
	v_lshlrev_b64_e64 v[8:9], v8, -1
	v_lshlrev_b64_e64 v[10:11], v10, 1
	s_delay_alu instid0(VALU_DEP_2) | instskip(NEXT) | instid1(VALU_DEP_3)
	v_bfi_b32 v9, v9, 0, 0
	v_bfi_b32 v8, v8, 0, v52
	s_delay_alu instid0(VALU_DEP_1) | instskip(SKIP_1) | instid1(VALU_DEP_1)
	v_cmp_eq_u64_e64 s7, v[8:9], v[10:11]
	v_lshrrev_b64 v[10:11], v7, v[52:53]
	v_mov_b64_e32 v[14:15], v[10:11]
	s_and_saveexec_b32 s43, s7
; %bb.8277:                             ;   in Loop: Header=BB6_6801 Depth=2
	v_bfe_u32 v52, v10, 20, 1
	s_delay_alu instid0(VALU_DEP_1) | instskip(NEXT) | instid1(VALU_DEP_1)
	v_add_nc_u64_e32 v[8:9], v[10:11], v[52:53]
	v_add_nc_u64_e32 v[14:15], -1, v[8:9]
; %bb.8278:                             ;   in Loop: Header=BB6_6801 Depth=2
	s_or_b32 exec_lo, exec_lo, s43
	v_add_nc_u32_e32 v6, 0xffffff81, v6
	v_lshrrev_b32_e32 v8, 23, v10
	s_mov_b32 s7, exec_lo
	s_delay_alu instid0(VALU_DEP_2) | instskip(NEXT) | instid1(VALU_DEP_1)
	v_cndmask_b32_e64 v6, v6, 0xffffff82, vcc_lo
	v_add3_u32 v8, v7, v6, v8
	v_and_b32_e32 v6, 0xfffff, v14
	s_delay_alu instid0(VALU_DEP_1) | instskip(NEXT) | instid1(VALU_DEP_1)
	v_dual_add_nc_u32 v7, 6, v8 :: v_dual_add_nc_u32 v52, v6, v10
                                        ; implicit-def: $vgpr10_vgpr11
                                        ; implicit-def: $vgpr6
	v_cmpx_ne_u32_e32 0, v7
	s_xor_b32 s7, exec_lo, s7
; %bb.8279:                             ;   in Loop: Header=BB6_6801 Depth=2
	s_delay_alu instid0(VALU_DEP_2) | instskip(SKIP_1) | instid1(VALU_DEP_1)
	v_cmp_lt_u64_e32 vcc_lo, 0xffffff, v[52:53]
	v_add_nc_u32_e32 v6, 7, v8
	v_cndmask_b32_e32 v6, v7, v6, vcc_lo
	v_cndmask_b32_e64 v7, 0, 1, vcc_lo
	s_delay_alu instid0(VALU_DEP_1)
	v_lshrrev_b64 v[10:11], v7, v[52:53]
; %bb.8280:                             ;   in Loop: Header=BB6_6801 Depth=2
	s_and_not1_saveexec_b32 s7, s7
; %bb.8281:                             ;   in Loop: Header=BB6_6801 Depth=2
	v_mov_b64_e32 v[10:11], v[52:53]
	v_bfe_u32 v6, v52, 23, 1
; %bb.8282:                             ;   in Loop: Header=BB6_6801 Depth=2
	s_or_b32 exec_lo, exec_lo, s7
	s_delay_alu instid0(VALU_DEP_2) | instskip(NEXT) | instid1(VALU_DEP_2)
	v_lshrrev_b64 v[8:9], 20, v[10:11]
	v_cmp_gt_i32_e32 vcc_lo, 16, v6
	v_min_i32_e32 v7, 15, v6
	v_cmp_eq_u32_e64 s7, 0, v6
	s_delay_alu instid0(VALU_DEP_2) | instskip(SKIP_1) | instid1(VALU_DEP_2)
	v_dual_cndmask_b32 v9, 0, v9, vcc_lo :: v_dual_lshlrev_b32 v7, 3, v7
	v_cndmask_b32_e32 v8, 7, v8, vcc_lo
	v_and_b32_e32 v7, 0xf8, v7
	s_delay_alu instid0(VALU_DEP_2) | instskip(NEXT) | instid1(VALU_DEP_2)
	v_cmp_eq_u64_e32 vcc_lo, 0, v[8:9]
	v_and_or_b32 v6, v8, 7, v7
	s_and_b32 s7, s7, vcc_lo
	s_delay_alu instid0(VALU_DEP_1) | instid1(SALU_CYCLE_1)
	v_cndmask_b32_e64 v6, v6, 0, s7
	s_delay_alu instid0(VALU_DEP_1)
	v_or_b32_e32 v47, v6, v5
.LBB6_8283:                             ;   in Loop: Header=BB6_6801 Depth=2
	s_or_b32 exec_lo, exec_lo, s42
                                        ; implicit-def: $vgpr5
.LBB6_8284:                             ;   in Loop: Header=BB6_6801 Depth=2
	s_and_not1_saveexec_b32 s7, s41
; %bb.8285:                             ;   in Loop: Header=BB6_6801 Depth=2
	v_or_b32_e32 v47, 0x7e, v5
; %bb.8286:                             ;   in Loop: Header=BB6_6801 Depth=2
	s_or_b32 exec_lo, exec_lo, s7
                                        ; implicit-def: $vgpr5
.LBB6_8287:                             ;   in Loop: Header=BB6_6801 Depth=2
	s_and_not1_saveexec_b32 s7, s40
; %bb.8288:                             ;   in Loop: Header=BB6_6801 Depth=2
	v_or_b32_e32 v47, 0x7f, v5
; %bb.8289:                             ;   in Loop: Header=BB6_6801 Depth=2
	s_or_b32 exec_lo, exec_lo, s7
	v_mov_b32_e32 v6, 0
	s_mov_b32 s7, exec_lo
	v_cmpx_lt_u64_e64 s[12:13], v[12:13]
	s_cbranch_execz .LBB6_8297
; %bb.8290:                             ;   in Loop: Header=BB6_6801 Depth=2
	v_lshrrev_b32_e32 v5, 24, v13
	v_bfrev_b32_e32 v6, 1
	s_mov_b32 s40, exec_lo
	s_delay_alu instid0(VALU_DEP_2)
	v_cmpx_ne_u32_e32 0x80, v5
	s_cbranch_execz .LBB6_8296
; %bb.8291:                             ;   in Loop: Header=BB6_6801 Depth=2
	v_bfe_u32 v7, v13, 24, 7
	v_mov_b32_e32 v6, 0x7f800001
	s_mov_b32 s41, exec_lo
	s_delay_alu instid0(VALU_DEP_2)
	v_cmpx_ne_u32_e32 0x7f, v7
	s_cbranch_execz .LBB6_8295
; %bb.8292:                             ;   in Loop: Header=BB6_6801 Depth=2
	v_dual_lshrrev_b32 v6, 3, v7 :: v_dual_bitop2_b32 v52, 7, v5 bitop3:0x40
	s_mov_b32 s42, exec_lo
	s_delay_alu instid0(VALU_DEP_1)
	v_mov_b64_e32 v[10:11], v[52:53]
	v_cmpx_gt_u32_e32 8, v7
; %bb.8293:                             ;   in Loop: Header=BB6_6801 Depth=2
	v_clz_i32_u32_e32 v6, v52
	s_delay_alu instid0(VALU_DEP_1) | instskip(NEXT) | instid1(VALU_DEP_1)
	v_min_u32_e32 v6, 32, v6
	v_subrev_nc_u32_e32 v7, 28, v6
	s_delay_alu instid0(VALU_DEP_1) | instskip(NEXT) | instid1(VALU_DEP_1)
	v_lshlrev_b64_e32 v[8:9], v7, v[52:53]
	v_dual_sub_nc_u32 v6, 29, v6 :: v_dual_bitop2_b32 v10, 7, v8 bitop3:0x40
; %bb.8294:                             ;   in Loop: Header=BB6_6801 Depth=2
	s_or_b32 exec_lo, exec_lo, s42
	s_delay_alu instid0(VALU_DEP_1) | instskip(NEXT) | instid1(VALU_DEP_2)
	v_dual_lshlrev_b32 v5, 24, v5 :: v_dual_lshlrev_b32 v7, 20, v10
	v_lshl_add_u32 v6, v6, 23, 0x3c000000
	s_delay_alu instid0(VALU_DEP_2) | instskip(NEXT) | instid1(VALU_DEP_1)
	v_and_b32_e32 v5, 0x80000000, v5
	v_or3_b32 v6, v7, v5, v6
.LBB6_8295:                             ;   in Loop: Header=BB6_6801 Depth=2
	s_or_b32 exec_lo, exec_lo, s41
.LBB6_8296:                             ;   in Loop: Header=BB6_6801 Depth=2
	s_delay_alu instid0(SALU_CYCLE_1)
	s_or_b32 exec_lo, exec_lo, s40
.LBB6_8297:                             ;   in Loop: Header=BB6_6801 Depth=2
	s_delay_alu instid0(SALU_CYCLE_1) | instskip(NEXT) | instid1(VALU_DEP_1)
	s_or_b32 exec_lo, exec_lo, s7
	v_mul_f32_e32 v6, s29, v6
                                        ; implicit-def: $vgpr58
	s_mov_b32 s7, exec_lo
	s_delay_alu instid0(VALU_DEP_1) | instskip(SKIP_1) | instid1(VALU_DEP_2)
	v_and_b32_e32 v52, 0x7f800000, v6
	v_lshrrev_b32_e32 v5, 24, v6
	v_cmpx_ne_u64_e32 0x7f800000, v[52:53]
	s_xor_b32 s29, exec_lo, s7
	s_cbranch_execz .LBB6_8311
; %bb.8298:                             ;   in Loop: Header=BB6_6801 Depth=2
	v_and_b32_e32 v52, 0x7fffffff, v6
	v_and_b32_e32 v5, 0x80, v5
                                        ; implicit-def: $vgpr58
	s_mov_b32 s7, exec_lo
	s_delay_alu instid0(VALU_DEP_2)
	v_cmpx_gt_u64_e32 0x43e00001, v[52:53]
	s_xor_b32 s40, exec_lo, s7
	s_cbranch_execz .LBB6_8308
; %bb.8299:                             ;   in Loop: Header=BB6_6801 Depth=2
	v_mov_b32_e32 v58, 0
	s_mov_b32 s41, exec_lo
	v_cmpx_ne_u32_e32 0, v6
	s_cbranch_execz .LBB6_8307
; %bb.8300:                             ;   in Loop: Header=BB6_6801 Depth=2
	v_and_b32_e32 v8, 0x7fffff, v6
	v_bfe_u32 v6, v6, 23, 8
	s_delay_alu instid0(VALU_DEP_2) | instskip(NEXT) | instid1(VALU_DEP_2)
	v_or_b32_e32 v9, 0x800000, v8
	v_cmp_eq_u32_e32 vcc_lo, 0, v6
	v_cmp_gt_u32_e64 s7, 0x7a, v6
	s_delay_alu instid0(VALU_DEP_3) | instskip(NEXT) | instid1(VALU_DEP_1)
	v_dual_cndmask_b32 v52, v9, v8 :: v_dual_sub_nc_u32 v7, 0x79, v6
	v_cndmask_b32_e64 v7, 0, v7, s7
	s_delay_alu instid0(VALU_DEP_1) | instskip(NEXT) | instid1(VALU_DEP_1)
	v_cndmask_b32_e64 v7, v7, 0x78, vcc_lo
	v_dual_add_nc_u32 v8, 20, v7 :: v_dual_add_nc_u32 v10, 19, v7
	s_delay_alu instid0(VALU_DEP_1) | instskip(NEXT) | instid1(VALU_DEP_2)
	v_lshlrev_b64_e64 v[8:9], v8, -1
	v_lshlrev_b64_e64 v[10:11], v10, 1
	s_delay_alu instid0(VALU_DEP_2) | instskip(NEXT) | instid1(VALU_DEP_3)
	v_bfi_b32 v9, v9, 0, 0
	v_bfi_b32 v8, v8, 0, v52
	s_delay_alu instid0(VALU_DEP_1) | instskip(SKIP_1) | instid1(VALU_DEP_1)
	v_cmp_eq_u64_e64 s7, v[8:9], v[10:11]
	v_lshrrev_b64 v[10:11], v7, v[52:53]
	v_mov_b64_e32 v[12:13], v[10:11]
	s_and_saveexec_b32 s42, s7
; %bb.8301:                             ;   in Loop: Header=BB6_6801 Depth=2
	v_bfe_u32 v52, v10, 20, 1
	s_delay_alu instid0(VALU_DEP_1) | instskip(NEXT) | instid1(VALU_DEP_1)
	v_add_nc_u64_e32 v[8:9], v[10:11], v[52:53]
	v_add_nc_u64_e32 v[12:13], -1, v[8:9]
; %bb.8302:                             ;   in Loop: Header=BB6_6801 Depth=2
	s_or_b32 exec_lo, exec_lo, s42
	v_add_nc_u32_e32 v6, 0xffffff81, v6
	v_lshrrev_b32_e32 v8, 23, v10
	s_mov_b32 s7, exec_lo
	s_delay_alu instid0(VALU_DEP_2) | instskip(NEXT) | instid1(VALU_DEP_1)
	v_cndmask_b32_e64 v6, v6, 0xffffff82, vcc_lo
	v_add3_u32 v8, v7, v6, v8
	v_and_b32_e32 v6, 0xfffff, v12
	s_delay_alu instid0(VALU_DEP_1) | instskip(NEXT) | instid1(VALU_DEP_1)
	v_dual_add_nc_u32 v7, 6, v8 :: v_dual_add_nc_u32 v52, v6, v10
                                        ; implicit-def: $vgpr10_vgpr11
                                        ; implicit-def: $vgpr6
	v_cmpx_ne_u32_e32 0, v7
	s_xor_b32 s7, exec_lo, s7
; %bb.8303:                             ;   in Loop: Header=BB6_6801 Depth=2
	s_delay_alu instid0(VALU_DEP_2) | instskip(SKIP_1) | instid1(VALU_DEP_1)
	v_cmp_lt_u64_e32 vcc_lo, 0xffffff, v[52:53]
	v_add_nc_u32_e32 v6, 7, v8
	v_cndmask_b32_e32 v6, v7, v6, vcc_lo
	v_cndmask_b32_e64 v7, 0, 1, vcc_lo
	s_delay_alu instid0(VALU_DEP_1)
	v_lshrrev_b64 v[10:11], v7, v[52:53]
; %bb.8304:                             ;   in Loop: Header=BB6_6801 Depth=2
	s_and_not1_saveexec_b32 s7, s7
; %bb.8305:                             ;   in Loop: Header=BB6_6801 Depth=2
	v_mov_b64_e32 v[10:11], v[52:53]
	v_bfe_u32 v6, v52, 23, 1
; %bb.8306:                             ;   in Loop: Header=BB6_6801 Depth=2
	s_or_b32 exec_lo, exec_lo, s7
	s_delay_alu instid0(VALU_DEP_2) | instskip(NEXT) | instid1(VALU_DEP_2)
	v_lshrrev_b64 v[8:9], 20, v[10:11]
	v_cmp_gt_i32_e32 vcc_lo, 16, v6
	v_min_i32_e32 v7, 15, v6
	v_cmp_eq_u32_e64 s7, 0, v6
	s_delay_alu instid0(VALU_DEP_2) | instskip(SKIP_1) | instid1(VALU_DEP_2)
	v_dual_cndmask_b32 v9, 0, v9, vcc_lo :: v_dual_lshlrev_b32 v7, 3, v7
	v_cndmask_b32_e32 v8, 7, v8, vcc_lo
	v_and_b32_e32 v7, 0xf8, v7
	s_delay_alu instid0(VALU_DEP_2) | instskip(NEXT) | instid1(VALU_DEP_2)
	v_cmp_eq_u64_e32 vcc_lo, 0, v[8:9]
	v_and_or_b32 v6, v8, 7, v7
	s_and_b32 s7, s7, vcc_lo
	s_delay_alu instid0(VALU_DEP_1) | instid1(SALU_CYCLE_1)
	v_cndmask_b32_e64 v6, v6, 0, s7
	s_delay_alu instid0(VALU_DEP_1)
	v_or_b32_e32 v58, v6, v5
.LBB6_8307:                             ;   in Loop: Header=BB6_6801 Depth=2
	s_or_b32 exec_lo, exec_lo, s41
                                        ; implicit-def: $vgpr5
.LBB6_8308:                             ;   in Loop: Header=BB6_6801 Depth=2
	s_and_not1_saveexec_b32 s7, s40
; %bb.8309:                             ;   in Loop: Header=BB6_6801 Depth=2
	v_or_b32_e32 v58, 0x7e, v5
; %bb.8310:                             ;   in Loop: Header=BB6_6801 Depth=2
	s_or_b32 exec_lo, exec_lo, s7
                                        ; implicit-def: $vgpr5
.LBB6_8311:                             ;   in Loop: Header=BB6_6801 Depth=2
	s_and_not1_saveexec_b32 s7, s29
; %bb.8312:                             ;   in Loop: Header=BB6_6801 Depth=2
	v_or_b32_e32 v58, 0x7f, v5
; %bb.8313:                             ;   in Loop: Header=BB6_6801 Depth=2
	s_or_b32 exec_lo, exec_lo, s7
	s_clause 0x3
	global_load_b128 v[22:25], v[102:103], off th:TH_LOAD_NT
	global_load_b128 v[18:21], v[102:103], off offset:512 th:TH_LOAD_NT
	global_load_b128 v[14:17], v[102:103], off offset:1024 th:TH_LOAD_NT
	;; [unrolled: 1-line block ×3, first 2 shown]
	v_lshl_or_b32 v5, v50, 8, v112
	v_dual_lshlrev_b32 v6, 16, v113 :: v_dual_lshlrev_b32 v4, 24, v4
	s_mov_b32 s7, exec_lo
	s_delay_alu instid0(VALU_DEP_1)
	v_or3_b32 v52, v6, v4, v5
	v_dual_mov_b32 v4, 0 :: v_dual_mov_b32 v6, 0
	s_wait_xcnt 0x0
	v_cmpx_ne_u32_e32 0, v112
	s_cbranch_execz .LBB6_8319
; %bb.8314:                             ;   in Loop: Header=BB6_6801 Depth=2
	v_bfrev_b32_e32 v6, 1
	s_mov_b32 s29, exec_lo
	v_cmpx_ne_u32_e32 0x80, v112
	s_cbranch_execz .LBB6_8318
; %bb.8315:                             ;   in Loop: Header=BB6_6801 Depth=2
	v_and_b32_e32 v7, 0x7f, v112
	v_mov_b32_e32 v6, 0x7f800001
	s_mov_b32 s40, exec_lo
	s_delay_alu instid0(VALU_DEP_2)
	v_cmpx_ne_u32_e32 0x7f, v7
	s_cbranch_execz .LBB6_8317
; %bb.8316:                             ;   in Loop: Header=BB6_6801 Depth=2
	v_dual_lshrrev_b32 v8, 3, v7 :: v_dual_bitop2_b32 v6, 7, v112 bitop3:0x40
	v_cmp_gt_u32_e32 vcc_lo, 8, v7
	s_delay_alu instid0(VALU_DEP_2) | instskip(NEXT) | instid1(VALU_DEP_1)
	v_clz_i32_u32_e32 v6, v6
	v_min_u32_e32 v6, 32, v6
	s_delay_alu instid0(VALU_DEP_1) | instskip(SKIP_1) | instid1(VALU_DEP_1)
	v_subrev_nc_u32_e32 v7, 28, v6
	v_sub_nc_u32_e32 v6, 29, v6
	v_dual_cndmask_b32 v8, v8, v6, vcc_lo :: v_dual_cndmask_b32 v6, 0, v7, vcc_lo
	s_delay_alu instid0(VALU_DEP_1) | instskip(NEXT) | instid1(VALU_DEP_2)
	v_lshl_add_u32 v8, v8, 23, 0x3c000000
	v_lshlrev_b64_e32 v[6:7], v6, v[52:53]
	v_lshlrev_b32_e32 v7, 24, v52
	s_delay_alu instid0(VALU_DEP_1) | instskip(NEXT) | instid1(VALU_DEP_3)
	v_and_b32_e32 v7, 0x80000000, v7
	v_lshlrev_b32_e32 v6, 20, v6
	s_delay_alu instid0(VALU_DEP_1) | instskip(NEXT) | instid1(VALU_DEP_1)
	v_and_b32_e32 v6, 0x700000, v6
	v_or3_b32 v6, v6, v7, v8
.LBB6_8317:                             ;   in Loop: Header=BB6_6801 Depth=2
	s_or_b32 exec_lo, exec_lo, s40
.LBB6_8318:                             ;   in Loop: Header=BB6_6801 Depth=2
	s_delay_alu instid0(SALU_CYCLE_1)
	s_or_b32 exec_lo, exec_lo, s29
.LBB6_8319:                             ;   in Loop: Header=BB6_6801 Depth=2
	s_delay_alu instid0(SALU_CYCLE_1) | instskip(SKIP_3) | instid1(VALU_DEP_1)
	s_or_b32 exec_lo, exec_lo, s7
	s_wait_loadcnt 0x3
	v_and_b32_e32 v7, 0xff, v22
	s_mov_b32 s7, exec_lo
	v_cmpx_ne_u16_e32 0, v7
	s_cbranch_execz .LBB6_8325
; %bb.8320:                             ;   in Loop: Header=BB6_6801 Depth=2
	v_bfrev_b32_e32 v4, 1
	s_mov_b32 s29, exec_lo
	v_cmpx_ne_u16_e32 0x80, v7
	s_cbranch_execz .LBB6_8324
; %bb.8321:                             ;   in Loop: Header=BB6_6801 Depth=2
	v_and_b32_e32 v7, 0x7f, v22
	v_mov_b32_e32 v4, 0x7f800001
	s_mov_b32 s40, exec_lo
	s_delay_alu instid0(VALU_DEP_2)
	v_cmpx_ne_u32_e32 0x7f, v7
	s_cbranch_execz .LBB6_8323
; %bb.8322:                             ;   in Loop: Header=BB6_6801 Depth=2
	v_dual_lshrrev_b32 v8, 3, v7 :: v_dual_bitop2_b32 v4, 7, v22 bitop3:0x40
	v_cmp_gt_u32_e32 vcc_lo, 8, v7
	s_delay_alu instid0(VALU_DEP_2) | instskip(NEXT) | instid1(VALU_DEP_1)
	v_clz_i32_u32_e32 v4, v4
	v_min_u32_e32 v4, 32, v4
	s_delay_alu instid0(VALU_DEP_1) | instskip(NEXT) | instid1(VALU_DEP_1)
	v_subrev_nc_u32_e32 v7, 28, v4
	v_dual_cndmask_b32 v7, 0, v7 :: v_dual_sub_nc_u32 v4, 29, v4
	s_delay_alu instid0(VALU_DEP_1) | instskip(NEXT) | instid1(VALU_DEP_2)
	v_cndmask_b32_e32 v4, v8, v4, vcc_lo
	v_lshlrev_b64_e32 v[8:9], v7, v[22:23]
	s_delay_alu instid0(VALU_DEP_1) | instskip(NEXT) | instid1(VALU_DEP_3)
	v_dual_lshlrev_b32 v7, 20, v8 :: v_dual_lshlrev_b32 v8, 24, v22
	v_lshl_add_u32 v4, v4, 23, 0x3c000000
	s_delay_alu instid0(VALU_DEP_2) | instskip(NEXT) | instid1(VALU_DEP_3)
	v_and_b32_e32 v7, 0x700000, v7
	v_and_b32_e32 v8, 0x80000000, v8
	s_delay_alu instid0(VALU_DEP_1)
	v_or3_b32 v4, v7, v8, v4
.LBB6_8323:                             ;   in Loop: Header=BB6_6801 Depth=2
	s_or_b32 exec_lo, exec_lo, s40
.LBB6_8324:                             ;   in Loop: Header=BB6_6801 Depth=2
	s_delay_alu instid0(SALU_CYCLE_1)
	s_or_b32 exec_lo, exec_lo, s29
.LBB6_8325:                             ;   in Loop: Header=BB6_6801 Depth=2
	s_delay_alu instid0(SALU_CYCLE_1) | instskip(NEXT) | instid1(VALU_DEP_1)
	s_or_b32 exec_lo, exec_lo, s7
	v_dual_add_f32 v6, v6, v4 :: v_dual_mov_b32 v9, v53
                                        ; implicit-def: $vgpr43
	s_mov_b32 s7, exec_lo
	s_delay_alu instid0(VALU_DEP_1) | instskip(SKIP_1) | instid1(VALU_DEP_2)
	v_and_b32_e32 v8, 0x7f800000, v6
	v_lshrrev_b32_e32 v4, 24, v6
	v_cmpx_ne_u64_e32 0x7f800000, v[8:9]
	s_xor_b32 s29, exec_lo, s7
	s_cbranch_execz .LBB6_8339
; %bb.8326:                             ;   in Loop: Header=BB6_6801 Depth=2
	v_and_b32_e32 v8, 0x7fffffff, v6
	v_mov_b32_e32 v9, v53
	v_and_b32_e32 v4, 0x80, v4
                                        ; implicit-def: $vgpr43
	s_mov_b32 s7, exec_lo
	s_delay_alu instid0(VALU_DEP_2)
	v_cmpx_gt_u64_e32 0x43e00001, v[8:9]
	s_xor_b32 s40, exec_lo, s7
	s_cbranch_execz .LBB6_8336
; %bb.8327:                             ;   in Loop: Header=BB6_6801 Depth=2
	v_mov_b32_e32 v43, 0
	s_mov_b32 s41, exec_lo
	v_cmpx_ne_u32_e32 0, v6
	s_cbranch_execz .LBB6_8335
; %bb.8328:                             ;   in Loop: Header=BB6_6801 Depth=2
	v_and_b32_e32 v8, 0x7fffff, v6
	v_bfe_u32 v6, v6, 23, 8
	s_delay_alu instid0(VALU_DEP_2) | instskip(NEXT) | instid1(VALU_DEP_2)
	v_or_b32_e32 v9, 0x800000, v8
	v_cmp_eq_u32_e32 vcc_lo, 0, v6
	v_cmp_gt_u32_e64 s7, 0x7a, v6
	s_delay_alu instid0(VALU_DEP_3) | instskip(NEXT) | instid1(VALU_DEP_1)
	v_dual_cndmask_b32 v8, v9, v8 :: v_dual_sub_nc_u32 v7, 0x79, v6
	v_dual_mov_b32 v9, v53 :: v_dual_cndmask_b32 v7, 0, v7, s7
	s_delay_alu instid0(VALU_DEP_1) | instskip(NEXT) | instid1(VALU_DEP_1)
	v_cndmask_b32_e64 v7, v7, 0x78, vcc_lo
	v_add_nc_u32_e32 v30, 20, v7
	s_delay_alu instid0(VALU_DEP_1) | instskip(SKIP_1) | instid1(VALU_DEP_1)
	v_lshlrev_b64_e64 v[38:39], v30, -1
	v_add_nc_u32_e32 v30, 19, v7
	v_lshlrev_b64_e64 v[112:113], v30, 1
	s_delay_alu instid0(VALU_DEP_3) | instskip(NEXT) | instid1(VALU_DEP_4)
	v_bfi_b32 v39, v39, 0, 0
	v_bfi_b32 v38, v38, 0, v8
	s_delay_alu instid0(VALU_DEP_1) | instskip(SKIP_1) | instid1(VALU_DEP_1)
	v_cmp_eq_u64_e64 s7, v[38:39], v[112:113]
	v_lshrrev_b64 v[112:113], v7, v[8:9]
	v_mov_b64_e32 v[114:115], v[112:113]
	s_and_saveexec_b32 s42, s7
; %bb.8329:                             ;   in Loop: Header=BB6_6801 Depth=2
	v_bfe_u32 v8, v112, 20, 1
	v_mov_b32_e32 v9, v53
	s_delay_alu instid0(VALU_DEP_1) | instskip(NEXT) | instid1(VALU_DEP_1)
	v_add_nc_u64_e32 v[8:9], v[112:113], v[8:9]
	v_add_nc_u64_e32 v[114:115], -1, v[8:9]
; %bb.8330:                             ;   in Loop: Header=BB6_6801 Depth=2
	s_or_b32 exec_lo, exec_lo, s42
	v_dual_mov_b32 v113, v53 :: v_dual_add_nc_u32 v6, 0xffffff81, v6
	v_lshrrev_b32_e32 v8, 23, v112
	s_mov_b32 s7, exec_lo
	s_delay_alu instid0(VALU_DEP_2) | instskip(NEXT) | instid1(VALU_DEP_1)
	v_cndmask_b32_e64 v6, v6, 0xffffff82, vcc_lo
	v_add3_u32 v8, v7, v6, v8
	v_and_b32_e32 v6, 0xfffff, v114
	s_delay_alu instid0(VALU_DEP_2) | instskip(NEXT) | instid1(VALU_DEP_2)
	v_add_nc_u32_e32 v7, 6, v8
	v_add_nc_u32_e32 v112, v6, v112
                                        ; implicit-def: $vgpr6
	s_delay_alu instid0(VALU_DEP_2)
	v_cmpx_ne_u32_e32 0, v7
	s_xor_b32 s7, exec_lo, s7
; %bb.8331:                             ;   in Loop: Header=BB6_6801 Depth=2
	s_delay_alu instid0(VALU_DEP_2) | instskip(SKIP_1) | instid1(VALU_DEP_1)
	v_cmp_lt_u64_e32 vcc_lo, 0xffffff, v[112:113]
	v_add_nc_u32_e32 v6, 7, v8
	v_cndmask_b32_e32 v6, v7, v6, vcc_lo
	v_cndmask_b32_e64 v7, 0, 1, vcc_lo
	s_delay_alu instid0(VALU_DEP_1)
	v_lshrrev_b64 v[112:113], v7, v[112:113]
; %bb.8332:                             ;   in Loop: Header=BB6_6801 Depth=2
	s_and_not1_saveexec_b32 s7, s7
; %bb.8333:                             ;   in Loop: Header=BB6_6801 Depth=2
	s_delay_alu instid0(VALU_DEP_1)
	v_bfe_u32 v6, v112, 23, 1
; %bb.8334:                             ;   in Loop: Header=BB6_6801 Depth=2
	s_or_b32 exec_lo, exec_lo, s7
	s_delay_alu instid0(VALU_DEP_2) | instskip(NEXT) | instid1(VALU_DEP_2)
	v_lshrrev_b64 v[8:9], 20, v[112:113]
	v_cmp_gt_i32_e32 vcc_lo, 16, v6
	v_min_i32_e32 v7, 15, v6
	v_cmp_eq_u32_e64 s7, 0, v6
	s_delay_alu instid0(VALU_DEP_2) | instskip(SKIP_1) | instid1(VALU_DEP_2)
	v_dual_cndmask_b32 v9, 0, v9, vcc_lo :: v_dual_lshlrev_b32 v7, 3, v7
	v_cndmask_b32_e32 v8, 7, v8, vcc_lo
	v_and_b32_e32 v7, 0xf8, v7
	s_delay_alu instid0(VALU_DEP_2) | instskip(NEXT) | instid1(VALU_DEP_2)
	v_cmp_eq_u64_e32 vcc_lo, 0, v[8:9]
	v_and_or_b32 v6, v8, 7, v7
	s_and_b32 s7, s7, vcc_lo
	s_delay_alu instid0(VALU_DEP_1) | instid1(SALU_CYCLE_1)
	v_cndmask_b32_e64 v6, v6, 0, s7
	s_delay_alu instid0(VALU_DEP_1)
	v_or_b32_e32 v43, v6, v4
.LBB6_8335:                             ;   in Loop: Header=BB6_6801 Depth=2
	s_or_b32 exec_lo, exec_lo, s41
                                        ; implicit-def: $vgpr4
.LBB6_8336:                             ;   in Loop: Header=BB6_6801 Depth=2
	s_and_not1_saveexec_b32 s7, s40
; %bb.8337:                             ;   in Loop: Header=BB6_6801 Depth=2
	v_or_b32_e32 v43, 0x7e, v4
; %bb.8338:                             ;   in Loop: Header=BB6_6801 Depth=2
	s_or_b32 exec_lo, exec_lo, s7
                                        ; implicit-def: $vgpr4
.LBB6_8339:                             ;   in Loop: Header=BB6_6801 Depth=2
	s_and_not1_saveexec_b32 s7, s29
; %bb.8340:                             ;   in Loop: Header=BB6_6801 Depth=2
	v_or_b32_e32 v43, 0x7f, v4
; %bb.8341:                             ;   in Loop: Header=BB6_6801 Depth=2
	s_or_b32 exec_lo, exec_lo, s7
	v_lshrrev_b16 v7, 8, v5
	v_dual_mov_b32 v4, 0 :: v_dual_mov_b32 v6, 0
	s_mov_b32 s7, exec_lo
	s_delay_alu instid0(VALU_DEP_2)
	v_cmpx_ne_u16_e32 0, v7
	s_cbranch_execz .LBB6_8349
; %bb.8342:                             ;   in Loop: Header=BB6_6801 Depth=2
	v_bfrev_b32_e32 v6, 1
	s_mov_b32 s29, exec_lo
	v_cmpx_ne_u16_e32 0x80, v7
	s_cbranch_execz .LBB6_8348
; %bb.8343:                             ;   in Loop: Header=BB6_6801 Depth=2
	v_and_b32_e32 v8, 0xffff, v7
	v_mov_b32_e32 v6, 0x7f800001
	s_mov_b32 s40, exec_lo
	s_delay_alu instid0(VALU_DEP_2) | instskip(NEXT) | instid1(VALU_DEP_1)
	v_and_b32_e32 v7, 0x7f, v8
	v_cmpx_ne_u32_e32 0x7f, v7
	s_cbranch_execz .LBB6_8347
; %bb.8344:                             ;   in Loop: Header=BB6_6801 Depth=2
	v_dual_mov_b32 v113, v53 :: v_dual_bitop2_b32 v112, 7, v8 bitop3:0x40
	v_lshrrev_b32_e32 v6, 3, v7
	s_mov_b32 s41, exec_lo
	v_cmpx_gt_u32_e32 8, v7
; %bb.8345:                             ;   in Loop: Header=BB6_6801 Depth=2
	s_delay_alu instid0(VALU_DEP_3) | instskip(NEXT) | instid1(VALU_DEP_1)
	v_clz_i32_u32_e32 v6, v112
	v_min_u32_e32 v6, 32, v6
	s_delay_alu instid0(VALU_DEP_1) | instskip(NEXT) | instid1(VALU_DEP_1)
	v_subrev_nc_u32_e32 v7, 28, v6
	v_lshlrev_b64_e32 v[8:9], v7, v[112:113]
	s_delay_alu instid0(VALU_DEP_1)
	v_dual_sub_nc_u32 v6, 29, v6 :: v_dual_bitop2_b32 v112, 7, v8 bitop3:0x40
; %bb.8346:                             ;   in Loop: Header=BB6_6801 Depth=2
	s_or_b32 exec_lo, exec_lo, s41
	s_delay_alu instid0(VALU_DEP_1) | instskip(NEXT) | instid1(VALU_DEP_2)
	v_dual_lshlrev_b32 v5, 16, v5 :: v_dual_lshlrev_b32 v7, 20, v112
	v_lshl_add_u32 v6, v6, 23, 0x3c000000
	s_delay_alu instid0(VALU_DEP_2) | instskip(NEXT) | instid1(VALU_DEP_1)
	v_and_b32_e32 v5, 0x80000000, v5
	v_or3_b32 v6, v7, v5, v6
.LBB6_8347:                             ;   in Loop: Header=BB6_6801 Depth=2
	s_or_b32 exec_lo, exec_lo, s40
.LBB6_8348:                             ;   in Loop: Header=BB6_6801 Depth=2
	s_delay_alu instid0(SALU_CYCLE_1)
	s_or_b32 exec_lo, exec_lo, s29
.LBB6_8349:                             ;   in Loop: Header=BB6_6801 Depth=2
	s_delay_alu instid0(SALU_CYCLE_1) | instskip(SKIP_2) | instid1(VALU_DEP_1)
	s_or_b32 exec_lo, exec_lo, s7
	v_lshrrev_b16 v5, 8, v22
	s_mov_b32 s7, exec_lo
	v_cmpx_ne_u16_e32 0, v5
	s_cbranch_execz .LBB6_8357
; %bb.8350:                             ;   in Loop: Header=BB6_6801 Depth=2
	v_bfrev_b32_e32 v4, 1
	s_mov_b32 s29, exec_lo
	v_cmpx_ne_u16_e32 0x80, v5
	s_cbranch_execz .LBB6_8356
; %bb.8351:                             ;   in Loop: Header=BB6_6801 Depth=2
	v_and_b32_e32 v7, 0xffff, v5
	v_mov_b32_e32 v4, 0x7f800001
	s_mov_b32 s40, exec_lo
	s_delay_alu instid0(VALU_DEP_2) | instskip(NEXT) | instid1(VALU_DEP_1)
	v_and_b32_e32 v5, 0x7f, v7
	v_cmpx_ne_u32_e32 0x7f, v5
	s_cbranch_execz .LBB6_8355
; %bb.8352:                             ;   in Loop: Header=BB6_6801 Depth=2
	v_dual_mov_b32 v113, v53 :: v_dual_bitop2_b32 v112, 7, v7 bitop3:0x40
	v_lshrrev_b32_e32 v4, 3, v5
	s_mov_b32 s41, exec_lo
	v_cmpx_gt_u32_e32 8, v5
; %bb.8353:                             ;   in Loop: Header=BB6_6801 Depth=2
	s_delay_alu instid0(VALU_DEP_3) | instskip(NEXT) | instid1(VALU_DEP_1)
	v_clz_i32_u32_e32 v4, v112
	v_min_u32_e32 v4, 32, v4
	s_delay_alu instid0(VALU_DEP_1) | instskip(SKIP_1) | instid1(VALU_DEP_2)
	v_subrev_nc_u32_e32 v5, 28, v4
	v_sub_nc_u32_e32 v4, 29, v4
	v_lshlrev_b64_e32 v[8:9], v5, v[112:113]
	s_delay_alu instid0(VALU_DEP_1)
	v_and_b32_e32 v112, 7, v8
; %bb.8354:                             ;   in Loop: Header=BB6_6801 Depth=2
	s_or_b32 exec_lo, exec_lo, s41
	s_delay_alu instid0(VALU_DEP_1) | instskip(SKIP_1) | instid1(VALU_DEP_2)
	v_dual_lshlrev_b32 v5, 16, v22 :: v_dual_lshlrev_b32 v7, 20, v112
	v_lshl_add_u32 v4, v4, 23, 0x3c000000
	v_and_b32_e32 v5, 0x80000000, v5
	s_delay_alu instid0(VALU_DEP_1)
	v_or3_b32 v4, v7, v5, v4
.LBB6_8355:                             ;   in Loop: Header=BB6_6801 Depth=2
	s_or_b32 exec_lo, exec_lo, s40
.LBB6_8356:                             ;   in Loop: Header=BB6_6801 Depth=2
	s_delay_alu instid0(SALU_CYCLE_1)
	s_or_b32 exec_lo, exec_lo, s29
.LBB6_8357:                             ;   in Loop: Header=BB6_6801 Depth=2
	s_delay_alu instid0(SALU_CYCLE_1) | instskip(NEXT) | instid1(VALU_DEP_1)
	s_or_b32 exec_lo, exec_lo, s7
	v_dual_add_f32 v5, v6, v4 :: v_dual_mov_b32 v7, v53
                                        ; implicit-def: $vgpr45
	s_mov_b32 s7, exec_lo
	s_delay_alu instid0(VALU_DEP_1) | instskip(SKIP_1) | instid1(VALU_DEP_2)
	v_and_b32_e32 v6, 0x7f800000, v5
	v_lshrrev_b32_e32 v4, 24, v5
	v_cmpx_ne_u64_e32 0x7f800000, v[6:7]
	s_xor_b32 s29, exec_lo, s7
	s_cbranch_execz .LBB6_8371
; %bb.8358:                             ;   in Loop: Header=BB6_6801 Depth=2
	v_and_b32_e32 v6, 0x7fffffff, v5
	v_mov_b32_e32 v7, v53
	v_and_b32_e32 v4, 0x80, v4
                                        ; implicit-def: $vgpr45
	s_mov_b32 s7, exec_lo
	s_delay_alu instid0(VALU_DEP_2)
	v_cmpx_gt_u64_e32 0x43e00001, v[6:7]
	s_xor_b32 s40, exec_lo, s7
	s_cbranch_execz .LBB6_8368
; %bb.8359:                             ;   in Loop: Header=BB6_6801 Depth=2
	v_mov_b32_e32 v45, 0
	s_mov_b32 s41, exec_lo
	v_cmpx_ne_u32_e32 0, v5
	s_cbranch_execz .LBB6_8367
; %bb.8360:                             ;   in Loop: Header=BB6_6801 Depth=2
	v_and_b32_e32 v7, 0x7fffff, v5
	v_bfe_u32 v5, v5, 23, 8
	v_mov_b32_e32 v9, v53
	s_delay_alu instid0(VALU_DEP_3) | instskip(NEXT) | instid1(VALU_DEP_3)
	v_or_b32_e32 v8, 0x800000, v7
	v_cmp_gt_u32_e64 s7, 0x7a, v5
	v_sub_nc_u32_e32 v6, 0x79, v5
	v_cmp_eq_u32_e32 vcc_lo, 0, v5
	s_delay_alu instid0(VALU_DEP_2) | instskip(NEXT) | instid1(VALU_DEP_1)
	v_dual_cndmask_b32 v6, 0, v6, s7 :: v_dual_cndmask_b32 v8, v8, v7, vcc_lo
	v_cndmask_b32_e64 v6, v6, 0x78, vcc_lo
	s_delay_alu instid0(VALU_DEP_1) | instskip(NEXT) | instid1(VALU_DEP_1)
	v_add_nc_u32_e32 v7, 20, v6
	v_lshlrev_b64_e64 v[38:39], v7, -1
	v_add_nc_u32_e32 v7, 19, v6
	s_delay_alu instid0(VALU_DEP_1) | instskip(NEXT) | instid1(VALU_DEP_3)
	v_lshlrev_b64_e64 v[112:113], v7, 1
	v_bfi_b32 v39, v39, 0, 0
	s_delay_alu instid0(VALU_DEP_4) | instskip(NEXT) | instid1(VALU_DEP_1)
	v_bfi_b32 v38, v38, 0, v8
	v_cmp_eq_u64_e64 s7, v[38:39], v[112:113]
	v_lshrrev_b64 v[112:113], v6, v[8:9]
	s_delay_alu instid0(VALU_DEP_1)
	v_mov_b64_e32 v[114:115], v[112:113]
	s_and_saveexec_b32 s42, s7
; %bb.8361:                             ;   in Loop: Header=BB6_6801 Depth=2
	v_bfe_u32 v8, v112, 20, 1
	v_mov_b32_e32 v9, v53
	s_delay_alu instid0(VALU_DEP_1) | instskip(NEXT) | instid1(VALU_DEP_1)
	v_add_nc_u64_e32 v[8:9], v[112:113], v[8:9]
	v_add_nc_u64_e32 v[114:115], -1, v[8:9]
; %bb.8362:                             ;   in Loop: Header=BB6_6801 Depth=2
	s_or_b32 exec_lo, exec_lo, s42
	v_add_nc_u32_e32 v5, 0xffffff81, v5
	v_lshrrev_b32_e32 v7, 23, v112
	s_mov_b32 s7, exec_lo
	v_mov_b32_e32 v113, v53
	s_delay_alu instid0(VALU_DEP_3) | instskip(NEXT) | instid1(VALU_DEP_1)
	v_cndmask_b32_e64 v5, v5, 0xffffff82, vcc_lo
	v_add3_u32 v7, v6, v5, v7
	v_and_b32_e32 v5, 0xfffff, v114
	s_delay_alu instid0(VALU_DEP_1) | instskip(NEXT) | instid1(VALU_DEP_1)
	v_dual_add_nc_u32 v6, 6, v7 :: v_dual_add_nc_u32 v112, v5, v112
                                        ; implicit-def: $vgpr5
	v_cmpx_ne_u32_e32 0, v6
	s_xor_b32 s7, exec_lo, s7
; %bb.8363:                             ;   in Loop: Header=BB6_6801 Depth=2
	s_delay_alu instid0(VALU_DEP_2) | instskip(SKIP_1) | instid1(VALU_DEP_1)
	v_cmp_lt_u64_e32 vcc_lo, 0xffffff, v[112:113]
	v_add_nc_u32_e32 v5, 7, v7
	v_cndmask_b32_e32 v5, v6, v5, vcc_lo
	v_cndmask_b32_e64 v6, 0, 1, vcc_lo
	s_delay_alu instid0(VALU_DEP_1)
	v_lshrrev_b64 v[112:113], v6, v[112:113]
; %bb.8364:                             ;   in Loop: Header=BB6_6801 Depth=2
	s_and_not1_saveexec_b32 s7, s7
; %bb.8365:                             ;   in Loop: Header=BB6_6801 Depth=2
	s_delay_alu instid0(VALU_DEP_1)
	v_bfe_u32 v5, v112, 23, 1
; %bb.8366:                             ;   in Loop: Header=BB6_6801 Depth=2
	s_or_b32 exec_lo, exec_lo, s7
	s_delay_alu instid0(VALU_DEP_2) | instskip(NEXT) | instid1(VALU_DEP_2)
	v_lshrrev_b64 v[6:7], 20, v[112:113]
	v_cmp_gt_i32_e32 vcc_lo, 16, v5
	v_min_i32_e32 v8, 15, v5
	v_cmp_eq_u32_e64 s7, 0, v5
	s_delay_alu instid0(VALU_DEP_2) | instskip(SKIP_1) | instid1(VALU_DEP_2)
	v_dual_cndmask_b32 v7, 0, v7 :: v_dual_lshlrev_b32 v8, 3, v8
	v_cndmask_b32_e32 v6, 7, v6, vcc_lo
	v_and_b32_e32 v8, 0xf8, v8
	s_delay_alu instid0(VALU_DEP_2) | instskip(NEXT) | instid1(VALU_DEP_2)
	v_cmp_eq_u64_e32 vcc_lo, 0, v[6:7]
	v_and_or_b32 v5, v6, 7, v8
	s_and_b32 s7, s7, vcc_lo
	s_delay_alu instid0(VALU_DEP_1) | instid1(SALU_CYCLE_1)
	v_cndmask_b32_e64 v5, v5, 0, s7
	s_delay_alu instid0(VALU_DEP_1)
	v_or_b32_e32 v45, v5, v4
.LBB6_8367:                             ;   in Loop: Header=BB6_6801 Depth=2
	s_or_b32 exec_lo, exec_lo, s41
                                        ; implicit-def: $vgpr4
.LBB6_8368:                             ;   in Loop: Header=BB6_6801 Depth=2
	s_and_not1_saveexec_b32 s7, s40
; %bb.8369:                             ;   in Loop: Header=BB6_6801 Depth=2
	v_or_b32_e32 v45, 0x7e, v4
; %bb.8370:                             ;   in Loop: Header=BB6_6801 Depth=2
	s_or_b32 exec_lo, exec_lo, s7
                                        ; implicit-def: $vgpr4
.LBB6_8371:                             ;   in Loop: Header=BB6_6801 Depth=2
	s_and_not1_saveexec_b32 s7, s29
; %bb.8372:                             ;   in Loop: Header=BB6_6801 Depth=2
	v_or_b32_e32 v45, 0x7f, v4
; %bb.8373:                             ;   in Loop: Header=BB6_6801 Depth=2
	s_or_b32 exec_lo, exec_lo, s7
	v_dual_lshrrev_b32 v6, 16, v52 :: v_dual_mov_b32 v4, 0
	v_mov_b32_e32 v5, 0
	s_mov_b32 s7, exec_lo
	s_delay_alu instid0(VALU_DEP_2) | instskip(NEXT) | instid1(VALU_DEP_1)
	v_and_b32_e32 v7, 0xff, v6
	v_cmpx_ne_u16_e32 0, v7
	s_cbranch_execz .LBB6_8381
; %bb.8374:                             ;   in Loop: Header=BB6_6801 Depth=2
	v_bfrev_b32_e32 v5, 1
	s_mov_b32 s29, exec_lo
	v_cmpx_ne_u16_e32 0x80, v7
	s_cbranch_execz .LBB6_8380
; %bb.8375:                             ;   in Loop: Header=BB6_6801 Depth=2
	v_bfe_u32 v7, v52, 16, 7
	v_mov_b32_e32 v5, 0x7f800001
	s_mov_b32 s40, exec_lo
	s_delay_alu instid0(VALU_DEP_2)
	v_cmpx_ne_u32_e32 0x7f, v7
	s_cbranch_execz .LBB6_8379
; %bb.8376:                             ;   in Loop: Header=BB6_6801 Depth=2
	v_dual_mov_b32 v113, v53 :: v_dual_bitop2_b32 v112, 7, v6 bitop3:0x40
	v_lshrrev_b32_e32 v5, 3, v7
	s_mov_b32 s41, exec_lo
	v_cmpx_gt_u32_e32 8, v7
; %bb.8377:                             ;   in Loop: Header=BB6_6801 Depth=2
	s_delay_alu instid0(VALU_DEP_3) | instskip(NEXT) | instid1(VALU_DEP_1)
	v_clz_i32_u32_e32 v5, v112
	v_min_u32_e32 v5, 32, v5
	s_delay_alu instid0(VALU_DEP_1) | instskip(NEXT) | instid1(VALU_DEP_1)
	v_subrev_nc_u32_e32 v7, 28, v5
	v_lshlrev_b64_e32 v[8:9], v7, v[112:113]
	s_delay_alu instid0(VALU_DEP_1)
	v_dual_sub_nc_u32 v5, 29, v5 :: v_dual_bitop2_b32 v112, 7, v8 bitop3:0x40
; %bb.8378:                             ;   in Loop: Header=BB6_6801 Depth=2
	s_or_b32 exec_lo, exec_lo, s41
	s_delay_alu instid0(VALU_DEP_1) | instskip(NEXT) | instid1(VALU_DEP_2)
	v_dual_lshlrev_b32 v6, 24, v6 :: v_dual_lshlrev_b32 v7, 20, v112
	v_lshl_add_u32 v5, v5, 23, 0x3c000000
	s_delay_alu instid0(VALU_DEP_2) | instskip(NEXT) | instid1(VALU_DEP_1)
	v_and_b32_e32 v6, 0x80000000, v6
	v_or3_b32 v5, v7, v6, v5
.LBB6_8379:                             ;   in Loop: Header=BB6_6801 Depth=2
	s_or_b32 exec_lo, exec_lo, s40
.LBB6_8380:                             ;   in Loop: Header=BB6_6801 Depth=2
	s_delay_alu instid0(SALU_CYCLE_1)
	s_or_b32 exec_lo, exec_lo, s29
.LBB6_8381:                             ;   in Loop: Header=BB6_6801 Depth=2
	s_delay_alu instid0(SALU_CYCLE_1) | instskip(SKIP_2) | instid1(VALU_DEP_1)
	s_or_b32 exec_lo, exec_lo, s7
	v_lshrrev_b32_e32 v6, 16, v22
	s_mov_b32 s7, exec_lo
	v_and_b32_e32 v7, 0xff, v6
	s_delay_alu instid0(VALU_DEP_1)
	v_cmpx_ne_u16_e32 0, v7
	s_cbranch_execz .LBB6_8389
; %bb.8382:                             ;   in Loop: Header=BB6_6801 Depth=2
	v_bfrev_b32_e32 v4, 1
	s_mov_b32 s29, exec_lo
	v_cmpx_ne_u16_e32 0x80, v7
	s_cbranch_execz .LBB6_8388
; %bb.8383:                             ;   in Loop: Header=BB6_6801 Depth=2
	v_bfe_u32 v7, v22, 16, 7
	v_mov_b32_e32 v4, 0x7f800001
	s_mov_b32 s40, exec_lo
	s_delay_alu instid0(VALU_DEP_2)
	v_cmpx_ne_u32_e32 0x7f, v7
	s_cbranch_execz .LBB6_8387
; %bb.8384:                             ;   in Loop: Header=BB6_6801 Depth=2
	v_dual_mov_b32 v113, v53 :: v_dual_bitop2_b32 v112, 7, v6 bitop3:0x40
	v_lshrrev_b32_e32 v4, 3, v7
	s_mov_b32 s41, exec_lo
	v_cmpx_gt_u32_e32 8, v7
; %bb.8385:                             ;   in Loop: Header=BB6_6801 Depth=2
	s_delay_alu instid0(VALU_DEP_3) | instskip(NEXT) | instid1(VALU_DEP_1)
	v_clz_i32_u32_e32 v4, v112
	v_min_u32_e32 v4, 32, v4
	s_delay_alu instid0(VALU_DEP_1) | instskip(NEXT) | instid1(VALU_DEP_1)
	v_subrev_nc_u32_e32 v6, 28, v4
	v_lshlrev_b64_e32 v[6:7], v6, v[112:113]
	s_delay_alu instid0(VALU_DEP_1)
	v_dual_sub_nc_u32 v4, 29, v4 :: v_dual_bitop2_b32 v112, 7, v6 bitop3:0x40
; %bb.8386:                             ;   in Loop: Header=BB6_6801 Depth=2
	s_or_b32 exec_lo, exec_lo, s41
	s_delay_alu instid0(VALU_DEP_1) | instskip(NEXT) | instid1(VALU_DEP_2)
	v_dual_lshlrev_b32 v6, 8, v22 :: v_dual_lshlrev_b32 v7, 20, v112
	v_lshl_add_u32 v4, v4, 23, 0x3c000000
	s_delay_alu instid0(VALU_DEP_2) | instskip(NEXT) | instid1(VALU_DEP_1)
	v_and_b32_e32 v6, 0x80000000, v6
	v_or3_b32 v4, v7, v6, v4
.LBB6_8387:                             ;   in Loop: Header=BB6_6801 Depth=2
	s_or_b32 exec_lo, exec_lo, s40
.LBB6_8388:                             ;   in Loop: Header=BB6_6801 Depth=2
	s_delay_alu instid0(SALU_CYCLE_1)
	s_or_b32 exec_lo, exec_lo, s29
.LBB6_8389:                             ;   in Loop: Header=BB6_6801 Depth=2
	s_delay_alu instid0(SALU_CYCLE_1) | instskip(NEXT) | instid1(VALU_DEP_1)
	s_or_b32 exec_lo, exec_lo, s7
	v_add_f32_e32 v5, v5, v4
	v_mov_b32_e32 v7, v53
                                        ; implicit-def: $vgpr46
	s_mov_b32 s7, exec_lo
	s_delay_alu instid0(VALU_DEP_2) | instskip(SKIP_1) | instid1(VALU_DEP_2)
	v_and_b32_e32 v6, 0x7f800000, v5
	v_lshrrev_b32_e32 v4, 24, v5
	v_cmpx_ne_u64_e32 0x7f800000, v[6:7]
	s_xor_b32 s29, exec_lo, s7
	s_cbranch_execz .LBB6_8403
; %bb.8390:                             ;   in Loop: Header=BB6_6801 Depth=2
	v_and_b32_e32 v6, 0x7fffffff, v5
	v_mov_b32_e32 v7, v53
	v_and_b32_e32 v4, 0x80, v4
                                        ; implicit-def: $vgpr46
	s_mov_b32 s7, exec_lo
	s_delay_alu instid0(VALU_DEP_2)
	v_cmpx_gt_u64_e32 0x43e00001, v[6:7]
	s_xor_b32 s40, exec_lo, s7
	s_cbranch_execz .LBB6_8400
; %bb.8391:                             ;   in Loop: Header=BB6_6801 Depth=2
	v_mov_b32_e32 v46, 0
	s_mov_b32 s41, exec_lo
	v_cmpx_ne_u32_e32 0, v5
	s_cbranch_execz .LBB6_8399
; %bb.8392:                             ;   in Loop: Header=BB6_6801 Depth=2
	v_and_b32_e32 v7, 0x7fffff, v5
	v_bfe_u32 v5, v5, 23, 8
	v_mov_b32_e32 v9, v53
	s_delay_alu instid0(VALU_DEP_3) | instskip(NEXT) | instid1(VALU_DEP_3)
	v_or_b32_e32 v8, 0x800000, v7
	v_cmp_gt_u32_e64 s7, 0x7a, v5
	v_sub_nc_u32_e32 v6, 0x79, v5
	v_cmp_eq_u32_e32 vcc_lo, 0, v5
	s_delay_alu instid0(VALU_DEP_2) | instskip(NEXT) | instid1(VALU_DEP_1)
	v_dual_cndmask_b32 v6, 0, v6, s7 :: v_dual_cndmask_b32 v8, v8, v7, vcc_lo
	v_cndmask_b32_e64 v6, v6, 0x78, vcc_lo
	s_delay_alu instid0(VALU_DEP_1) | instskip(NEXT) | instid1(VALU_DEP_1)
	v_add_nc_u32_e32 v7, 20, v6
	v_lshlrev_b64_e64 v[38:39], v7, -1
	v_add_nc_u32_e32 v7, 19, v6
	s_delay_alu instid0(VALU_DEP_1) | instskip(NEXT) | instid1(VALU_DEP_3)
	v_lshlrev_b64_e64 v[112:113], v7, 1
	v_bfi_b32 v39, v39, 0, 0
	s_delay_alu instid0(VALU_DEP_4) | instskip(NEXT) | instid1(VALU_DEP_1)
	v_bfi_b32 v38, v38, 0, v8
	v_cmp_eq_u64_e64 s7, v[38:39], v[112:113]
	v_lshrrev_b64 v[112:113], v6, v[8:9]
	s_delay_alu instid0(VALU_DEP_1)
	v_mov_b64_e32 v[114:115], v[112:113]
	s_and_saveexec_b32 s42, s7
; %bb.8393:                             ;   in Loop: Header=BB6_6801 Depth=2
	v_bfe_u32 v8, v112, 20, 1
	v_mov_b32_e32 v9, v53
	s_delay_alu instid0(VALU_DEP_1) | instskip(NEXT) | instid1(VALU_DEP_1)
	v_add_nc_u64_e32 v[8:9], v[112:113], v[8:9]
	v_add_nc_u64_e32 v[114:115], -1, v[8:9]
; %bb.8394:                             ;   in Loop: Header=BB6_6801 Depth=2
	s_or_b32 exec_lo, exec_lo, s42
	v_add_nc_u32_e32 v5, 0xffffff81, v5
	v_lshrrev_b32_e32 v7, 23, v112
	s_mov_b32 s7, exec_lo
	v_mov_b32_e32 v113, v53
	s_delay_alu instid0(VALU_DEP_3) | instskip(NEXT) | instid1(VALU_DEP_1)
	v_cndmask_b32_e64 v5, v5, 0xffffff82, vcc_lo
	v_add3_u32 v7, v6, v5, v7
	v_and_b32_e32 v5, 0xfffff, v114
	s_delay_alu instid0(VALU_DEP_1) | instskip(NEXT) | instid1(VALU_DEP_1)
	v_dual_add_nc_u32 v6, 6, v7 :: v_dual_add_nc_u32 v112, v5, v112
                                        ; implicit-def: $vgpr5
	v_cmpx_ne_u32_e32 0, v6
	s_xor_b32 s7, exec_lo, s7
; %bb.8395:                             ;   in Loop: Header=BB6_6801 Depth=2
	s_delay_alu instid0(VALU_DEP_2) | instskip(SKIP_1) | instid1(VALU_DEP_1)
	v_cmp_lt_u64_e32 vcc_lo, 0xffffff, v[112:113]
	v_add_nc_u32_e32 v5, 7, v7
	v_cndmask_b32_e32 v5, v6, v5, vcc_lo
	v_cndmask_b32_e64 v6, 0, 1, vcc_lo
	s_delay_alu instid0(VALU_DEP_1)
	v_lshrrev_b64 v[112:113], v6, v[112:113]
; %bb.8396:                             ;   in Loop: Header=BB6_6801 Depth=2
	s_and_not1_saveexec_b32 s7, s7
; %bb.8397:                             ;   in Loop: Header=BB6_6801 Depth=2
	s_delay_alu instid0(VALU_DEP_1)
	v_bfe_u32 v5, v112, 23, 1
; %bb.8398:                             ;   in Loop: Header=BB6_6801 Depth=2
	s_or_b32 exec_lo, exec_lo, s7
	s_delay_alu instid0(VALU_DEP_2) | instskip(NEXT) | instid1(VALU_DEP_2)
	v_lshrrev_b64 v[6:7], 20, v[112:113]
	v_cmp_gt_i32_e32 vcc_lo, 16, v5
	v_min_i32_e32 v8, 15, v5
	v_cmp_eq_u32_e64 s7, 0, v5
	s_delay_alu instid0(VALU_DEP_2) | instskip(SKIP_1) | instid1(VALU_DEP_2)
	v_dual_cndmask_b32 v7, 0, v7 :: v_dual_lshlrev_b32 v8, 3, v8
	v_cndmask_b32_e32 v6, 7, v6, vcc_lo
	v_and_b32_e32 v8, 0xf8, v8
	s_delay_alu instid0(VALU_DEP_2) | instskip(NEXT) | instid1(VALU_DEP_2)
	v_cmp_eq_u64_e32 vcc_lo, 0, v[6:7]
	v_and_or_b32 v5, v6, 7, v8
	s_and_b32 s7, s7, vcc_lo
	s_delay_alu instid0(VALU_DEP_1) | instid1(SALU_CYCLE_1)
	v_cndmask_b32_e64 v5, v5, 0, s7
	s_delay_alu instid0(VALU_DEP_1)
	v_or_b32_e32 v46, v5, v4
.LBB6_8399:                             ;   in Loop: Header=BB6_6801 Depth=2
	s_or_b32 exec_lo, exec_lo, s41
                                        ; implicit-def: $vgpr4
.LBB6_8400:                             ;   in Loop: Header=BB6_6801 Depth=2
	s_and_not1_saveexec_b32 s7, s40
; %bb.8401:                             ;   in Loop: Header=BB6_6801 Depth=2
	v_or_b32_e32 v46, 0x7e, v4
; %bb.8402:                             ;   in Loop: Header=BB6_6801 Depth=2
	s_or_b32 exec_lo, exec_lo, s7
                                        ; implicit-def: $vgpr4
.LBB6_8403:                             ;   in Loop: Header=BB6_6801 Depth=2
	s_and_not1_saveexec_b32 s7, s29
; %bb.8404:                             ;   in Loop: Header=BB6_6801 Depth=2
	v_or_b32_e32 v46, 0x7f, v4
; %bb.8405:                             ;   in Loop: Header=BB6_6801 Depth=2
	s_or_b32 exec_lo, exec_lo, s7
	v_dual_mov_b32 v4, 0 :: v_dual_mov_b32 v5, 0
	s_mov_b32 s7, exec_lo
	v_cmpx_lt_u32_e32 0xffffff, v52
	s_cbranch_execz .LBB6_8413
; %bb.8406:                             ;   in Loop: Header=BB6_6801 Depth=2
	v_lshrrev_b32_e32 v6, 24, v52
	v_bfrev_b32_e32 v5, 1
	s_mov_b32 s29, exec_lo
	s_delay_alu instid0(VALU_DEP_2)
	v_cmpx_ne_u32_e32 0x80, v6
	s_cbranch_execz .LBB6_8412
; %bb.8407:                             ;   in Loop: Header=BB6_6801 Depth=2
	v_bfe_u32 v7, v52, 24, 7
	v_mov_b32_e32 v5, 0x7f800001
	s_mov_b32 s40, exec_lo
	s_delay_alu instid0(VALU_DEP_2)
	v_cmpx_ne_u32_e32 0x7f, v7
	s_cbranch_execz .LBB6_8411
; %bb.8408:                             ;   in Loop: Header=BB6_6801 Depth=2
	v_dual_lshrrev_b32 v5, 3, v7 :: v_dual_bitop2_b32 v52, 7, v6 bitop3:0x40
	s_mov_b32 s41, exec_lo
	s_delay_alu instid0(VALU_DEP_1)
	v_mov_b64_e32 v[112:113], v[52:53]
	v_cmpx_gt_u32_e32 8, v7
; %bb.8409:                             ;   in Loop: Header=BB6_6801 Depth=2
	v_clz_i32_u32_e32 v5, v52
	s_delay_alu instid0(VALU_DEP_1) | instskip(NEXT) | instid1(VALU_DEP_1)
	v_min_u32_e32 v5, 32, v5
	v_subrev_nc_u32_e32 v7, 28, v5
	s_delay_alu instid0(VALU_DEP_1) | instskip(NEXT) | instid1(VALU_DEP_1)
	v_lshlrev_b64_e32 v[8:9], v7, v[52:53]
	v_dual_sub_nc_u32 v5, 29, v5 :: v_dual_bitop2_b32 v112, 7, v8 bitop3:0x40
; %bb.8410:                             ;   in Loop: Header=BB6_6801 Depth=2
	s_or_b32 exec_lo, exec_lo, s41
	s_delay_alu instid0(VALU_DEP_1) | instskip(NEXT) | instid1(VALU_DEP_2)
	v_dual_lshlrev_b32 v6, 24, v6 :: v_dual_lshlrev_b32 v7, 20, v112
	v_lshl_add_u32 v5, v5, 23, 0x3c000000
	s_delay_alu instid0(VALU_DEP_2) | instskip(NEXT) | instid1(VALU_DEP_1)
	v_and_b32_e32 v6, 0x80000000, v6
	v_or3_b32 v5, v7, v6, v5
.LBB6_8411:                             ;   in Loop: Header=BB6_6801 Depth=2
	s_or_b32 exec_lo, exec_lo, s40
.LBB6_8412:                             ;   in Loop: Header=BB6_6801 Depth=2
	s_delay_alu instid0(SALU_CYCLE_1)
	s_or_b32 exec_lo, exec_lo, s29
.LBB6_8413:                             ;   in Loop: Header=BB6_6801 Depth=2
	s_delay_alu instid0(SALU_CYCLE_1) | instskip(NEXT) | instid1(SALU_CYCLE_1)
	s_or_b32 exec_lo, exec_lo, s7
	s_mov_b32 s7, exec_lo
	v_cmpx_lt_u32_e32 0xffffff, v22
	s_cbranch_execz .LBB6_8421
; %bb.8414:                             ;   in Loop: Header=BB6_6801 Depth=2
	v_lshrrev_b32_e32 v6, 24, v22
	v_bfrev_b32_e32 v4, 1
	s_mov_b32 s29, exec_lo
	s_delay_alu instid0(VALU_DEP_2)
	v_cmpx_ne_u32_e32 0x80, v6
	s_cbranch_execz .LBB6_8420
; %bb.8415:                             ;   in Loop: Header=BB6_6801 Depth=2
	v_bfe_u32 v7, v22, 24, 7
	v_mov_b32_e32 v4, 0x7f800001
	s_mov_b32 s40, exec_lo
	s_delay_alu instid0(VALU_DEP_2)
	v_cmpx_ne_u32_e32 0x7f, v7
	s_cbranch_execz .LBB6_8419
; %bb.8416:                             ;   in Loop: Header=BB6_6801 Depth=2
	v_dual_lshrrev_b32 v4, 3, v7 :: v_dual_bitop2_b32 v52, 7, v6 bitop3:0x40
	s_mov_b32 s41, exec_lo
	s_delay_alu instid0(VALU_DEP_1)
	v_mov_b64_e32 v[112:113], v[52:53]
	v_cmpx_gt_u32_e32 8, v7
; %bb.8417:                             ;   in Loop: Header=BB6_6801 Depth=2
	v_clz_i32_u32_e32 v4, v52
	s_delay_alu instid0(VALU_DEP_1) | instskip(NEXT) | instid1(VALU_DEP_1)
	v_min_u32_e32 v4, 32, v4
	v_subrev_nc_u32_e32 v7, 28, v4
	v_sub_nc_u32_e32 v4, 29, v4
	s_delay_alu instid0(VALU_DEP_2) | instskip(NEXT) | instid1(VALU_DEP_1)
	v_lshlrev_b64_e32 v[8:9], v7, v[52:53]
	v_and_b32_e32 v112, 7, v8
; %bb.8418:                             ;   in Loop: Header=BB6_6801 Depth=2
	s_or_b32 exec_lo, exec_lo, s41
	s_delay_alu instid0(VALU_DEP_1) | instskip(SKIP_1) | instid1(VALU_DEP_2)
	v_dual_lshlrev_b32 v6, 24, v6 :: v_dual_lshlrev_b32 v7, 20, v112
	v_lshl_add_u32 v4, v4, 23, 0x3c000000
	v_and_b32_e32 v6, 0x80000000, v6
	s_delay_alu instid0(VALU_DEP_1)
	v_or3_b32 v4, v7, v6, v4
.LBB6_8419:                             ;   in Loop: Header=BB6_6801 Depth=2
	s_or_b32 exec_lo, exec_lo, s40
.LBB6_8420:                             ;   in Loop: Header=BB6_6801 Depth=2
	s_delay_alu instid0(SALU_CYCLE_1)
	s_or_b32 exec_lo, exec_lo, s29
.LBB6_8421:                             ;   in Loop: Header=BB6_6801 Depth=2
	s_delay_alu instid0(SALU_CYCLE_1) | instskip(NEXT) | instid1(VALU_DEP_1)
	s_or_b32 exec_lo, exec_lo, s7
	v_add_f32_e32 v5, v5, v4
                                        ; implicit-def: $vgpr40
	s_mov_b32 s7, exec_lo
	s_delay_alu instid0(VALU_DEP_1) | instskip(SKIP_1) | instid1(VALU_DEP_2)
	v_and_b32_e32 v52, 0x7f800000, v5
	v_lshrrev_b32_e32 v4, 24, v5
	v_cmpx_ne_u64_e32 0x7f800000, v[52:53]
	s_xor_b32 s29, exec_lo, s7
	s_cbranch_execz .LBB6_8435
; %bb.8422:                             ;   in Loop: Header=BB6_6801 Depth=2
	v_and_b32_e32 v52, 0x7fffffff, v5
	v_and_b32_e32 v4, 0x80, v4
                                        ; implicit-def: $vgpr40
	s_mov_b32 s7, exec_lo
	s_delay_alu instid0(VALU_DEP_2)
	v_cmpx_gt_u64_e32 0x43e00001, v[52:53]
	s_xor_b32 s40, exec_lo, s7
	s_cbranch_execz .LBB6_8432
; %bb.8423:                             ;   in Loop: Header=BB6_6801 Depth=2
	v_mov_b32_e32 v40, 0
	s_mov_b32 s41, exec_lo
	v_cmpx_ne_u32_e32 0, v5
	s_cbranch_execz .LBB6_8431
; %bb.8424:                             ;   in Loop: Header=BB6_6801 Depth=2
	v_and_b32_e32 v7, 0x7fffff, v5
	v_bfe_u32 v5, v5, 23, 8
	s_mov_b32 s42, exec_lo
	s_delay_alu instid0(VALU_DEP_2) | instskip(NEXT) | instid1(VALU_DEP_2)
	v_or_b32_e32 v8, 0x800000, v7
	v_cmp_gt_u32_e64 s7, 0x7a, v5
	v_sub_nc_u32_e32 v6, 0x79, v5
	v_cmp_eq_u32_e32 vcc_lo, 0, v5
	s_delay_alu instid0(VALU_DEP_2) | instskip(NEXT) | instid1(VALU_DEP_1)
	v_dual_cndmask_b32 v6, 0, v6, s7 :: v_dual_cndmask_b32 v52, v8, v7, vcc_lo
	v_cndmask_b32_e64 v6, v6, 0x78, vcc_lo
	s_delay_alu instid0(VALU_DEP_1) | instskip(NEXT) | instid1(VALU_DEP_3)
	v_add_nc_u32_e32 v7, 20, v6
	v_lshrrev_b64 v[112:113], v6, v[52:53]
	s_delay_alu instid0(VALU_DEP_2) | instskip(SKIP_1) | instid1(VALU_DEP_3)
	v_lshlrev_b64_e64 v[8:9], v7, -1
	v_add_nc_u32_e32 v7, 19, v6
	v_mov_b64_e32 v[114:115], v[112:113]
	s_delay_alu instid0(VALU_DEP_2) | instskip(NEXT) | instid1(VALU_DEP_4)
	v_lshlrev_b64_e64 v[38:39], v7, 1
	v_bfi_b32 v9, v9, 0, 0
	v_bfi_b32 v8, v8, 0, v52
	s_delay_alu instid0(VALU_DEP_1)
	v_cmpx_eq_u64_e64 v[8:9], v[38:39]
; %bb.8425:                             ;   in Loop: Header=BB6_6801 Depth=2
	v_bfe_u32 v52, v112, 20, 1
	s_delay_alu instid0(VALU_DEP_1) | instskip(NEXT) | instid1(VALU_DEP_1)
	v_add_nc_u64_e32 v[8:9], v[112:113], v[52:53]
	v_add_nc_u64_e32 v[114:115], -1, v[8:9]
; %bb.8426:                             ;   in Loop: Header=BB6_6801 Depth=2
	s_or_b32 exec_lo, exec_lo, s42
	v_add_nc_u32_e32 v5, 0xffffff81, v5
	v_lshrrev_b32_e32 v7, 23, v112
	s_mov_b32 s7, exec_lo
	s_delay_alu instid0(VALU_DEP_2) | instskip(NEXT) | instid1(VALU_DEP_1)
	v_cndmask_b32_e64 v5, v5, 0xffffff82, vcc_lo
	v_add3_u32 v7, v6, v5, v7
	v_and_b32_e32 v5, 0xfffff, v114
	s_delay_alu instid0(VALU_DEP_1) | instskip(NEXT) | instid1(VALU_DEP_1)
	v_dual_add_nc_u32 v6, 6, v7 :: v_dual_add_nc_u32 v52, v5, v112
                                        ; implicit-def: $vgpr112_vgpr113
                                        ; implicit-def: $vgpr5
	v_cmpx_ne_u32_e32 0, v6
	s_xor_b32 s7, exec_lo, s7
; %bb.8427:                             ;   in Loop: Header=BB6_6801 Depth=2
	s_delay_alu instid0(VALU_DEP_2) | instskip(SKIP_1) | instid1(VALU_DEP_1)
	v_cmp_lt_u64_e32 vcc_lo, 0xffffff, v[52:53]
	v_add_nc_u32_e32 v5, 7, v7
	v_cndmask_b32_e32 v5, v6, v5, vcc_lo
	v_cndmask_b32_e64 v6, 0, 1, vcc_lo
	s_delay_alu instid0(VALU_DEP_1)
	v_lshrrev_b64 v[112:113], v6, v[52:53]
; %bb.8428:                             ;   in Loop: Header=BB6_6801 Depth=2
	s_and_not1_saveexec_b32 s7, s7
; %bb.8429:                             ;   in Loop: Header=BB6_6801 Depth=2
	v_mov_b64_e32 v[112:113], v[52:53]
	v_bfe_u32 v5, v52, 23, 1
; %bb.8430:                             ;   in Loop: Header=BB6_6801 Depth=2
	s_or_b32 exec_lo, exec_lo, s7
	s_delay_alu instid0(VALU_DEP_2) | instskip(NEXT) | instid1(VALU_DEP_2)
	v_lshrrev_b64 v[6:7], 20, v[112:113]
	v_cmp_gt_i32_e32 vcc_lo, 16, v5
	v_min_i32_e32 v8, 15, v5
	v_cmp_eq_u32_e64 s7, 0, v5
	s_delay_alu instid0(VALU_DEP_2) | instskip(SKIP_1) | instid1(VALU_DEP_2)
	v_dual_cndmask_b32 v7, 0, v7 :: v_dual_lshlrev_b32 v8, 3, v8
	v_cndmask_b32_e32 v6, 7, v6, vcc_lo
	v_and_b32_e32 v8, 0xf8, v8
	s_delay_alu instid0(VALU_DEP_2) | instskip(NEXT) | instid1(VALU_DEP_2)
	v_cmp_eq_u64_e32 vcc_lo, 0, v[6:7]
	v_and_or_b32 v5, v6, 7, v8
	s_and_b32 s7, s7, vcc_lo
	s_delay_alu instid0(VALU_DEP_1) | instid1(SALU_CYCLE_1)
	v_cndmask_b32_e64 v5, v5, 0, s7
	s_delay_alu instid0(VALU_DEP_1)
	v_or_b32_e32 v40, v5, v4
.LBB6_8431:                             ;   in Loop: Header=BB6_6801 Depth=2
	s_or_b32 exec_lo, exec_lo, s41
                                        ; implicit-def: $vgpr4
.LBB6_8432:                             ;   in Loop: Header=BB6_6801 Depth=2
	s_and_not1_saveexec_b32 s7, s40
; %bb.8433:                             ;   in Loop: Header=BB6_6801 Depth=2
	v_or_b32_e32 v40, 0x7e, v4
; %bb.8434:                             ;   in Loop: Header=BB6_6801 Depth=2
	s_or_b32 exec_lo, exec_lo, s7
                                        ; implicit-def: $vgpr4
.LBB6_8435:                             ;   in Loop: Header=BB6_6801 Depth=2
	s_and_not1_saveexec_b32 s7, s29
; %bb.8436:                             ;   in Loop: Header=BB6_6801 Depth=2
	v_or_b32_e32 v40, 0x7f, v4
; %bb.8437:                             ;   in Loop: Header=BB6_6801 Depth=2
	s_or_b32 exec_lo, exec_lo, s7
	v_lshl_or_b32 v4, v72, 8, v65
	v_dual_lshlrev_b32 v5, 16, v77 :: v_dual_lshlrev_b32 v6, 24, v51
	s_mov_b32 s7, exec_lo
	s_delay_alu instid0(VALU_DEP_1)
	v_or3_b32 v52, v5, v6, v4
	v_dual_mov_b32 v5, 0 :: v_dual_mov_b32 v6, 0
	v_cmpx_ne_u32_e32 0, v65
	s_cbranch_execz .LBB6_8443
; %bb.8438:                             ;   in Loop: Header=BB6_6801 Depth=2
	v_bfrev_b32_e32 v6, 1
	s_mov_b32 s29, exec_lo
	v_cmpx_ne_u32_e32 0x80, v65
	s_cbranch_execz .LBB6_8442
; %bb.8439:                             ;   in Loop: Header=BB6_6801 Depth=2
	v_and_b32_e32 v7, 0x7f, v65
	v_mov_b32_e32 v6, 0x7f800001
	s_mov_b32 s40, exec_lo
	s_delay_alu instid0(VALU_DEP_2)
	v_cmpx_ne_u32_e32 0x7f, v7
	s_cbranch_execz .LBB6_8441
; %bb.8440:                             ;   in Loop: Header=BB6_6801 Depth=2
	v_dual_lshrrev_b32 v8, 3, v7 :: v_dual_bitop2_b32 v6, 7, v65 bitop3:0x40
	v_cmp_gt_u32_e32 vcc_lo, 8, v7
	s_delay_alu instid0(VALU_DEP_2) | instskip(NEXT) | instid1(VALU_DEP_1)
	v_clz_i32_u32_e32 v6, v6
	v_min_u32_e32 v6, 32, v6
	s_delay_alu instid0(VALU_DEP_1) | instskip(SKIP_1) | instid1(VALU_DEP_1)
	v_subrev_nc_u32_e32 v7, 28, v6
	v_sub_nc_u32_e32 v6, 29, v6
	v_dual_cndmask_b32 v8, v8, v6, vcc_lo :: v_dual_cndmask_b32 v6, 0, v7, vcc_lo
	s_delay_alu instid0(VALU_DEP_1) | instskip(NEXT) | instid1(VALU_DEP_2)
	v_lshl_add_u32 v8, v8, 23, 0x3c000000
	v_lshlrev_b64_e32 v[6:7], v6, v[52:53]
	v_lshlrev_b32_e32 v7, 24, v52
	s_delay_alu instid0(VALU_DEP_1) | instskip(NEXT) | instid1(VALU_DEP_3)
	v_and_b32_e32 v7, 0x80000000, v7
	v_lshlrev_b32_e32 v6, 20, v6
	s_delay_alu instid0(VALU_DEP_1) | instskip(NEXT) | instid1(VALU_DEP_1)
	v_and_b32_e32 v6, 0x700000, v6
	v_or3_b32 v6, v6, v7, v8
.LBB6_8441:                             ;   in Loop: Header=BB6_6801 Depth=2
	s_or_b32 exec_lo, exec_lo, s40
.LBB6_8442:                             ;   in Loop: Header=BB6_6801 Depth=2
	s_delay_alu instid0(SALU_CYCLE_1)
	s_or_b32 exec_lo, exec_lo, s29
.LBB6_8443:                             ;   in Loop: Header=BB6_6801 Depth=2
	s_delay_alu instid0(SALU_CYCLE_1) | instskip(SKIP_2) | instid1(VALU_DEP_1)
	s_or_b32 exec_lo, exec_lo, s7
	v_and_b32_e32 v7, 0xff, v23
	s_mov_b32 s7, exec_lo
	v_cmpx_ne_u16_e32 0, v7
	s_cbranch_execz .LBB6_8449
; %bb.8444:                             ;   in Loop: Header=BB6_6801 Depth=2
	v_bfrev_b32_e32 v5, 1
	s_mov_b32 s29, exec_lo
	v_cmpx_ne_u16_e32 0x80, v7
	s_cbranch_execz .LBB6_8448
; %bb.8445:                             ;   in Loop: Header=BB6_6801 Depth=2
	v_and_b32_e32 v7, 0x7f, v23
	v_mov_b32_e32 v5, 0x7f800001
	s_mov_b32 s40, exec_lo
	s_delay_alu instid0(VALU_DEP_2)
	v_cmpx_ne_u32_e32 0x7f, v7
	s_cbranch_execz .LBB6_8447
; %bb.8446:                             ;   in Loop: Header=BB6_6801 Depth=2
	v_dual_mov_b32 v8, v23 :: v_dual_bitop2_b32 v5, 7, v23 bitop3:0x40
	v_cmp_gt_u32_e32 vcc_lo, 8, v7
	s_delay_alu instid0(VALU_DEP_2) | instskip(NEXT) | instid1(VALU_DEP_1)
	v_clz_i32_u32_e32 v5, v5
	v_min_u32_e32 v5, 32, v5
	s_delay_alu instid0(VALU_DEP_1) | instskip(SKIP_1) | instid1(VALU_DEP_2)
	v_dual_lshrrev_b32 v30, 3, v7 :: v_dual_sub_nc_u32 v38, 29, v5
	v_subrev_nc_u32_e32 v5, 28, v5
	v_dual_mov_b32 v9, v53 :: v_dual_cndmask_b32 v7, v30, v38, vcc_lo
	s_delay_alu instid0(VALU_DEP_2) | instskip(NEXT) | instid1(VALU_DEP_2)
	v_cndmask_b32_e32 v5, 0, v5, vcc_lo
	v_lshl_add_u32 v7, v7, 23, 0x3c000000
	s_delay_alu instid0(VALU_DEP_2) | instskip(SKIP_1) | instid1(VALU_DEP_1)
	v_lshlrev_b64_e32 v[38:39], v5, v[8:9]
	v_lshlrev_b32_e32 v5, 24, v8
	v_and_b32_e32 v5, 0x80000000, v5
	s_delay_alu instid0(VALU_DEP_3) | instskip(NEXT) | instid1(VALU_DEP_1)
	v_lshlrev_b32_e32 v8, 20, v38
	v_and_b32_e32 v8, 0x700000, v8
	s_delay_alu instid0(VALU_DEP_1)
	v_or3_b32 v5, v8, v5, v7
.LBB6_8447:                             ;   in Loop: Header=BB6_6801 Depth=2
	s_or_b32 exec_lo, exec_lo, s40
.LBB6_8448:                             ;   in Loop: Header=BB6_6801 Depth=2
	s_delay_alu instid0(SALU_CYCLE_1)
	s_or_b32 exec_lo, exec_lo, s29
.LBB6_8449:                             ;   in Loop: Header=BB6_6801 Depth=2
	s_delay_alu instid0(SALU_CYCLE_1) | instskip(NEXT) | instid1(VALU_DEP_1)
	s_or_b32 exec_lo, exec_lo, s7
	v_dual_add_f32 v6, v6, v5 :: v_dual_mov_b32 v9, v53
                                        ; implicit-def: $vgpr72
	s_mov_b32 s7, exec_lo
	s_delay_alu instid0(VALU_DEP_1) | instskip(SKIP_1) | instid1(VALU_DEP_2)
	v_and_b32_e32 v8, 0x7f800000, v6
	v_lshrrev_b32_e32 v5, 24, v6
	v_cmpx_ne_u64_e32 0x7f800000, v[8:9]
	s_xor_b32 s29, exec_lo, s7
	s_cbranch_execz .LBB6_8463
; %bb.8450:                             ;   in Loop: Header=BB6_6801 Depth=2
	v_and_b32_e32 v8, 0x7fffffff, v6
	v_mov_b32_e32 v9, v53
	v_and_b32_e32 v5, 0x80, v5
                                        ; implicit-def: $vgpr72
	s_mov_b32 s7, exec_lo
	s_delay_alu instid0(VALU_DEP_2)
	v_cmpx_gt_u64_e32 0x43e00001, v[8:9]
	s_xor_b32 s40, exec_lo, s7
	s_cbranch_execz .LBB6_8460
; %bb.8451:                             ;   in Loop: Header=BB6_6801 Depth=2
	v_mov_b32_e32 v72, 0
	s_mov_b32 s41, exec_lo
	v_cmpx_ne_u32_e32 0, v6
	s_cbranch_execz .LBB6_8459
; %bb.8452:                             ;   in Loop: Header=BB6_6801 Depth=2
	v_and_b32_e32 v8, 0x7fffff, v6
	v_bfe_u32 v6, v6, 23, 8
	s_mov_b32 s42, exec_lo
	s_delay_alu instid0(VALU_DEP_2) | instskip(NEXT) | instid1(VALU_DEP_2)
	v_or_b32_e32 v9, 0x800000, v8
	v_cmp_eq_u32_e32 vcc_lo, 0, v6
	v_cmp_gt_u32_e64 s7, 0x7a, v6
	s_delay_alu instid0(VALU_DEP_3) | instskip(NEXT) | instid1(VALU_DEP_1)
	v_dual_cndmask_b32 v8, v9, v8 :: v_dual_sub_nc_u32 v7, 0x79, v6
	v_dual_mov_b32 v9, v53 :: v_dual_cndmask_b32 v7, 0, v7, s7
	s_delay_alu instid0(VALU_DEP_1) | instskip(NEXT) | instid1(VALU_DEP_1)
	v_cndmask_b32_e64 v7, v7, 0x78, vcc_lo
	v_add_nc_u32_e32 v30, 20, v7
	s_delay_alu instid0(VALU_DEP_3) | instskip(NEXT) | instid1(VALU_DEP_2)
	v_lshrrev_b64 v[112:113], v7, v[8:9]
	v_lshlrev_b64_e64 v[38:39], v30, -1
	v_add_nc_u32_e32 v30, 19, v7
	s_delay_alu instid0(VALU_DEP_3) | instskip(NEXT) | instid1(VALU_DEP_2)
	v_mov_b64_e32 v[114:115], v[112:113]
	v_lshlrev_b64_e64 v[50:51], v30, 1
	s_delay_alu instid0(VALU_DEP_4) | instskip(SKIP_1) | instid1(VALU_DEP_1)
	v_bfi_b32 v39, v39, 0, 0
	v_bfi_b32 v38, v38, 0, v8
	v_cmpx_eq_u64_e64 v[38:39], v[50:51]
; %bb.8453:                             ;   in Loop: Header=BB6_6801 Depth=2
	v_bfe_u32 v8, v112, 20, 1
	v_mov_b32_e32 v9, v53
	s_delay_alu instid0(VALU_DEP_1) | instskip(NEXT) | instid1(VALU_DEP_1)
	v_add_nc_u64_e32 v[8:9], v[112:113], v[8:9]
	v_add_nc_u64_e32 v[114:115], -1, v[8:9]
; %bb.8454:                             ;   in Loop: Header=BB6_6801 Depth=2
	s_or_b32 exec_lo, exec_lo, s42
	v_dual_mov_b32 v113, v53 :: v_dual_add_nc_u32 v6, 0xffffff81, v6
	v_lshrrev_b32_e32 v8, 23, v112
	s_mov_b32 s7, exec_lo
	s_delay_alu instid0(VALU_DEP_2) | instskip(NEXT) | instid1(VALU_DEP_1)
	v_cndmask_b32_e64 v6, v6, 0xffffff82, vcc_lo
	v_add3_u32 v8, v7, v6, v8
	v_and_b32_e32 v6, 0xfffff, v114
	s_delay_alu instid0(VALU_DEP_2) | instskip(NEXT) | instid1(VALU_DEP_2)
	v_add_nc_u32_e32 v7, 6, v8
	v_add_nc_u32_e32 v112, v6, v112
                                        ; implicit-def: $vgpr6
	s_delay_alu instid0(VALU_DEP_2)
	v_cmpx_ne_u32_e32 0, v7
	s_xor_b32 s7, exec_lo, s7
; %bb.8455:                             ;   in Loop: Header=BB6_6801 Depth=2
	s_delay_alu instid0(VALU_DEP_2) | instskip(SKIP_1) | instid1(VALU_DEP_1)
	v_cmp_lt_u64_e32 vcc_lo, 0xffffff, v[112:113]
	v_add_nc_u32_e32 v6, 7, v8
	v_cndmask_b32_e32 v6, v7, v6, vcc_lo
	v_cndmask_b32_e64 v7, 0, 1, vcc_lo
	s_delay_alu instid0(VALU_DEP_1)
	v_lshrrev_b64 v[112:113], v7, v[112:113]
; %bb.8456:                             ;   in Loop: Header=BB6_6801 Depth=2
	s_and_not1_saveexec_b32 s7, s7
; %bb.8457:                             ;   in Loop: Header=BB6_6801 Depth=2
	s_delay_alu instid0(VALU_DEP_1)
	v_bfe_u32 v6, v112, 23, 1
; %bb.8458:                             ;   in Loop: Header=BB6_6801 Depth=2
	s_or_b32 exec_lo, exec_lo, s7
	s_delay_alu instid0(VALU_DEP_2) | instskip(NEXT) | instid1(VALU_DEP_2)
	v_lshrrev_b64 v[8:9], 20, v[112:113]
	v_cmp_gt_i32_e32 vcc_lo, 16, v6
	v_min_i32_e32 v7, 15, v6
	v_cmp_eq_u32_e64 s7, 0, v6
	s_delay_alu instid0(VALU_DEP_2) | instskip(SKIP_1) | instid1(VALU_DEP_2)
	v_dual_cndmask_b32 v9, 0, v9, vcc_lo :: v_dual_lshlrev_b32 v7, 3, v7
	v_cndmask_b32_e32 v8, 7, v8, vcc_lo
	v_and_b32_e32 v7, 0xf8, v7
	s_delay_alu instid0(VALU_DEP_2) | instskip(NEXT) | instid1(VALU_DEP_2)
	v_cmp_eq_u64_e32 vcc_lo, 0, v[8:9]
	v_and_or_b32 v6, v8, 7, v7
	s_and_b32 s7, s7, vcc_lo
	s_delay_alu instid0(VALU_DEP_1) | instid1(SALU_CYCLE_1)
	v_cndmask_b32_e64 v6, v6, 0, s7
	s_delay_alu instid0(VALU_DEP_1)
	v_or_b32_e32 v72, v6, v5
.LBB6_8459:                             ;   in Loop: Header=BB6_6801 Depth=2
	s_or_b32 exec_lo, exec_lo, s41
                                        ; implicit-def: $vgpr5
.LBB6_8460:                             ;   in Loop: Header=BB6_6801 Depth=2
	s_and_not1_saveexec_b32 s7, s40
; %bb.8461:                             ;   in Loop: Header=BB6_6801 Depth=2
	v_or_b32_e32 v72, 0x7e, v5
; %bb.8462:                             ;   in Loop: Header=BB6_6801 Depth=2
	s_or_b32 exec_lo, exec_lo, s7
                                        ; implicit-def: $vgpr5
.LBB6_8463:                             ;   in Loop: Header=BB6_6801 Depth=2
	s_and_not1_saveexec_b32 s7, s29
; %bb.8464:                             ;   in Loop: Header=BB6_6801 Depth=2
	v_or_b32_e32 v72, 0x7f, v5
; %bb.8465:                             ;   in Loop: Header=BB6_6801 Depth=2
	s_or_b32 exec_lo, exec_lo, s7
	v_lshrrev_b16 v7, 8, v4
	v_dual_mov_b32 v5, 0 :: v_dual_mov_b32 v6, 0
	s_mov_b32 s7, exec_lo
	s_delay_alu instid0(VALU_DEP_2)
	v_cmpx_ne_u16_e32 0, v7
	s_cbranch_execz .LBB6_8473
; %bb.8466:                             ;   in Loop: Header=BB6_6801 Depth=2
	v_bfrev_b32_e32 v6, 1
	s_mov_b32 s29, exec_lo
	v_cmpx_ne_u16_e32 0x80, v7
	s_cbranch_execz .LBB6_8472
; %bb.8467:                             ;   in Loop: Header=BB6_6801 Depth=2
	v_and_b32_e32 v8, 0xffff, v7
	v_mov_b32_e32 v6, 0x7f800001
	s_mov_b32 s40, exec_lo
	s_delay_alu instid0(VALU_DEP_2) | instskip(NEXT) | instid1(VALU_DEP_1)
	v_and_b32_e32 v7, 0x7f, v8
	v_cmpx_ne_u32_e32 0x7f, v7
	s_cbranch_execz .LBB6_8471
; %bb.8468:                             ;   in Loop: Header=BB6_6801 Depth=2
	v_dual_mov_b32 v113, v53 :: v_dual_bitop2_b32 v112, 7, v8 bitop3:0x40
	v_lshrrev_b32_e32 v6, 3, v7
	s_mov_b32 s41, exec_lo
	v_cmpx_gt_u32_e32 8, v7
; %bb.8469:                             ;   in Loop: Header=BB6_6801 Depth=2
	s_delay_alu instid0(VALU_DEP_3) | instskip(NEXT) | instid1(VALU_DEP_1)
	v_clz_i32_u32_e32 v6, v112
	v_min_u32_e32 v6, 32, v6
	s_delay_alu instid0(VALU_DEP_1) | instskip(NEXT) | instid1(VALU_DEP_1)
	v_subrev_nc_u32_e32 v7, 28, v6
	v_lshlrev_b64_e32 v[8:9], v7, v[112:113]
	s_delay_alu instid0(VALU_DEP_1)
	v_dual_sub_nc_u32 v6, 29, v6 :: v_dual_bitop2_b32 v112, 7, v8 bitop3:0x40
; %bb.8470:                             ;   in Loop: Header=BB6_6801 Depth=2
	s_or_b32 exec_lo, exec_lo, s41
	v_lshlrev_b32_e32 v4, 16, v4
	s_delay_alu instid0(VALU_DEP_2) | instskip(NEXT) | instid1(VALU_DEP_3)
	v_lshlrev_b32_e32 v7, 20, v112
	v_lshl_add_u32 v6, v6, 23, 0x3c000000
	s_delay_alu instid0(VALU_DEP_3) | instskip(NEXT) | instid1(VALU_DEP_1)
	v_and_b32_e32 v4, 0x80000000, v4
	v_or3_b32 v6, v7, v4, v6
.LBB6_8471:                             ;   in Loop: Header=BB6_6801 Depth=2
	s_or_b32 exec_lo, exec_lo, s40
.LBB6_8472:                             ;   in Loop: Header=BB6_6801 Depth=2
	s_delay_alu instid0(SALU_CYCLE_1)
	s_or_b32 exec_lo, exec_lo, s29
.LBB6_8473:                             ;   in Loop: Header=BB6_6801 Depth=2
	s_delay_alu instid0(SALU_CYCLE_1) | instskip(SKIP_2) | instid1(VALU_DEP_1)
	s_or_b32 exec_lo, exec_lo, s7
	v_lshrrev_b16 v4, 8, v23
	s_mov_b32 s7, exec_lo
	v_cmpx_ne_u16_e32 0, v4
	s_cbranch_execz .LBB6_8481
; %bb.8474:                             ;   in Loop: Header=BB6_6801 Depth=2
	v_bfrev_b32_e32 v5, 1
	s_mov_b32 s29, exec_lo
	v_cmpx_ne_u16_e32 0x80, v4
	s_cbranch_execz .LBB6_8480
; %bb.8475:                             ;   in Loop: Header=BB6_6801 Depth=2
	v_and_b32_e32 v4, 0xffff, v4
	v_mov_b32_e32 v5, 0x7f800001
	s_mov_b32 s40, exec_lo
	s_delay_alu instid0(VALU_DEP_2) | instskip(NEXT) | instid1(VALU_DEP_1)
	v_and_b32_e32 v7, 0x7f, v4
	v_cmpx_ne_u32_e32 0x7f, v7
	s_cbranch_execz .LBB6_8479
; %bb.8476:                             ;   in Loop: Header=BB6_6801 Depth=2
	v_dual_mov_b32 v113, v53 :: v_dual_bitop2_b32 v112, 7, v4 bitop3:0x40
	v_lshrrev_b32_e32 v4, 3, v7
	s_mov_b32 s41, exec_lo
	v_cmpx_gt_u32_e32 8, v7
; %bb.8477:                             ;   in Loop: Header=BB6_6801 Depth=2
	s_delay_alu instid0(VALU_DEP_3) | instskip(NEXT) | instid1(VALU_DEP_1)
	v_clz_i32_u32_e32 v4, v112
	v_min_u32_e32 v4, 32, v4
	s_delay_alu instid0(VALU_DEP_1) | instskip(SKIP_1) | instid1(VALU_DEP_2)
	v_subrev_nc_u32_e32 v5, 28, v4
	v_sub_nc_u32_e32 v4, 29, v4
	v_lshlrev_b64_e32 v[8:9], v5, v[112:113]
	s_delay_alu instid0(VALU_DEP_1)
	v_and_b32_e32 v112, 7, v8
; %bb.8478:                             ;   in Loop: Header=BB6_6801 Depth=2
	s_or_b32 exec_lo, exec_lo, s41
	s_delay_alu instid0(VALU_DEP_1) | instskip(SKIP_1) | instid1(VALU_DEP_2)
	v_dual_lshlrev_b32 v5, 16, v23 :: v_dual_lshlrev_b32 v7, 20, v112
	v_lshl_add_u32 v4, v4, 23, 0x3c000000
	v_and_b32_e32 v5, 0x80000000, v5
	s_delay_alu instid0(VALU_DEP_1)
	v_or3_b32 v5, v7, v5, v4
.LBB6_8479:                             ;   in Loop: Header=BB6_6801 Depth=2
	s_or_b32 exec_lo, exec_lo, s40
.LBB6_8480:                             ;   in Loop: Header=BB6_6801 Depth=2
	s_delay_alu instid0(SALU_CYCLE_1)
	s_or_b32 exec_lo, exec_lo, s29
.LBB6_8481:                             ;   in Loop: Header=BB6_6801 Depth=2
	s_delay_alu instid0(SALU_CYCLE_1) | instskip(NEXT) | instid1(VALU_DEP_1)
	s_or_b32 exec_lo, exec_lo, s7
	v_dual_add_f32 v5, v6, v5 :: v_dual_mov_b32 v7, v53
                                        ; implicit-def: $vgpr77
	s_mov_b32 s7, exec_lo
	s_delay_alu instid0(VALU_DEP_1) | instskip(SKIP_1) | instid1(VALU_DEP_2)
	v_and_b32_e32 v6, 0x7f800000, v5
	v_lshrrev_b32_e32 v4, 24, v5
	v_cmpx_ne_u64_e32 0x7f800000, v[6:7]
	s_xor_b32 s29, exec_lo, s7
	s_cbranch_execz .LBB6_8495
; %bb.8482:                             ;   in Loop: Header=BB6_6801 Depth=2
	v_and_b32_e32 v6, 0x7fffffff, v5
	v_mov_b32_e32 v7, v53
	v_and_b32_e32 v4, 0x80, v4
                                        ; implicit-def: $vgpr77
	s_mov_b32 s7, exec_lo
	s_delay_alu instid0(VALU_DEP_2)
	v_cmpx_gt_u64_e32 0x43e00001, v[6:7]
	s_xor_b32 s40, exec_lo, s7
	s_cbranch_execz .LBB6_8492
; %bb.8483:                             ;   in Loop: Header=BB6_6801 Depth=2
	v_mov_b32_e32 v77, 0
	s_mov_b32 s41, exec_lo
	v_cmpx_ne_u32_e32 0, v5
	s_cbranch_execz .LBB6_8491
; %bb.8484:                             ;   in Loop: Header=BB6_6801 Depth=2
	v_and_b32_e32 v7, 0x7fffff, v5
	v_bfe_u32 v5, v5, 23, 8
	s_mov_b32 s42, exec_lo
	v_mov_b32_e32 v9, v53
	s_delay_alu instid0(VALU_DEP_3) | instskip(NEXT) | instid1(VALU_DEP_3)
	v_or_b32_e32 v8, 0x800000, v7
	v_cmp_gt_u32_e64 s7, 0x7a, v5
	v_sub_nc_u32_e32 v6, 0x79, v5
	v_cmp_eq_u32_e32 vcc_lo, 0, v5
	s_delay_alu instid0(VALU_DEP_2) | instskip(NEXT) | instid1(VALU_DEP_1)
	v_dual_cndmask_b32 v6, 0, v6, s7 :: v_dual_cndmask_b32 v8, v8, v7, vcc_lo
	v_cndmask_b32_e64 v6, v6, 0x78, vcc_lo
	s_delay_alu instid0(VALU_DEP_1) | instskip(NEXT) | instid1(VALU_DEP_3)
	v_add_nc_u32_e32 v7, 20, v6
	v_lshrrev_b64 v[112:113], v6, v[8:9]
	s_delay_alu instid0(VALU_DEP_2) | instskip(SKIP_1) | instid1(VALU_DEP_3)
	v_lshlrev_b64_e64 v[38:39], v7, -1
	v_add_nc_u32_e32 v7, 19, v6
	v_mov_b64_e32 v[114:115], v[112:113]
	s_delay_alu instid0(VALU_DEP_2) | instskip(NEXT) | instid1(VALU_DEP_4)
	v_lshlrev_b64_e64 v[50:51], v7, 1
	v_bfi_b32 v39, v39, 0, 0
	v_bfi_b32 v38, v38, 0, v8
	s_delay_alu instid0(VALU_DEP_1)
	v_cmpx_eq_u64_e64 v[38:39], v[50:51]
; %bb.8485:                             ;   in Loop: Header=BB6_6801 Depth=2
	v_bfe_u32 v8, v112, 20, 1
	v_mov_b32_e32 v9, v53
	s_delay_alu instid0(VALU_DEP_1) | instskip(NEXT) | instid1(VALU_DEP_1)
	v_add_nc_u64_e32 v[8:9], v[112:113], v[8:9]
	v_add_nc_u64_e32 v[114:115], -1, v[8:9]
; %bb.8486:                             ;   in Loop: Header=BB6_6801 Depth=2
	s_or_b32 exec_lo, exec_lo, s42
	v_add_nc_u32_e32 v5, 0xffffff81, v5
	v_lshrrev_b32_e32 v7, 23, v112
	s_mov_b32 s7, exec_lo
	v_mov_b32_e32 v113, v53
	s_delay_alu instid0(VALU_DEP_3) | instskip(NEXT) | instid1(VALU_DEP_1)
	v_cndmask_b32_e64 v5, v5, 0xffffff82, vcc_lo
	v_add3_u32 v7, v6, v5, v7
	v_and_b32_e32 v5, 0xfffff, v114
	s_delay_alu instid0(VALU_DEP_1) | instskip(NEXT) | instid1(VALU_DEP_1)
	v_dual_add_nc_u32 v6, 6, v7 :: v_dual_add_nc_u32 v112, v5, v112
                                        ; implicit-def: $vgpr5
	v_cmpx_ne_u32_e32 0, v6
	s_xor_b32 s7, exec_lo, s7
; %bb.8487:                             ;   in Loop: Header=BB6_6801 Depth=2
	s_delay_alu instid0(VALU_DEP_2) | instskip(SKIP_1) | instid1(VALU_DEP_1)
	v_cmp_lt_u64_e32 vcc_lo, 0xffffff, v[112:113]
	v_add_nc_u32_e32 v5, 7, v7
	v_cndmask_b32_e32 v5, v6, v5, vcc_lo
	v_cndmask_b32_e64 v6, 0, 1, vcc_lo
	s_delay_alu instid0(VALU_DEP_1)
	v_lshrrev_b64 v[112:113], v6, v[112:113]
; %bb.8488:                             ;   in Loop: Header=BB6_6801 Depth=2
	s_and_not1_saveexec_b32 s7, s7
; %bb.8489:                             ;   in Loop: Header=BB6_6801 Depth=2
	s_delay_alu instid0(VALU_DEP_1)
	v_bfe_u32 v5, v112, 23, 1
; %bb.8490:                             ;   in Loop: Header=BB6_6801 Depth=2
	s_or_b32 exec_lo, exec_lo, s7
	s_delay_alu instid0(VALU_DEP_2) | instskip(NEXT) | instid1(VALU_DEP_2)
	v_lshrrev_b64 v[6:7], 20, v[112:113]
	v_cmp_gt_i32_e32 vcc_lo, 16, v5
	v_min_i32_e32 v8, 15, v5
	v_cmp_eq_u32_e64 s7, 0, v5
	s_delay_alu instid0(VALU_DEP_2) | instskip(SKIP_1) | instid1(VALU_DEP_2)
	v_dual_cndmask_b32 v7, 0, v7 :: v_dual_lshlrev_b32 v8, 3, v8
	v_cndmask_b32_e32 v6, 7, v6, vcc_lo
	v_and_b32_e32 v8, 0xf8, v8
	s_delay_alu instid0(VALU_DEP_2) | instskip(NEXT) | instid1(VALU_DEP_2)
	v_cmp_eq_u64_e32 vcc_lo, 0, v[6:7]
	v_and_or_b32 v5, v6, 7, v8
	s_and_b32 s7, s7, vcc_lo
	s_delay_alu instid0(VALU_DEP_1) | instid1(SALU_CYCLE_1)
	v_cndmask_b32_e64 v5, v5, 0, s7
	s_delay_alu instid0(VALU_DEP_1)
	v_or_b32_e32 v77, v5, v4
.LBB6_8491:                             ;   in Loop: Header=BB6_6801 Depth=2
	s_or_b32 exec_lo, exec_lo, s41
                                        ; implicit-def: $vgpr4
.LBB6_8492:                             ;   in Loop: Header=BB6_6801 Depth=2
	s_and_not1_saveexec_b32 s7, s40
; %bb.8493:                             ;   in Loop: Header=BB6_6801 Depth=2
	v_or_b32_e32 v77, 0x7e, v4
; %bb.8494:                             ;   in Loop: Header=BB6_6801 Depth=2
	s_or_b32 exec_lo, exec_lo, s7
                                        ; implicit-def: $vgpr4
.LBB6_8495:                             ;   in Loop: Header=BB6_6801 Depth=2
	s_and_not1_saveexec_b32 s7, s29
; %bb.8496:                             ;   in Loop: Header=BB6_6801 Depth=2
	v_or_b32_e32 v77, 0x7f, v4
; %bb.8497:                             ;   in Loop: Header=BB6_6801 Depth=2
	s_or_b32 exec_lo, exec_lo, s7
	v_dual_lshrrev_b32 v6, 16, v52 :: v_dual_mov_b32 v4, 0
	v_mov_b32_e32 v5, 0
	s_mov_b32 s7, exec_lo
	s_delay_alu instid0(VALU_DEP_2) | instskip(NEXT) | instid1(VALU_DEP_1)
	v_and_b32_e32 v7, 0xff, v6
	v_cmpx_ne_u16_e32 0, v7
	s_cbranch_execz .LBB6_8505
; %bb.8498:                             ;   in Loop: Header=BB6_6801 Depth=2
	v_bfrev_b32_e32 v5, 1
	s_mov_b32 s29, exec_lo
	v_cmpx_ne_u16_e32 0x80, v7
	s_cbranch_execz .LBB6_8504
; %bb.8499:                             ;   in Loop: Header=BB6_6801 Depth=2
	v_bfe_u32 v7, v52, 16, 7
	v_mov_b32_e32 v5, 0x7f800001
	s_mov_b32 s40, exec_lo
	s_delay_alu instid0(VALU_DEP_2)
	v_cmpx_ne_u32_e32 0x7f, v7
	s_cbranch_execz .LBB6_8503
; %bb.8500:                             ;   in Loop: Header=BB6_6801 Depth=2
	v_dual_mov_b32 v113, v53 :: v_dual_bitop2_b32 v112, 7, v6 bitop3:0x40
	v_lshrrev_b32_e32 v5, 3, v7
	s_mov_b32 s41, exec_lo
	v_cmpx_gt_u32_e32 8, v7
; %bb.8501:                             ;   in Loop: Header=BB6_6801 Depth=2
	s_delay_alu instid0(VALU_DEP_3) | instskip(NEXT) | instid1(VALU_DEP_1)
	v_clz_i32_u32_e32 v5, v112
	v_min_u32_e32 v5, 32, v5
	s_delay_alu instid0(VALU_DEP_1) | instskip(NEXT) | instid1(VALU_DEP_1)
	v_subrev_nc_u32_e32 v7, 28, v5
	v_lshlrev_b64_e32 v[8:9], v7, v[112:113]
	s_delay_alu instid0(VALU_DEP_1)
	v_dual_sub_nc_u32 v5, 29, v5 :: v_dual_bitop2_b32 v112, 7, v8 bitop3:0x40
; %bb.8502:                             ;   in Loop: Header=BB6_6801 Depth=2
	s_or_b32 exec_lo, exec_lo, s41
	s_delay_alu instid0(VALU_DEP_1) | instskip(NEXT) | instid1(VALU_DEP_2)
	v_dual_lshlrev_b32 v6, 24, v6 :: v_dual_lshlrev_b32 v7, 20, v112
	v_lshl_add_u32 v5, v5, 23, 0x3c000000
	s_delay_alu instid0(VALU_DEP_2) | instskip(NEXT) | instid1(VALU_DEP_1)
	v_and_b32_e32 v6, 0x80000000, v6
	v_or3_b32 v5, v7, v6, v5
.LBB6_8503:                             ;   in Loop: Header=BB6_6801 Depth=2
	s_or_b32 exec_lo, exec_lo, s40
.LBB6_8504:                             ;   in Loop: Header=BB6_6801 Depth=2
	s_delay_alu instid0(SALU_CYCLE_1)
	s_or_b32 exec_lo, exec_lo, s29
.LBB6_8505:                             ;   in Loop: Header=BB6_6801 Depth=2
	s_delay_alu instid0(SALU_CYCLE_1) | instskip(SKIP_2) | instid1(VALU_DEP_1)
	s_or_b32 exec_lo, exec_lo, s7
	v_lshrrev_b32_e32 v6, 16, v23
	s_mov_b32 s7, exec_lo
	v_and_b32_e32 v7, 0xff, v6
	s_delay_alu instid0(VALU_DEP_1)
	v_cmpx_ne_u16_e32 0, v7
	s_cbranch_execz .LBB6_8513
; %bb.8506:                             ;   in Loop: Header=BB6_6801 Depth=2
	v_bfrev_b32_e32 v4, 1
	s_mov_b32 s29, exec_lo
	v_cmpx_ne_u16_e32 0x80, v7
	s_cbranch_execz .LBB6_8512
; %bb.8507:                             ;   in Loop: Header=BB6_6801 Depth=2
	v_bfe_u32 v7, v23, 16, 7
	v_mov_b32_e32 v4, 0x7f800001
	s_mov_b32 s40, exec_lo
	s_delay_alu instid0(VALU_DEP_2)
	v_cmpx_ne_u32_e32 0x7f, v7
	s_cbranch_execz .LBB6_8511
; %bb.8508:                             ;   in Loop: Header=BB6_6801 Depth=2
	v_dual_mov_b32 v113, v53 :: v_dual_bitop2_b32 v112, 7, v6 bitop3:0x40
	v_lshrrev_b32_e32 v4, 3, v7
	s_mov_b32 s41, exec_lo
	v_cmpx_gt_u32_e32 8, v7
; %bb.8509:                             ;   in Loop: Header=BB6_6801 Depth=2
	s_delay_alu instid0(VALU_DEP_3) | instskip(NEXT) | instid1(VALU_DEP_1)
	v_clz_i32_u32_e32 v4, v112
	v_min_u32_e32 v4, 32, v4
	s_delay_alu instid0(VALU_DEP_1) | instskip(NEXT) | instid1(VALU_DEP_1)
	v_subrev_nc_u32_e32 v6, 28, v4
	v_lshlrev_b64_e32 v[6:7], v6, v[112:113]
	s_delay_alu instid0(VALU_DEP_1)
	v_dual_sub_nc_u32 v4, 29, v4 :: v_dual_bitop2_b32 v112, 7, v6 bitop3:0x40
; %bb.8510:                             ;   in Loop: Header=BB6_6801 Depth=2
	s_or_b32 exec_lo, exec_lo, s41
	s_delay_alu instid0(VALU_DEP_1) | instskip(NEXT) | instid1(VALU_DEP_2)
	v_dual_lshlrev_b32 v6, 8, v23 :: v_dual_lshlrev_b32 v7, 20, v112
	v_lshl_add_u32 v4, v4, 23, 0x3c000000
	s_delay_alu instid0(VALU_DEP_2) | instskip(NEXT) | instid1(VALU_DEP_1)
	v_and_b32_e32 v6, 0x80000000, v6
	v_or3_b32 v4, v7, v6, v4
.LBB6_8511:                             ;   in Loop: Header=BB6_6801 Depth=2
	s_or_b32 exec_lo, exec_lo, s40
.LBB6_8512:                             ;   in Loop: Header=BB6_6801 Depth=2
	s_delay_alu instid0(SALU_CYCLE_1)
	s_or_b32 exec_lo, exec_lo, s29
.LBB6_8513:                             ;   in Loop: Header=BB6_6801 Depth=2
	s_delay_alu instid0(SALU_CYCLE_1) | instskip(NEXT) | instid1(VALU_DEP_1)
	s_or_b32 exec_lo, exec_lo, s7
	v_add_f32_e32 v5, v5, v4
	v_mov_b32_e32 v7, v53
                                        ; implicit-def: $vgpr114
	s_mov_b32 s7, exec_lo
	s_delay_alu instid0(VALU_DEP_2) | instskip(SKIP_1) | instid1(VALU_DEP_2)
	v_and_b32_e32 v6, 0x7f800000, v5
	v_lshrrev_b32_e32 v4, 24, v5
	v_cmpx_ne_u64_e32 0x7f800000, v[6:7]
	s_xor_b32 s29, exec_lo, s7
	s_cbranch_execz .LBB6_8527
; %bb.8514:                             ;   in Loop: Header=BB6_6801 Depth=2
	v_and_b32_e32 v6, 0x7fffffff, v5
	v_mov_b32_e32 v7, v53
	v_and_b32_e32 v4, 0x80, v4
                                        ; implicit-def: $vgpr114
	s_mov_b32 s7, exec_lo
	s_delay_alu instid0(VALU_DEP_2)
	v_cmpx_gt_u64_e32 0x43e00001, v[6:7]
	s_xor_b32 s40, exec_lo, s7
	s_cbranch_execz .LBB6_8524
; %bb.8515:                             ;   in Loop: Header=BB6_6801 Depth=2
	v_mov_b32_e32 v114, 0
	s_mov_b32 s41, exec_lo
	v_cmpx_ne_u32_e32 0, v5
	s_cbranch_execz .LBB6_8523
; %bb.8516:                             ;   in Loop: Header=BB6_6801 Depth=2
	v_and_b32_e32 v7, 0x7fffff, v5
	v_bfe_u32 v5, v5, 23, 8
	s_mov_b32 s42, exec_lo
	v_mov_b32_e32 v9, v53
	s_delay_alu instid0(VALU_DEP_3) | instskip(NEXT) | instid1(VALU_DEP_3)
	v_or_b32_e32 v8, 0x800000, v7
	v_cmp_gt_u32_e64 s7, 0x7a, v5
	v_sub_nc_u32_e32 v6, 0x79, v5
	v_cmp_eq_u32_e32 vcc_lo, 0, v5
	s_delay_alu instid0(VALU_DEP_2) | instskip(NEXT) | instid1(VALU_DEP_1)
	v_dual_cndmask_b32 v6, 0, v6, s7 :: v_dual_cndmask_b32 v8, v8, v7, vcc_lo
	v_cndmask_b32_e64 v6, v6, 0x78, vcc_lo
	s_delay_alu instid0(VALU_DEP_1) | instskip(NEXT) | instid1(VALU_DEP_3)
	v_add_nc_u32_e32 v7, 20, v6
	v_lshrrev_b64 v[112:113], v6, v[8:9]
	s_delay_alu instid0(VALU_DEP_2) | instskip(SKIP_1) | instid1(VALU_DEP_3)
	v_lshlrev_b64_e64 v[38:39], v7, -1
	v_add_nc_u32_e32 v7, 19, v6
	v_mov_b64_e32 v[114:115], v[112:113]
	s_delay_alu instid0(VALU_DEP_2) | instskip(NEXT) | instid1(VALU_DEP_4)
	v_lshlrev_b64_e64 v[50:51], v7, 1
	v_bfi_b32 v39, v39, 0, 0
	v_bfi_b32 v38, v38, 0, v8
	s_delay_alu instid0(VALU_DEP_1)
	v_cmpx_eq_u64_e64 v[38:39], v[50:51]
; %bb.8517:                             ;   in Loop: Header=BB6_6801 Depth=2
	v_bfe_u32 v8, v112, 20, 1
	v_mov_b32_e32 v9, v53
	s_delay_alu instid0(VALU_DEP_1) | instskip(NEXT) | instid1(VALU_DEP_1)
	v_add_nc_u64_e32 v[8:9], v[112:113], v[8:9]
	v_add_nc_u64_e32 v[114:115], -1, v[8:9]
; %bb.8518:                             ;   in Loop: Header=BB6_6801 Depth=2
	s_or_b32 exec_lo, exec_lo, s42
	v_add_nc_u32_e32 v5, 0xffffff81, v5
	v_lshrrev_b32_e32 v7, 23, v112
	s_mov_b32 s7, exec_lo
	v_mov_b32_e32 v113, v53
	s_delay_alu instid0(VALU_DEP_3) | instskip(NEXT) | instid1(VALU_DEP_1)
	v_cndmask_b32_e64 v5, v5, 0xffffff82, vcc_lo
	v_add3_u32 v7, v6, v5, v7
	v_and_b32_e32 v5, 0xfffff, v114
	s_delay_alu instid0(VALU_DEP_1) | instskip(NEXT) | instid1(VALU_DEP_1)
	v_dual_add_nc_u32 v6, 6, v7 :: v_dual_add_nc_u32 v112, v5, v112
                                        ; implicit-def: $vgpr5
	v_cmpx_ne_u32_e32 0, v6
	s_xor_b32 s7, exec_lo, s7
; %bb.8519:                             ;   in Loop: Header=BB6_6801 Depth=2
	s_delay_alu instid0(VALU_DEP_2) | instskip(SKIP_1) | instid1(VALU_DEP_1)
	v_cmp_lt_u64_e32 vcc_lo, 0xffffff, v[112:113]
	v_add_nc_u32_e32 v5, 7, v7
	v_cndmask_b32_e32 v5, v6, v5, vcc_lo
	v_cndmask_b32_e64 v6, 0, 1, vcc_lo
	s_delay_alu instid0(VALU_DEP_1)
	v_lshrrev_b64 v[112:113], v6, v[112:113]
; %bb.8520:                             ;   in Loop: Header=BB6_6801 Depth=2
	s_and_not1_saveexec_b32 s7, s7
; %bb.8521:                             ;   in Loop: Header=BB6_6801 Depth=2
	s_delay_alu instid0(VALU_DEP_1)
	v_bfe_u32 v5, v112, 23, 1
; %bb.8522:                             ;   in Loop: Header=BB6_6801 Depth=2
	s_or_b32 exec_lo, exec_lo, s7
	s_delay_alu instid0(VALU_DEP_2) | instskip(NEXT) | instid1(VALU_DEP_2)
	v_lshrrev_b64 v[6:7], 20, v[112:113]
	v_cmp_gt_i32_e32 vcc_lo, 16, v5
	v_min_i32_e32 v8, 15, v5
	v_cmp_eq_u32_e64 s7, 0, v5
	s_delay_alu instid0(VALU_DEP_2) | instskip(SKIP_1) | instid1(VALU_DEP_2)
	v_dual_cndmask_b32 v7, 0, v7 :: v_dual_lshlrev_b32 v8, 3, v8
	v_cndmask_b32_e32 v6, 7, v6, vcc_lo
	v_and_b32_e32 v8, 0xf8, v8
	s_delay_alu instid0(VALU_DEP_2) | instskip(NEXT) | instid1(VALU_DEP_2)
	v_cmp_eq_u64_e32 vcc_lo, 0, v[6:7]
	v_and_or_b32 v5, v6, 7, v8
	s_and_b32 s7, s7, vcc_lo
	s_delay_alu instid0(VALU_DEP_1) | instid1(SALU_CYCLE_1)
	v_cndmask_b32_e64 v5, v5, 0, s7
	s_delay_alu instid0(VALU_DEP_1)
	v_or_b32_e32 v114, v5, v4
.LBB6_8523:                             ;   in Loop: Header=BB6_6801 Depth=2
	s_or_b32 exec_lo, exec_lo, s41
                                        ; implicit-def: $vgpr4
.LBB6_8524:                             ;   in Loop: Header=BB6_6801 Depth=2
	s_and_not1_saveexec_b32 s7, s40
; %bb.8525:                             ;   in Loop: Header=BB6_6801 Depth=2
	v_or_b32_e32 v114, 0x7e, v4
; %bb.8526:                             ;   in Loop: Header=BB6_6801 Depth=2
	s_or_b32 exec_lo, exec_lo, s7
                                        ; implicit-def: $vgpr4
.LBB6_8527:                             ;   in Loop: Header=BB6_6801 Depth=2
	s_and_not1_saveexec_b32 s7, s29
; %bb.8528:                             ;   in Loop: Header=BB6_6801 Depth=2
	v_or_b32_e32 v114, 0x7f, v4
; %bb.8529:                             ;   in Loop: Header=BB6_6801 Depth=2
	s_or_b32 exec_lo, exec_lo, s7
	v_dual_mov_b32 v4, 0 :: v_dual_mov_b32 v5, 0
	s_mov_b32 s7, exec_lo
	v_cmpx_lt_u32_e32 0xffffff, v52
	s_cbranch_execz .LBB6_8537
; %bb.8530:                             ;   in Loop: Header=BB6_6801 Depth=2
	v_lshrrev_b32_e32 v6, 24, v52
	v_bfrev_b32_e32 v5, 1
	s_mov_b32 s29, exec_lo
	s_delay_alu instid0(VALU_DEP_2)
	v_cmpx_ne_u32_e32 0x80, v6
	s_cbranch_execz .LBB6_8536
; %bb.8531:                             ;   in Loop: Header=BB6_6801 Depth=2
	v_bfe_u32 v7, v52, 24, 7
	v_mov_b32_e32 v5, 0x7f800001
	s_mov_b32 s40, exec_lo
	s_delay_alu instid0(VALU_DEP_2)
	v_cmpx_ne_u32_e32 0x7f, v7
	s_cbranch_execz .LBB6_8535
; %bb.8532:                             ;   in Loop: Header=BB6_6801 Depth=2
	v_dual_lshrrev_b32 v5, 3, v7 :: v_dual_bitop2_b32 v52, 7, v6 bitop3:0x40
	s_mov_b32 s41, exec_lo
	s_delay_alu instid0(VALU_DEP_1)
	v_mov_b64_e32 v[112:113], v[52:53]
	v_cmpx_gt_u32_e32 8, v7
; %bb.8533:                             ;   in Loop: Header=BB6_6801 Depth=2
	v_clz_i32_u32_e32 v5, v52
	s_delay_alu instid0(VALU_DEP_1) | instskip(NEXT) | instid1(VALU_DEP_1)
	v_min_u32_e32 v5, 32, v5
	v_subrev_nc_u32_e32 v7, 28, v5
	s_delay_alu instid0(VALU_DEP_1) | instskip(NEXT) | instid1(VALU_DEP_1)
	v_lshlrev_b64_e32 v[8:9], v7, v[52:53]
	v_dual_sub_nc_u32 v5, 29, v5 :: v_dual_bitop2_b32 v112, 7, v8 bitop3:0x40
; %bb.8534:                             ;   in Loop: Header=BB6_6801 Depth=2
	s_or_b32 exec_lo, exec_lo, s41
	s_delay_alu instid0(VALU_DEP_1) | instskip(NEXT) | instid1(VALU_DEP_2)
	v_dual_lshlrev_b32 v6, 24, v6 :: v_dual_lshlrev_b32 v7, 20, v112
	v_lshl_add_u32 v5, v5, 23, 0x3c000000
	s_delay_alu instid0(VALU_DEP_2) | instskip(NEXT) | instid1(VALU_DEP_1)
	v_and_b32_e32 v6, 0x80000000, v6
	v_or3_b32 v5, v7, v6, v5
.LBB6_8535:                             ;   in Loop: Header=BB6_6801 Depth=2
	s_or_b32 exec_lo, exec_lo, s40
.LBB6_8536:                             ;   in Loop: Header=BB6_6801 Depth=2
	s_delay_alu instid0(SALU_CYCLE_1)
	s_or_b32 exec_lo, exec_lo, s29
.LBB6_8537:                             ;   in Loop: Header=BB6_6801 Depth=2
	s_delay_alu instid0(SALU_CYCLE_1) | instskip(NEXT) | instid1(SALU_CYCLE_1)
	s_or_b32 exec_lo, exec_lo, s7
	s_mov_b32 s7, exec_lo
	v_cmpx_lt_u64_e64 s[12:13], v[22:23]
	s_cbranch_execz .LBB6_8545
; %bb.8538:                             ;   in Loop: Header=BB6_6801 Depth=2
	v_lshrrev_b32_e32 v6, 24, v23
	v_bfrev_b32_e32 v4, 1
	s_mov_b32 s29, exec_lo
	s_delay_alu instid0(VALU_DEP_2)
	v_cmpx_ne_u32_e32 0x80, v6
	s_cbranch_execz .LBB6_8544
; %bb.8539:                             ;   in Loop: Header=BB6_6801 Depth=2
	v_bfe_u32 v7, v23, 24, 7
	v_mov_b32_e32 v4, 0x7f800001
	s_mov_b32 s40, exec_lo
	s_delay_alu instid0(VALU_DEP_2)
	v_cmpx_ne_u32_e32 0x7f, v7
	s_cbranch_execz .LBB6_8543
; %bb.8540:                             ;   in Loop: Header=BB6_6801 Depth=2
	v_dual_lshrrev_b32 v4, 3, v7 :: v_dual_bitop2_b32 v52, 7, v6 bitop3:0x40
	s_mov_b32 s41, exec_lo
	s_delay_alu instid0(VALU_DEP_1)
	v_mov_b64_e32 v[22:23], v[52:53]
	v_cmpx_gt_u32_e32 8, v7
; %bb.8541:                             ;   in Loop: Header=BB6_6801 Depth=2
	v_clz_i32_u32_e32 v4, v52
	s_delay_alu instid0(VALU_DEP_1) | instskip(NEXT) | instid1(VALU_DEP_1)
	v_min_u32_e32 v4, 32, v4
	v_subrev_nc_u32_e32 v7, 28, v4
	v_sub_nc_u32_e32 v4, 29, v4
	s_delay_alu instid0(VALU_DEP_2) | instskip(NEXT) | instid1(VALU_DEP_1)
	v_lshlrev_b64_e32 v[8:9], v7, v[52:53]
	v_and_b32_e32 v22, 7, v8
; %bb.8542:                             ;   in Loop: Header=BB6_6801 Depth=2
	s_or_b32 exec_lo, exec_lo, s41
	v_lshlrev_b32_e32 v6, 24, v6
	s_delay_alu instid0(VALU_DEP_2) | instskip(SKIP_1) | instid1(VALU_DEP_3)
	v_lshlrev_b32_e32 v7, 20, v22
	v_lshl_add_u32 v4, v4, 23, 0x3c000000
	v_and_b32_e32 v6, 0x80000000, v6
	s_delay_alu instid0(VALU_DEP_1)
	v_or3_b32 v4, v7, v6, v4
.LBB6_8543:                             ;   in Loop: Header=BB6_6801 Depth=2
	s_or_b32 exec_lo, exec_lo, s40
.LBB6_8544:                             ;   in Loop: Header=BB6_6801 Depth=2
	s_delay_alu instid0(SALU_CYCLE_1)
	s_or_b32 exec_lo, exec_lo, s29
.LBB6_8545:                             ;   in Loop: Header=BB6_6801 Depth=2
	s_delay_alu instid0(SALU_CYCLE_1) | instskip(NEXT) | instid1(VALU_DEP_1)
	s_or_b32 exec_lo, exec_lo, s7
	v_add_f32_e32 v5, v5, v4
                                        ; implicit-def: $vgpr115
	s_mov_b32 s7, exec_lo
	s_delay_alu instid0(VALU_DEP_1) | instskip(SKIP_1) | instid1(VALU_DEP_2)
	v_and_b32_e32 v52, 0x7f800000, v5
	v_lshrrev_b32_e32 v4, 24, v5
	v_cmpx_ne_u64_e32 0x7f800000, v[52:53]
	s_xor_b32 s29, exec_lo, s7
	s_cbranch_execz .LBB6_8559
; %bb.8546:                             ;   in Loop: Header=BB6_6801 Depth=2
	v_and_b32_e32 v52, 0x7fffffff, v5
	v_and_b32_e32 v4, 0x80, v4
                                        ; implicit-def: $vgpr115
	s_mov_b32 s7, exec_lo
	s_delay_alu instid0(VALU_DEP_2)
	v_cmpx_gt_u64_e32 0x43e00001, v[52:53]
	s_xor_b32 s40, exec_lo, s7
	s_cbranch_execz .LBB6_8556
; %bb.8547:                             ;   in Loop: Header=BB6_6801 Depth=2
	v_mov_b32_e32 v115, 0
	s_mov_b32 s41, exec_lo
	v_cmpx_ne_u32_e32 0, v5
	s_cbranch_execz .LBB6_8555
; %bb.8548:                             ;   in Loop: Header=BB6_6801 Depth=2
	v_and_b32_e32 v7, 0x7fffff, v5
	v_bfe_u32 v5, v5, 23, 8
	s_delay_alu instid0(VALU_DEP_2) | instskip(NEXT) | instid1(VALU_DEP_2)
	v_or_b32_e32 v8, 0x800000, v7
	v_cmp_gt_u32_e64 s7, 0x7a, v5
	v_sub_nc_u32_e32 v6, 0x79, v5
	v_cmp_eq_u32_e32 vcc_lo, 0, v5
	s_delay_alu instid0(VALU_DEP_2) | instskip(NEXT) | instid1(VALU_DEP_1)
	v_dual_cndmask_b32 v6, 0, v6, s7 :: v_dual_cndmask_b32 v52, v8, v7, vcc_lo
	v_cndmask_b32_e64 v6, v6, 0x78, vcc_lo
	s_delay_alu instid0(VALU_DEP_1) | instskip(NEXT) | instid1(VALU_DEP_1)
	v_add_nc_u32_e32 v7, 20, v6
	v_lshlrev_b64_e64 v[8:9], v7, -1
	v_add_nc_u32_e32 v7, 19, v6
	s_delay_alu instid0(VALU_DEP_1) | instskip(NEXT) | instid1(VALU_DEP_3)
	v_lshlrev_b64_e64 v[22:23], v7, 1
	v_bfi_b32 v9, v9, 0, 0
	s_delay_alu instid0(VALU_DEP_4) | instskip(NEXT) | instid1(VALU_DEP_1)
	v_bfi_b32 v8, v8, 0, v52
	v_cmp_eq_u64_e64 s7, v[8:9], v[22:23]
	v_lshrrev_b64 v[22:23], v6, v[52:53]
	s_delay_alu instid0(VALU_DEP_1)
	v_mov_b64_e32 v[112:113], v[22:23]
	s_and_saveexec_b32 s42, s7
; %bb.8549:                             ;   in Loop: Header=BB6_6801 Depth=2
	v_bfe_u32 v52, v22, 20, 1
	s_delay_alu instid0(VALU_DEP_1) | instskip(NEXT) | instid1(VALU_DEP_1)
	v_add_nc_u64_e32 v[8:9], v[22:23], v[52:53]
	v_add_nc_u64_e32 v[112:113], -1, v[8:9]
; %bb.8550:                             ;   in Loop: Header=BB6_6801 Depth=2
	s_or_b32 exec_lo, exec_lo, s42
	v_add_nc_u32_e32 v5, 0xffffff81, v5
	v_lshrrev_b32_e32 v7, 23, v22
	s_mov_b32 s7, exec_lo
	s_delay_alu instid0(VALU_DEP_2) | instskip(NEXT) | instid1(VALU_DEP_1)
	v_cndmask_b32_e64 v5, v5, 0xffffff82, vcc_lo
	v_add3_u32 v7, v6, v5, v7
	v_and_b32_e32 v5, 0xfffff, v112
	s_delay_alu instid0(VALU_DEP_1) | instskip(NEXT) | instid1(VALU_DEP_1)
	v_dual_add_nc_u32 v6, 6, v7 :: v_dual_add_nc_u32 v52, v5, v22
                                        ; implicit-def: $vgpr22_vgpr23
                                        ; implicit-def: $vgpr5
	v_cmpx_ne_u32_e32 0, v6
	s_xor_b32 s7, exec_lo, s7
; %bb.8551:                             ;   in Loop: Header=BB6_6801 Depth=2
	s_delay_alu instid0(VALU_DEP_2) | instskip(SKIP_1) | instid1(VALU_DEP_1)
	v_cmp_lt_u64_e32 vcc_lo, 0xffffff, v[52:53]
	v_add_nc_u32_e32 v5, 7, v7
	v_cndmask_b32_e32 v5, v6, v5, vcc_lo
	v_cndmask_b32_e64 v6, 0, 1, vcc_lo
	s_delay_alu instid0(VALU_DEP_1)
	v_lshrrev_b64 v[22:23], v6, v[52:53]
; %bb.8552:                             ;   in Loop: Header=BB6_6801 Depth=2
	s_and_not1_saveexec_b32 s7, s7
; %bb.8553:                             ;   in Loop: Header=BB6_6801 Depth=2
	v_mov_b64_e32 v[22:23], v[52:53]
	v_bfe_u32 v5, v52, 23, 1
; %bb.8554:                             ;   in Loop: Header=BB6_6801 Depth=2
	s_or_b32 exec_lo, exec_lo, s7
	s_delay_alu instid0(VALU_DEP_2) | instskip(NEXT) | instid1(VALU_DEP_2)
	v_lshrrev_b64 v[6:7], 20, v[22:23]
	v_cmp_gt_i32_e32 vcc_lo, 16, v5
	v_min_i32_e32 v8, 15, v5
	v_cmp_eq_u32_e64 s7, 0, v5
	s_delay_alu instid0(VALU_DEP_2) | instskip(SKIP_1) | instid1(VALU_DEP_2)
	v_dual_cndmask_b32 v7, 0, v7 :: v_dual_lshlrev_b32 v8, 3, v8
	v_cndmask_b32_e32 v6, 7, v6, vcc_lo
	v_and_b32_e32 v8, 0xf8, v8
	s_delay_alu instid0(VALU_DEP_2) | instskip(NEXT) | instid1(VALU_DEP_2)
	v_cmp_eq_u64_e32 vcc_lo, 0, v[6:7]
	v_and_or_b32 v5, v6, 7, v8
	s_and_b32 s7, s7, vcc_lo
	s_delay_alu instid0(VALU_DEP_1) | instid1(SALU_CYCLE_1)
	v_cndmask_b32_e64 v5, v5, 0, s7
	s_delay_alu instid0(VALU_DEP_1)
	v_or_b32_e32 v115, v5, v4
.LBB6_8555:                             ;   in Loop: Header=BB6_6801 Depth=2
	s_or_b32 exec_lo, exec_lo, s41
                                        ; implicit-def: $vgpr4
.LBB6_8556:                             ;   in Loop: Header=BB6_6801 Depth=2
	s_and_not1_saveexec_b32 s7, s40
; %bb.8557:                             ;   in Loop: Header=BB6_6801 Depth=2
	v_or_b32_e32 v115, 0x7e, v4
; %bb.8558:                             ;   in Loop: Header=BB6_6801 Depth=2
	s_or_b32 exec_lo, exec_lo, s7
                                        ; implicit-def: $vgpr4
.LBB6_8559:                             ;   in Loop: Header=BB6_6801 Depth=2
	s_and_not1_saveexec_b32 s7, s29
; %bb.8560:                             ;   in Loop: Header=BB6_6801 Depth=2
	v_or_b32_e32 v115, 0x7f, v4
; %bb.8561:                             ;   in Loop: Header=BB6_6801 Depth=2
	s_or_b32 exec_lo, exec_lo, s7
	v_lshl_or_b32 v4, v94, 8, v91
	v_dual_lshlrev_b32 v5, 16, v105 :: v_dual_lshlrev_b32 v6, 24, v110
	s_mov_b32 s7, exec_lo
	s_delay_alu instid0(VALU_DEP_1)
	v_or3_b32 v52, v5, v6, v4
	v_dual_mov_b32 v5, 0 :: v_dual_mov_b32 v6, 0
	v_cmpx_ne_u32_e32 0, v91
	s_cbranch_execz .LBB6_8567
; %bb.8562:                             ;   in Loop: Header=BB6_6801 Depth=2
	v_bfrev_b32_e32 v6, 1
	s_mov_b32 s29, exec_lo
	v_cmpx_ne_u32_e32 0x80, v91
	s_cbranch_execz .LBB6_8566
; %bb.8563:                             ;   in Loop: Header=BB6_6801 Depth=2
	v_and_b32_e32 v7, 0x7f, v91
	v_mov_b32_e32 v6, 0x7f800001
	s_mov_b32 s40, exec_lo
	s_delay_alu instid0(VALU_DEP_2)
	v_cmpx_ne_u32_e32 0x7f, v7
	s_cbranch_execz .LBB6_8565
; %bb.8564:                             ;   in Loop: Header=BB6_6801 Depth=2
	v_and_b32_e32 v6, 7, v91
	v_cmp_gt_u32_e32 vcc_lo, 8, v7
	s_delay_alu instid0(VALU_DEP_2) | instskip(NEXT) | instid1(VALU_DEP_1)
	v_clz_i32_u32_e32 v6, v6
	v_min_u32_e32 v6, 32, v6
	v_lshrrev_b32_e32 v8, 3, v7
	s_delay_alu instid0(VALU_DEP_2) | instskip(SKIP_1) | instid1(VALU_DEP_1)
	v_subrev_nc_u32_e32 v7, 28, v6
	v_sub_nc_u32_e32 v6, 29, v6
	v_dual_cndmask_b32 v8, v8, v6, vcc_lo :: v_dual_cndmask_b32 v6, 0, v7, vcc_lo
	s_delay_alu instid0(VALU_DEP_1) | instskip(NEXT) | instid1(VALU_DEP_2)
	v_lshl_add_u32 v8, v8, 23, 0x3c000000
	v_lshlrev_b64_e32 v[6:7], v6, v[52:53]
	v_lshlrev_b32_e32 v7, 24, v52
	s_delay_alu instid0(VALU_DEP_1) | instskip(NEXT) | instid1(VALU_DEP_3)
	v_and_b32_e32 v7, 0x80000000, v7
	v_lshlrev_b32_e32 v6, 20, v6
	s_delay_alu instid0(VALU_DEP_1) | instskip(NEXT) | instid1(VALU_DEP_1)
	v_and_b32_e32 v6, 0x700000, v6
	v_or3_b32 v6, v6, v7, v8
.LBB6_8565:                             ;   in Loop: Header=BB6_6801 Depth=2
	s_or_b32 exec_lo, exec_lo, s40
.LBB6_8566:                             ;   in Loop: Header=BB6_6801 Depth=2
	s_delay_alu instid0(SALU_CYCLE_1)
	s_or_b32 exec_lo, exec_lo, s29
.LBB6_8567:                             ;   in Loop: Header=BB6_6801 Depth=2
	s_delay_alu instid0(SALU_CYCLE_1) | instskip(SKIP_2) | instid1(VALU_DEP_1)
	s_or_b32 exec_lo, exec_lo, s7
	v_and_b32_e32 v7, 0xff, v24
	s_mov_b32 s7, exec_lo
	v_cmpx_ne_u16_e32 0, v7
	s_cbranch_execz .LBB6_8573
; %bb.8568:                             ;   in Loop: Header=BB6_6801 Depth=2
	v_bfrev_b32_e32 v5, 1
	s_mov_b32 s29, exec_lo
	v_cmpx_ne_u16_e32 0x80, v7
	s_cbranch_execz .LBB6_8572
; %bb.8569:                             ;   in Loop: Header=BB6_6801 Depth=2
	v_and_b32_e32 v7, 0x7f, v24
	v_mov_b32_e32 v5, 0x7f800001
	s_mov_b32 s40, exec_lo
	s_delay_alu instid0(VALU_DEP_2)
	v_cmpx_ne_u32_e32 0x7f, v7
	s_cbranch_execz .LBB6_8571
; %bb.8570:                             ;   in Loop: Header=BB6_6801 Depth=2
	v_dual_lshrrev_b32 v8, 3, v7 :: v_dual_bitop2_b32 v5, 7, v24 bitop3:0x40
	v_cmp_gt_u32_e32 vcc_lo, 8, v7
	s_delay_alu instid0(VALU_DEP_2) | instskip(NEXT) | instid1(VALU_DEP_1)
	v_clz_i32_u32_e32 v5, v5
	v_min_u32_e32 v5, 32, v5
	s_delay_alu instid0(VALU_DEP_1) | instskip(NEXT) | instid1(VALU_DEP_1)
	v_subrev_nc_u32_e32 v7, 28, v5
	v_dual_sub_nc_u32 v5, 29, v5 :: v_dual_cndmask_b32 v7, 0, v7, vcc_lo
	s_delay_alu instid0(VALU_DEP_1) | instskip(NEXT) | instid1(VALU_DEP_2)
	v_cndmask_b32_e32 v5, v8, v5, vcc_lo
	v_lshlrev_b64_e32 v[8:9], v7, v[24:25]
	s_delay_alu instid0(VALU_DEP_1) | instskip(SKIP_1) | instid1(VALU_DEP_4)
	v_lshlrev_b32_e32 v7, 20, v8
	v_lshlrev_b32_e32 v8, 24, v24
	v_lshl_add_u32 v5, v5, 23, 0x3c000000
	s_delay_alu instid0(VALU_DEP_3) | instskip(NEXT) | instid1(VALU_DEP_3)
	v_and_b32_e32 v7, 0x700000, v7
	v_and_b32_e32 v8, 0x80000000, v8
	s_delay_alu instid0(VALU_DEP_1)
	v_or3_b32 v5, v7, v8, v5
.LBB6_8571:                             ;   in Loop: Header=BB6_6801 Depth=2
	s_or_b32 exec_lo, exec_lo, s40
.LBB6_8572:                             ;   in Loop: Header=BB6_6801 Depth=2
	s_delay_alu instid0(SALU_CYCLE_1)
	s_or_b32 exec_lo, exec_lo, s29
.LBB6_8573:                             ;   in Loop: Header=BB6_6801 Depth=2
	s_delay_alu instid0(SALU_CYCLE_1) | instskip(NEXT) | instid1(VALU_DEP_1)
	s_or_b32 exec_lo, exec_lo, s7
	v_dual_add_f32 v6, v6, v5 :: v_dual_mov_b32 v9, v53
                                        ; implicit-def: $vgpr91
	s_mov_b32 s7, exec_lo
	s_delay_alu instid0(VALU_DEP_1) | instskip(SKIP_1) | instid1(VALU_DEP_2)
	v_and_b32_e32 v8, 0x7f800000, v6
	v_lshrrev_b32_e32 v5, 24, v6
	v_cmpx_ne_u64_e32 0x7f800000, v[8:9]
	s_xor_b32 s29, exec_lo, s7
	s_cbranch_execz .LBB6_8587
; %bb.8574:                             ;   in Loop: Header=BB6_6801 Depth=2
	v_and_b32_e32 v8, 0x7fffffff, v6
	v_mov_b32_e32 v9, v53
	v_and_b32_e32 v5, 0x80, v5
                                        ; implicit-def: $vgpr91
	s_mov_b32 s7, exec_lo
	s_delay_alu instid0(VALU_DEP_2)
	v_cmpx_gt_u64_e32 0x43e00001, v[8:9]
	s_xor_b32 s40, exec_lo, s7
	s_cbranch_execz .LBB6_8584
; %bb.8575:                             ;   in Loop: Header=BB6_6801 Depth=2
	v_mov_b32_e32 v91, 0
	s_mov_b32 s41, exec_lo
	v_cmpx_ne_u32_e32 0, v6
	s_cbranch_execz .LBB6_8583
; %bb.8576:                             ;   in Loop: Header=BB6_6801 Depth=2
	v_and_b32_e32 v8, 0x7fffff, v6
	v_bfe_u32 v6, v6, 23, 8
	s_delay_alu instid0(VALU_DEP_2) | instskip(NEXT) | instid1(VALU_DEP_2)
	v_or_b32_e32 v9, 0x800000, v8
	v_cmp_eq_u32_e32 vcc_lo, 0, v6
	v_cmp_gt_u32_e64 s7, 0x7a, v6
	s_delay_alu instid0(VALU_DEP_3) | instskip(NEXT) | instid1(VALU_DEP_1)
	v_dual_cndmask_b32 v8, v9, v8 :: v_dual_sub_nc_u32 v7, 0x79, v6
	v_dual_mov_b32 v9, v53 :: v_dual_cndmask_b32 v7, 0, v7, s7
	s_delay_alu instid0(VALU_DEP_1) | instskip(NEXT) | instid1(VALU_DEP_1)
	v_cndmask_b32_e64 v7, v7, 0x78, vcc_lo
	v_dual_add_nc_u32 v22, 20, v7 :: v_dual_add_nc_u32 v30, 19, v7
	s_delay_alu instid0(VALU_DEP_1) | instskip(NEXT) | instid1(VALU_DEP_2)
	v_lshlrev_b64_e64 v[22:23], v22, -1
	v_lshlrev_b64_e64 v[38:39], v30, 1
	s_delay_alu instid0(VALU_DEP_2) | instskip(NEXT) | instid1(VALU_DEP_3)
	v_bfi_b32 v23, v23, 0, 0
	v_bfi_b32 v22, v22, 0, v8
	s_delay_alu instid0(VALU_DEP_1) | instskip(SKIP_1) | instid1(VALU_DEP_1)
	v_cmp_eq_u64_e64 s7, v[22:23], v[38:39]
	v_lshrrev_b64 v[22:23], v7, v[8:9]
	v_mov_b64_e32 v[112:113], v[22:23]
	s_and_saveexec_b32 s42, s7
; %bb.8577:                             ;   in Loop: Header=BB6_6801 Depth=2
	v_bfe_u32 v8, v22, 20, 1
	v_mov_b32_e32 v9, v53
	s_delay_alu instid0(VALU_DEP_1) | instskip(NEXT) | instid1(VALU_DEP_1)
	v_add_nc_u64_e32 v[8:9], v[22:23], v[8:9]
	v_add_nc_u64_e32 v[112:113], -1, v[8:9]
; %bb.8578:                             ;   in Loop: Header=BB6_6801 Depth=2
	s_or_b32 exec_lo, exec_lo, s42
	v_dual_mov_b32 v23, v53 :: v_dual_add_nc_u32 v6, 0xffffff81, v6
	v_lshrrev_b32_e32 v8, 23, v22
	s_mov_b32 s7, exec_lo
	s_delay_alu instid0(VALU_DEP_2) | instskip(NEXT) | instid1(VALU_DEP_1)
	v_cndmask_b32_e64 v6, v6, 0xffffff82, vcc_lo
	v_add3_u32 v8, v7, v6, v8
	v_and_b32_e32 v6, 0xfffff, v112
	s_delay_alu instid0(VALU_DEP_1) | instskip(NEXT) | instid1(VALU_DEP_1)
	v_dual_add_nc_u32 v7, 6, v8 :: v_dual_add_nc_u32 v22, v6, v22
                                        ; implicit-def: $vgpr6
	v_cmpx_ne_u32_e32 0, v7
	s_xor_b32 s7, exec_lo, s7
; %bb.8579:                             ;   in Loop: Header=BB6_6801 Depth=2
	s_delay_alu instid0(VALU_DEP_2) | instskip(SKIP_1) | instid1(VALU_DEP_1)
	v_cmp_lt_u64_e32 vcc_lo, 0xffffff, v[22:23]
	v_add_nc_u32_e32 v6, 7, v8
	v_cndmask_b32_e32 v6, v7, v6, vcc_lo
	v_cndmask_b32_e64 v7, 0, 1, vcc_lo
	s_delay_alu instid0(VALU_DEP_1)
	v_lshrrev_b64 v[22:23], v7, v[22:23]
; %bb.8580:                             ;   in Loop: Header=BB6_6801 Depth=2
	s_and_not1_saveexec_b32 s7, s7
; %bb.8581:                             ;   in Loop: Header=BB6_6801 Depth=2
	s_delay_alu instid0(VALU_DEP_1)
	v_bfe_u32 v6, v22, 23, 1
; %bb.8582:                             ;   in Loop: Header=BB6_6801 Depth=2
	s_or_b32 exec_lo, exec_lo, s7
	s_delay_alu instid0(VALU_DEP_2) | instskip(NEXT) | instid1(VALU_DEP_2)
	v_lshrrev_b64 v[8:9], 20, v[22:23]
	v_cmp_gt_i32_e32 vcc_lo, 16, v6
	v_min_i32_e32 v7, 15, v6
	v_cmp_eq_u32_e64 s7, 0, v6
	s_delay_alu instid0(VALU_DEP_2) | instskip(SKIP_1) | instid1(VALU_DEP_2)
	v_dual_cndmask_b32 v9, 0, v9, vcc_lo :: v_dual_lshlrev_b32 v7, 3, v7
	v_cndmask_b32_e32 v8, 7, v8, vcc_lo
	v_and_b32_e32 v7, 0xf8, v7
	s_delay_alu instid0(VALU_DEP_2) | instskip(NEXT) | instid1(VALU_DEP_2)
	v_cmp_eq_u64_e32 vcc_lo, 0, v[8:9]
	v_and_or_b32 v6, v8, 7, v7
	s_and_b32 s7, s7, vcc_lo
	s_delay_alu instid0(VALU_DEP_1) | instid1(SALU_CYCLE_1)
	v_cndmask_b32_e64 v6, v6, 0, s7
	s_delay_alu instid0(VALU_DEP_1)
	v_or_b32_e32 v91, v6, v5
.LBB6_8583:                             ;   in Loop: Header=BB6_6801 Depth=2
	s_or_b32 exec_lo, exec_lo, s41
                                        ; implicit-def: $vgpr5
.LBB6_8584:                             ;   in Loop: Header=BB6_6801 Depth=2
	s_and_not1_saveexec_b32 s7, s40
; %bb.8585:                             ;   in Loop: Header=BB6_6801 Depth=2
	v_or_b32_e32 v91, 0x7e, v5
; %bb.8586:                             ;   in Loop: Header=BB6_6801 Depth=2
	s_or_b32 exec_lo, exec_lo, s7
                                        ; implicit-def: $vgpr5
.LBB6_8587:                             ;   in Loop: Header=BB6_6801 Depth=2
	s_and_not1_saveexec_b32 s7, s29
; %bb.8588:                             ;   in Loop: Header=BB6_6801 Depth=2
	v_or_b32_e32 v91, 0x7f, v5
; %bb.8589:                             ;   in Loop: Header=BB6_6801 Depth=2
	s_or_b32 exec_lo, exec_lo, s7
	v_lshrrev_b16 v7, 8, v4
	v_dual_mov_b32 v5, 0 :: v_dual_mov_b32 v6, 0
	s_mov_b32 s7, exec_lo
	s_delay_alu instid0(VALU_DEP_2)
	v_cmpx_ne_u16_e32 0, v7
	s_cbranch_execz .LBB6_8597
; %bb.8590:                             ;   in Loop: Header=BB6_6801 Depth=2
	v_bfrev_b32_e32 v6, 1
	s_mov_b32 s29, exec_lo
	v_cmpx_ne_u16_e32 0x80, v7
	s_cbranch_execz .LBB6_8596
; %bb.8591:                             ;   in Loop: Header=BB6_6801 Depth=2
	v_and_b32_e32 v8, 0xffff, v7
	v_mov_b32_e32 v6, 0x7f800001
	s_mov_b32 s40, exec_lo
	s_delay_alu instid0(VALU_DEP_2) | instskip(NEXT) | instid1(VALU_DEP_1)
	v_and_b32_e32 v7, 0x7f, v8
	v_cmpx_ne_u32_e32 0x7f, v7
	s_cbranch_execz .LBB6_8595
; %bb.8592:                             ;   in Loop: Header=BB6_6801 Depth=2
	v_dual_mov_b32 v23, v53 :: v_dual_bitop2_b32 v22, 7, v8 bitop3:0x40
	v_lshrrev_b32_e32 v6, 3, v7
	s_mov_b32 s41, exec_lo
	v_cmpx_gt_u32_e32 8, v7
; %bb.8593:                             ;   in Loop: Header=BB6_6801 Depth=2
	s_delay_alu instid0(VALU_DEP_3) | instskip(NEXT) | instid1(VALU_DEP_1)
	v_clz_i32_u32_e32 v6, v22
	v_min_u32_e32 v6, 32, v6
	s_delay_alu instid0(VALU_DEP_1) | instskip(NEXT) | instid1(VALU_DEP_1)
	v_subrev_nc_u32_e32 v7, 28, v6
	v_lshlrev_b64_e32 v[8:9], v7, v[22:23]
	s_delay_alu instid0(VALU_DEP_1)
	v_dual_sub_nc_u32 v6, 29, v6 :: v_dual_bitop2_b32 v22, 7, v8 bitop3:0x40
; %bb.8594:                             ;   in Loop: Header=BB6_6801 Depth=2
	s_or_b32 exec_lo, exec_lo, s41
	s_delay_alu instid0(VALU_DEP_1) | instskip(NEXT) | instid1(VALU_DEP_2)
	v_dual_lshlrev_b32 v4, 16, v4 :: v_dual_lshlrev_b32 v7, 20, v22
	v_lshl_add_u32 v6, v6, 23, 0x3c000000
	s_delay_alu instid0(VALU_DEP_2) | instskip(NEXT) | instid1(VALU_DEP_1)
	v_and_b32_e32 v4, 0x80000000, v4
	v_or3_b32 v6, v7, v4, v6
.LBB6_8595:                             ;   in Loop: Header=BB6_6801 Depth=2
	s_or_b32 exec_lo, exec_lo, s40
.LBB6_8596:                             ;   in Loop: Header=BB6_6801 Depth=2
	s_delay_alu instid0(SALU_CYCLE_1)
	s_or_b32 exec_lo, exec_lo, s29
.LBB6_8597:                             ;   in Loop: Header=BB6_6801 Depth=2
	s_delay_alu instid0(SALU_CYCLE_1) | instskip(SKIP_2) | instid1(VALU_DEP_1)
	s_or_b32 exec_lo, exec_lo, s7
	v_lshrrev_b16 v4, 8, v24
	s_mov_b32 s7, exec_lo
	v_cmpx_ne_u16_e32 0, v4
	s_cbranch_execz .LBB6_8605
; %bb.8598:                             ;   in Loop: Header=BB6_6801 Depth=2
	v_bfrev_b32_e32 v5, 1
	s_mov_b32 s29, exec_lo
	v_cmpx_ne_u16_e32 0x80, v4
	s_cbranch_execz .LBB6_8604
; %bb.8599:                             ;   in Loop: Header=BB6_6801 Depth=2
	v_and_b32_e32 v4, 0xffff, v4
	v_mov_b32_e32 v5, 0x7f800001
	s_mov_b32 s40, exec_lo
	s_delay_alu instid0(VALU_DEP_2) | instskip(NEXT) | instid1(VALU_DEP_1)
	v_and_b32_e32 v7, 0x7f, v4
	v_cmpx_ne_u32_e32 0x7f, v7
	s_cbranch_execz .LBB6_8603
; %bb.8600:                             ;   in Loop: Header=BB6_6801 Depth=2
	v_dual_mov_b32 v23, v53 :: v_dual_bitop2_b32 v22, 7, v4 bitop3:0x40
	v_lshrrev_b32_e32 v4, 3, v7
	s_mov_b32 s41, exec_lo
	v_cmpx_gt_u32_e32 8, v7
; %bb.8601:                             ;   in Loop: Header=BB6_6801 Depth=2
	s_delay_alu instid0(VALU_DEP_3) | instskip(NEXT) | instid1(VALU_DEP_1)
	v_clz_i32_u32_e32 v4, v22
	v_min_u32_e32 v4, 32, v4
	s_delay_alu instid0(VALU_DEP_1) | instskip(SKIP_1) | instid1(VALU_DEP_2)
	v_subrev_nc_u32_e32 v5, 28, v4
	v_sub_nc_u32_e32 v4, 29, v4
	v_lshlrev_b64_e32 v[8:9], v5, v[22:23]
	s_delay_alu instid0(VALU_DEP_1)
	v_and_b32_e32 v22, 7, v8
; %bb.8602:                             ;   in Loop: Header=BB6_6801 Depth=2
	s_or_b32 exec_lo, exec_lo, s41
	s_delay_alu instid0(VALU_DEP_1) | instskip(SKIP_1) | instid1(VALU_DEP_2)
	v_dual_lshlrev_b32 v5, 16, v24 :: v_dual_lshlrev_b32 v7, 20, v22
	v_lshl_add_u32 v4, v4, 23, 0x3c000000
	v_and_b32_e32 v5, 0x80000000, v5
	s_delay_alu instid0(VALU_DEP_1)
	v_or3_b32 v5, v7, v5, v4
.LBB6_8603:                             ;   in Loop: Header=BB6_6801 Depth=2
	s_or_b32 exec_lo, exec_lo, s40
.LBB6_8604:                             ;   in Loop: Header=BB6_6801 Depth=2
	s_delay_alu instid0(SALU_CYCLE_1)
	s_or_b32 exec_lo, exec_lo, s29
.LBB6_8605:                             ;   in Loop: Header=BB6_6801 Depth=2
	s_delay_alu instid0(SALU_CYCLE_1) | instskip(NEXT) | instid1(VALU_DEP_1)
	s_or_b32 exec_lo, exec_lo, s7
	v_dual_add_f32 v5, v6, v5 :: v_dual_mov_b32 v7, v53
                                        ; implicit-def: $vgpr94
	s_mov_b32 s7, exec_lo
	s_delay_alu instid0(VALU_DEP_1) | instskip(SKIP_1) | instid1(VALU_DEP_2)
	v_and_b32_e32 v6, 0x7f800000, v5
	v_lshrrev_b32_e32 v4, 24, v5
	v_cmpx_ne_u64_e32 0x7f800000, v[6:7]
	s_xor_b32 s29, exec_lo, s7
	s_cbranch_execz .LBB6_8619
; %bb.8606:                             ;   in Loop: Header=BB6_6801 Depth=2
	v_and_b32_e32 v6, 0x7fffffff, v5
	v_mov_b32_e32 v7, v53
	v_and_b32_e32 v4, 0x80, v4
                                        ; implicit-def: $vgpr94
	s_mov_b32 s7, exec_lo
	s_delay_alu instid0(VALU_DEP_2)
	v_cmpx_gt_u64_e32 0x43e00001, v[6:7]
	s_xor_b32 s40, exec_lo, s7
	s_cbranch_execz .LBB6_8616
; %bb.8607:                             ;   in Loop: Header=BB6_6801 Depth=2
	v_mov_b32_e32 v94, 0
	s_mov_b32 s41, exec_lo
	v_cmpx_ne_u32_e32 0, v5
	s_cbranch_execz .LBB6_8615
; %bb.8608:                             ;   in Loop: Header=BB6_6801 Depth=2
	v_and_b32_e32 v7, 0x7fffff, v5
	v_bfe_u32 v5, v5, 23, 8
	v_mov_b32_e32 v9, v53
	s_delay_alu instid0(VALU_DEP_3) | instskip(NEXT) | instid1(VALU_DEP_3)
	v_or_b32_e32 v8, 0x800000, v7
	v_cmp_gt_u32_e64 s7, 0x7a, v5
	v_sub_nc_u32_e32 v6, 0x79, v5
	v_cmp_eq_u32_e32 vcc_lo, 0, v5
	s_delay_alu instid0(VALU_DEP_2) | instskip(NEXT) | instid1(VALU_DEP_1)
	v_dual_cndmask_b32 v6, 0, v6, s7 :: v_dual_cndmask_b32 v8, v8, v7, vcc_lo
	v_cndmask_b32_e64 v6, v6, 0x78, vcc_lo
	s_delay_alu instid0(VALU_DEP_1) | instskip(NEXT) | instid1(VALU_DEP_1)
	v_add_nc_u32_e32 v7, 20, v6
	v_lshlrev_b64_e64 v[22:23], v7, -1
	v_add_nc_u32_e32 v7, 19, v6
	s_delay_alu instid0(VALU_DEP_1) | instskip(NEXT) | instid1(VALU_DEP_3)
	v_lshlrev_b64_e64 v[38:39], v7, 1
	v_bfi_b32 v23, v23, 0, 0
	s_delay_alu instid0(VALU_DEP_4) | instskip(NEXT) | instid1(VALU_DEP_1)
	v_bfi_b32 v22, v22, 0, v8
	v_cmp_eq_u64_e64 s7, v[22:23], v[38:39]
	v_lshrrev_b64 v[22:23], v6, v[8:9]
	s_delay_alu instid0(VALU_DEP_1)
	v_mov_b64_e32 v[112:113], v[22:23]
	s_and_saveexec_b32 s42, s7
; %bb.8609:                             ;   in Loop: Header=BB6_6801 Depth=2
	v_bfe_u32 v8, v22, 20, 1
	v_mov_b32_e32 v9, v53
	s_delay_alu instid0(VALU_DEP_1) | instskip(NEXT) | instid1(VALU_DEP_1)
	v_add_nc_u64_e32 v[8:9], v[22:23], v[8:9]
	v_add_nc_u64_e32 v[112:113], -1, v[8:9]
; %bb.8610:                             ;   in Loop: Header=BB6_6801 Depth=2
	s_or_b32 exec_lo, exec_lo, s42
	v_add_nc_u32_e32 v5, 0xffffff81, v5
	v_lshrrev_b32_e32 v7, 23, v22
	s_mov_b32 s7, exec_lo
	v_mov_b32_e32 v23, v53
	s_delay_alu instid0(VALU_DEP_3) | instskip(NEXT) | instid1(VALU_DEP_1)
	v_cndmask_b32_e64 v5, v5, 0xffffff82, vcc_lo
	v_add3_u32 v7, v6, v5, v7
	v_and_b32_e32 v5, 0xfffff, v112
	s_delay_alu instid0(VALU_DEP_1) | instskip(NEXT) | instid1(VALU_DEP_1)
	v_dual_add_nc_u32 v6, 6, v7 :: v_dual_add_nc_u32 v22, v5, v22
                                        ; implicit-def: $vgpr5
	v_cmpx_ne_u32_e32 0, v6
	s_xor_b32 s7, exec_lo, s7
; %bb.8611:                             ;   in Loop: Header=BB6_6801 Depth=2
	s_delay_alu instid0(VALU_DEP_2) | instskip(SKIP_1) | instid1(VALU_DEP_1)
	v_cmp_lt_u64_e32 vcc_lo, 0xffffff, v[22:23]
	v_add_nc_u32_e32 v5, 7, v7
	v_cndmask_b32_e32 v5, v6, v5, vcc_lo
	v_cndmask_b32_e64 v6, 0, 1, vcc_lo
	s_delay_alu instid0(VALU_DEP_1)
	v_lshrrev_b64 v[22:23], v6, v[22:23]
; %bb.8612:                             ;   in Loop: Header=BB6_6801 Depth=2
	s_and_not1_saveexec_b32 s7, s7
; %bb.8613:                             ;   in Loop: Header=BB6_6801 Depth=2
	s_delay_alu instid0(VALU_DEP_1)
	v_bfe_u32 v5, v22, 23, 1
; %bb.8614:                             ;   in Loop: Header=BB6_6801 Depth=2
	s_or_b32 exec_lo, exec_lo, s7
	s_delay_alu instid0(VALU_DEP_2) | instskip(NEXT) | instid1(VALU_DEP_2)
	v_lshrrev_b64 v[6:7], 20, v[22:23]
	v_cmp_gt_i32_e32 vcc_lo, 16, v5
	v_min_i32_e32 v8, 15, v5
	v_cmp_eq_u32_e64 s7, 0, v5
	s_delay_alu instid0(VALU_DEP_2) | instskip(SKIP_1) | instid1(VALU_DEP_2)
	v_dual_cndmask_b32 v7, 0, v7 :: v_dual_lshlrev_b32 v8, 3, v8
	v_cndmask_b32_e32 v6, 7, v6, vcc_lo
	v_and_b32_e32 v8, 0xf8, v8
	s_delay_alu instid0(VALU_DEP_2) | instskip(NEXT) | instid1(VALU_DEP_2)
	v_cmp_eq_u64_e32 vcc_lo, 0, v[6:7]
	v_and_or_b32 v5, v6, 7, v8
	s_and_b32 s7, s7, vcc_lo
	s_delay_alu instid0(VALU_DEP_1) | instid1(SALU_CYCLE_1)
	v_cndmask_b32_e64 v5, v5, 0, s7
	s_delay_alu instid0(VALU_DEP_1)
	v_or_b32_e32 v94, v5, v4
.LBB6_8615:                             ;   in Loop: Header=BB6_6801 Depth=2
	s_or_b32 exec_lo, exec_lo, s41
                                        ; implicit-def: $vgpr4
.LBB6_8616:                             ;   in Loop: Header=BB6_6801 Depth=2
	s_and_not1_saveexec_b32 s7, s40
; %bb.8617:                             ;   in Loop: Header=BB6_6801 Depth=2
	v_or_b32_e32 v94, 0x7e, v4
; %bb.8618:                             ;   in Loop: Header=BB6_6801 Depth=2
	s_or_b32 exec_lo, exec_lo, s7
                                        ; implicit-def: $vgpr4
.LBB6_8619:                             ;   in Loop: Header=BB6_6801 Depth=2
	s_and_not1_saveexec_b32 s7, s29
; %bb.8620:                             ;   in Loop: Header=BB6_6801 Depth=2
	v_or_b32_e32 v94, 0x7f, v4
; %bb.8621:                             ;   in Loop: Header=BB6_6801 Depth=2
	s_or_b32 exec_lo, exec_lo, s7
	v_dual_lshrrev_b32 v6, 16, v52 :: v_dual_mov_b32 v4, 0
	v_mov_b32_e32 v5, 0
	s_mov_b32 s7, exec_lo
	s_delay_alu instid0(VALU_DEP_2) | instskip(NEXT) | instid1(VALU_DEP_1)
	v_and_b32_e32 v7, 0xff, v6
	v_cmpx_ne_u16_e32 0, v7
	s_cbranch_execz .LBB6_8629
; %bb.8622:                             ;   in Loop: Header=BB6_6801 Depth=2
	v_bfrev_b32_e32 v5, 1
	s_mov_b32 s29, exec_lo
	v_cmpx_ne_u16_e32 0x80, v7
	s_cbranch_execz .LBB6_8628
; %bb.8623:                             ;   in Loop: Header=BB6_6801 Depth=2
	v_bfe_u32 v7, v52, 16, 7
	v_mov_b32_e32 v5, 0x7f800001
	s_mov_b32 s40, exec_lo
	s_delay_alu instid0(VALU_DEP_2)
	v_cmpx_ne_u32_e32 0x7f, v7
	s_cbranch_execz .LBB6_8627
; %bb.8624:                             ;   in Loop: Header=BB6_6801 Depth=2
	v_dual_mov_b32 v23, v53 :: v_dual_bitop2_b32 v22, 7, v6 bitop3:0x40
	v_lshrrev_b32_e32 v5, 3, v7
	s_mov_b32 s41, exec_lo
	v_cmpx_gt_u32_e32 8, v7
; %bb.8625:                             ;   in Loop: Header=BB6_6801 Depth=2
	s_delay_alu instid0(VALU_DEP_3) | instskip(NEXT) | instid1(VALU_DEP_1)
	v_clz_i32_u32_e32 v5, v22
	v_min_u32_e32 v5, 32, v5
	s_delay_alu instid0(VALU_DEP_1) | instskip(NEXT) | instid1(VALU_DEP_1)
	v_subrev_nc_u32_e32 v7, 28, v5
	v_lshlrev_b64_e32 v[8:9], v7, v[22:23]
	s_delay_alu instid0(VALU_DEP_1)
	v_dual_sub_nc_u32 v5, 29, v5 :: v_dual_bitop2_b32 v22, 7, v8 bitop3:0x40
; %bb.8626:                             ;   in Loop: Header=BB6_6801 Depth=2
	s_or_b32 exec_lo, exec_lo, s41
	v_lshlrev_b32_e32 v6, 24, v6
	s_delay_alu instid0(VALU_DEP_2) | instskip(NEXT) | instid1(VALU_DEP_3)
	v_lshlrev_b32_e32 v7, 20, v22
	v_lshl_add_u32 v5, v5, 23, 0x3c000000
	s_delay_alu instid0(VALU_DEP_3) | instskip(NEXT) | instid1(VALU_DEP_1)
	v_and_b32_e32 v6, 0x80000000, v6
	v_or3_b32 v5, v7, v6, v5
.LBB6_8627:                             ;   in Loop: Header=BB6_6801 Depth=2
	s_or_b32 exec_lo, exec_lo, s40
.LBB6_8628:                             ;   in Loop: Header=BB6_6801 Depth=2
	s_delay_alu instid0(SALU_CYCLE_1)
	s_or_b32 exec_lo, exec_lo, s29
.LBB6_8629:                             ;   in Loop: Header=BB6_6801 Depth=2
	s_delay_alu instid0(SALU_CYCLE_1) | instskip(SKIP_2) | instid1(VALU_DEP_1)
	s_or_b32 exec_lo, exec_lo, s7
	v_lshrrev_b32_e32 v6, 16, v24
	s_mov_b32 s7, exec_lo
	v_and_b32_e32 v7, 0xff, v6
	s_delay_alu instid0(VALU_DEP_1)
	v_cmpx_ne_u16_e32 0, v7
	s_cbranch_execz .LBB6_8637
; %bb.8630:                             ;   in Loop: Header=BB6_6801 Depth=2
	v_bfrev_b32_e32 v4, 1
	s_mov_b32 s29, exec_lo
	v_cmpx_ne_u16_e32 0x80, v7
	s_cbranch_execz .LBB6_8636
; %bb.8631:                             ;   in Loop: Header=BB6_6801 Depth=2
	v_bfe_u32 v7, v24, 16, 7
	v_mov_b32_e32 v4, 0x7f800001
	s_mov_b32 s40, exec_lo
	s_delay_alu instid0(VALU_DEP_2)
	v_cmpx_ne_u32_e32 0x7f, v7
	s_cbranch_execz .LBB6_8635
; %bb.8632:                             ;   in Loop: Header=BB6_6801 Depth=2
	v_dual_mov_b32 v23, v53 :: v_dual_bitop2_b32 v22, 7, v6 bitop3:0x40
	v_lshrrev_b32_e32 v4, 3, v7
	s_mov_b32 s41, exec_lo
	v_cmpx_gt_u32_e32 8, v7
; %bb.8633:                             ;   in Loop: Header=BB6_6801 Depth=2
	s_delay_alu instid0(VALU_DEP_3) | instskip(NEXT) | instid1(VALU_DEP_1)
	v_clz_i32_u32_e32 v4, v22
	v_min_u32_e32 v4, 32, v4
	s_delay_alu instid0(VALU_DEP_1) | instskip(NEXT) | instid1(VALU_DEP_1)
	v_subrev_nc_u32_e32 v6, 28, v4
	v_lshlrev_b64_e32 v[6:7], v6, v[22:23]
	s_delay_alu instid0(VALU_DEP_1)
	v_dual_sub_nc_u32 v4, 29, v4 :: v_dual_bitop2_b32 v22, 7, v6 bitop3:0x40
; %bb.8634:                             ;   in Loop: Header=BB6_6801 Depth=2
	s_or_b32 exec_lo, exec_lo, s41
	s_delay_alu instid0(VALU_DEP_1) | instskip(NEXT) | instid1(VALU_DEP_2)
	v_dual_lshlrev_b32 v6, 8, v24 :: v_dual_lshlrev_b32 v7, 20, v22
	v_lshl_add_u32 v4, v4, 23, 0x3c000000
	s_delay_alu instid0(VALU_DEP_2) | instskip(NEXT) | instid1(VALU_DEP_1)
	v_and_b32_e32 v6, 0x80000000, v6
	v_or3_b32 v4, v7, v6, v4
.LBB6_8635:                             ;   in Loop: Header=BB6_6801 Depth=2
	s_or_b32 exec_lo, exec_lo, s40
.LBB6_8636:                             ;   in Loop: Header=BB6_6801 Depth=2
	s_delay_alu instid0(SALU_CYCLE_1)
	s_or_b32 exec_lo, exec_lo, s29
.LBB6_8637:                             ;   in Loop: Header=BB6_6801 Depth=2
	s_delay_alu instid0(SALU_CYCLE_1) | instskip(NEXT) | instid1(VALU_DEP_1)
	s_or_b32 exec_lo, exec_lo, s7
	v_add_f32_e32 v5, v5, v4
	v_mov_b32_e32 v7, v53
                                        ; implicit-def: $vgpr105
	s_mov_b32 s7, exec_lo
	s_delay_alu instid0(VALU_DEP_2) | instskip(SKIP_1) | instid1(VALU_DEP_2)
	v_and_b32_e32 v6, 0x7f800000, v5
	v_lshrrev_b32_e32 v4, 24, v5
	v_cmpx_ne_u64_e32 0x7f800000, v[6:7]
	s_xor_b32 s29, exec_lo, s7
	s_cbranch_execz .LBB6_8651
; %bb.8638:                             ;   in Loop: Header=BB6_6801 Depth=2
	v_and_b32_e32 v6, 0x7fffffff, v5
	v_mov_b32_e32 v7, v53
	v_and_b32_e32 v4, 0x80, v4
                                        ; implicit-def: $vgpr105
	s_mov_b32 s7, exec_lo
	s_delay_alu instid0(VALU_DEP_2)
	v_cmpx_gt_u64_e32 0x43e00001, v[6:7]
	s_xor_b32 s40, exec_lo, s7
	s_cbranch_execz .LBB6_8648
; %bb.8639:                             ;   in Loop: Header=BB6_6801 Depth=2
	v_mov_b32_e32 v105, 0
	s_mov_b32 s41, exec_lo
	v_cmpx_ne_u32_e32 0, v5
	s_cbranch_execz .LBB6_8647
; %bb.8640:                             ;   in Loop: Header=BB6_6801 Depth=2
	v_and_b32_e32 v7, 0x7fffff, v5
	v_bfe_u32 v5, v5, 23, 8
	v_mov_b32_e32 v9, v53
	s_delay_alu instid0(VALU_DEP_3) | instskip(NEXT) | instid1(VALU_DEP_3)
	v_or_b32_e32 v8, 0x800000, v7
	v_cmp_gt_u32_e64 s7, 0x7a, v5
	v_sub_nc_u32_e32 v6, 0x79, v5
	v_cmp_eq_u32_e32 vcc_lo, 0, v5
	s_delay_alu instid0(VALU_DEP_2) | instskip(NEXT) | instid1(VALU_DEP_1)
	v_dual_cndmask_b32 v6, 0, v6, s7 :: v_dual_cndmask_b32 v8, v8, v7, vcc_lo
	v_cndmask_b32_e64 v6, v6, 0x78, vcc_lo
	s_delay_alu instid0(VALU_DEP_1) | instskip(NEXT) | instid1(VALU_DEP_1)
	v_add_nc_u32_e32 v7, 20, v6
	v_lshlrev_b64_e64 v[22:23], v7, -1
	v_add_nc_u32_e32 v7, 19, v6
	s_delay_alu instid0(VALU_DEP_1) | instskip(NEXT) | instid1(VALU_DEP_3)
	v_lshlrev_b64_e64 v[38:39], v7, 1
	v_bfi_b32 v23, v23, 0, 0
	s_delay_alu instid0(VALU_DEP_4) | instskip(NEXT) | instid1(VALU_DEP_1)
	v_bfi_b32 v22, v22, 0, v8
	v_cmp_eq_u64_e64 s7, v[22:23], v[38:39]
	v_lshrrev_b64 v[22:23], v6, v[8:9]
	s_delay_alu instid0(VALU_DEP_1)
	v_mov_b64_e32 v[112:113], v[22:23]
	s_and_saveexec_b32 s42, s7
; %bb.8641:                             ;   in Loop: Header=BB6_6801 Depth=2
	v_bfe_u32 v8, v22, 20, 1
	v_mov_b32_e32 v9, v53
	s_delay_alu instid0(VALU_DEP_1) | instskip(NEXT) | instid1(VALU_DEP_1)
	v_add_nc_u64_e32 v[8:9], v[22:23], v[8:9]
	v_add_nc_u64_e32 v[112:113], -1, v[8:9]
; %bb.8642:                             ;   in Loop: Header=BB6_6801 Depth=2
	s_or_b32 exec_lo, exec_lo, s42
	v_add_nc_u32_e32 v5, 0xffffff81, v5
	v_lshrrev_b32_e32 v7, 23, v22
	s_mov_b32 s7, exec_lo
	v_mov_b32_e32 v23, v53
	s_delay_alu instid0(VALU_DEP_3) | instskip(NEXT) | instid1(VALU_DEP_1)
	v_cndmask_b32_e64 v5, v5, 0xffffff82, vcc_lo
	v_add3_u32 v7, v6, v5, v7
	v_and_b32_e32 v5, 0xfffff, v112
	s_delay_alu instid0(VALU_DEP_1) | instskip(NEXT) | instid1(VALU_DEP_1)
	v_dual_add_nc_u32 v6, 6, v7 :: v_dual_add_nc_u32 v22, v5, v22
                                        ; implicit-def: $vgpr5
	v_cmpx_ne_u32_e32 0, v6
	s_xor_b32 s7, exec_lo, s7
; %bb.8643:                             ;   in Loop: Header=BB6_6801 Depth=2
	s_delay_alu instid0(VALU_DEP_2) | instskip(SKIP_1) | instid1(VALU_DEP_1)
	v_cmp_lt_u64_e32 vcc_lo, 0xffffff, v[22:23]
	v_add_nc_u32_e32 v5, 7, v7
	v_cndmask_b32_e32 v5, v6, v5, vcc_lo
	v_cndmask_b32_e64 v6, 0, 1, vcc_lo
	s_delay_alu instid0(VALU_DEP_1)
	v_lshrrev_b64 v[22:23], v6, v[22:23]
; %bb.8644:                             ;   in Loop: Header=BB6_6801 Depth=2
	s_and_not1_saveexec_b32 s7, s7
; %bb.8645:                             ;   in Loop: Header=BB6_6801 Depth=2
	s_delay_alu instid0(VALU_DEP_1)
	v_bfe_u32 v5, v22, 23, 1
; %bb.8646:                             ;   in Loop: Header=BB6_6801 Depth=2
	s_or_b32 exec_lo, exec_lo, s7
	s_delay_alu instid0(VALU_DEP_2) | instskip(NEXT) | instid1(VALU_DEP_2)
	v_lshrrev_b64 v[6:7], 20, v[22:23]
	v_cmp_gt_i32_e32 vcc_lo, 16, v5
	v_min_i32_e32 v8, 15, v5
	v_cmp_eq_u32_e64 s7, 0, v5
	s_delay_alu instid0(VALU_DEP_2) | instskip(SKIP_1) | instid1(VALU_DEP_2)
	v_dual_cndmask_b32 v7, 0, v7 :: v_dual_lshlrev_b32 v8, 3, v8
	v_cndmask_b32_e32 v6, 7, v6, vcc_lo
	v_and_b32_e32 v8, 0xf8, v8
	s_delay_alu instid0(VALU_DEP_2) | instskip(NEXT) | instid1(VALU_DEP_2)
	v_cmp_eq_u64_e32 vcc_lo, 0, v[6:7]
	v_and_or_b32 v5, v6, 7, v8
	s_and_b32 s7, s7, vcc_lo
	s_delay_alu instid0(VALU_DEP_1) | instid1(SALU_CYCLE_1)
	v_cndmask_b32_e64 v5, v5, 0, s7
	s_delay_alu instid0(VALU_DEP_1)
	v_or_b32_e32 v105, v5, v4
.LBB6_8647:                             ;   in Loop: Header=BB6_6801 Depth=2
	s_or_b32 exec_lo, exec_lo, s41
                                        ; implicit-def: $vgpr4
.LBB6_8648:                             ;   in Loop: Header=BB6_6801 Depth=2
	s_and_not1_saveexec_b32 s7, s40
; %bb.8649:                             ;   in Loop: Header=BB6_6801 Depth=2
	v_or_b32_e32 v105, 0x7e, v4
; %bb.8650:                             ;   in Loop: Header=BB6_6801 Depth=2
	s_or_b32 exec_lo, exec_lo, s7
                                        ; implicit-def: $vgpr4
.LBB6_8651:                             ;   in Loop: Header=BB6_6801 Depth=2
	s_and_not1_saveexec_b32 s7, s29
; %bb.8652:                             ;   in Loop: Header=BB6_6801 Depth=2
	v_or_b32_e32 v105, 0x7f, v4
; %bb.8653:                             ;   in Loop: Header=BB6_6801 Depth=2
	s_or_b32 exec_lo, exec_lo, s7
	v_dual_mov_b32 v4, 0 :: v_dual_mov_b32 v5, 0
	s_mov_b32 s7, exec_lo
	v_cmpx_lt_u32_e32 0xffffff, v52
	s_cbranch_execz .LBB6_8661
; %bb.8654:                             ;   in Loop: Header=BB6_6801 Depth=2
	v_lshrrev_b32_e32 v6, 24, v52
	v_bfrev_b32_e32 v5, 1
	s_mov_b32 s29, exec_lo
	s_delay_alu instid0(VALU_DEP_2)
	v_cmpx_ne_u32_e32 0x80, v6
	s_cbranch_execz .LBB6_8660
; %bb.8655:                             ;   in Loop: Header=BB6_6801 Depth=2
	v_bfe_u32 v7, v52, 24, 7
	v_mov_b32_e32 v5, 0x7f800001
	s_mov_b32 s40, exec_lo
	s_delay_alu instid0(VALU_DEP_2)
	v_cmpx_ne_u32_e32 0x7f, v7
	s_cbranch_execz .LBB6_8659
; %bb.8656:                             ;   in Loop: Header=BB6_6801 Depth=2
	v_dual_lshrrev_b32 v5, 3, v7 :: v_dual_bitop2_b32 v52, 7, v6 bitop3:0x40
	s_mov_b32 s41, exec_lo
	s_delay_alu instid0(VALU_DEP_1)
	v_mov_b64_e32 v[22:23], v[52:53]
	v_cmpx_gt_u32_e32 8, v7
; %bb.8657:                             ;   in Loop: Header=BB6_6801 Depth=2
	v_clz_i32_u32_e32 v5, v52
	s_delay_alu instid0(VALU_DEP_1) | instskip(NEXT) | instid1(VALU_DEP_1)
	v_min_u32_e32 v5, 32, v5
	v_subrev_nc_u32_e32 v7, 28, v5
	s_delay_alu instid0(VALU_DEP_1) | instskip(NEXT) | instid1(VALU_DEP_1)
	v_lshlrev_b64_e32 v[8:9], v7, v[52:53]
	v_dual_sub_nc_u32 v5, 29, v5 :: v_dual_bitop2_b32 v22, 7, v8 bitop3:0x40
; %bb.8658:                             ;   in Loop: Header=BB6_6801 Depth=2
	s_or_b32 exec_lo, exec_lo, s41
	v_lshlrev_b32_e32 v6, 24, v6
	s_delay_alu instid0(VALU_DEP_2) | instskip(NEXT) | instid1(VALU_DEP_3)
	v_lshlrev_b32_e32 v7, 20, v22
	v_lshl_add_u32 v5, v5, 23, 0x3c000000
	s_delay_alu instid0(VALU_DEP_3) | instskip(NEXT) | instid1(VALU_DEP_1)
	v_and_b32_e32 v6, 0x80000000, v6
	v_or3_b32 v5, v7, v6, v5
.LBB6_8659:                             ;   in Loop: Header=BB6_6801 Depth=2
	s_or_b32 exec_lo, exec_lo, s40
.LBB6_8660:                             ;   in Loop: Header=BB6_6801 Depth=2
	s_delay_alu instid0(SALU_CYCLE_1)
	s_or_b32 exec_lo, exec_lo, s29
.LBB6_8661:                             ;   in Loop: Header=BB6_6801 Depth=2
	s_delay_alu instid0(SALU_CYCLE_1) | instskip(NEXT) | instid1(SALU_CYCLE_1)
	s_or_b32 exec_lo, exec_lo, s7
	s_mov_b32 s7, exec_lo
	v_cmpx_lt_u32_e32 0xffffff, v24
	s_cbranch_execz .LBB6_8669
; %bb.8662:                             ;   in Loop: Header=BB6_6801 Depth=2
	v_lshrrev_b32_e32 v6, 24, v24
	v_bfrev_b32_e32 v4, 1
	s_mov_b32 s29, exec_lo
	s_delay_alu instid0(VALU_DEP_2)
	v_cmpx_ne_u32_e32 0x80, v6
	s_cbranch_execz .LBB6_8668
; %bb.8663:                             ;   in Loop: Header=BB6_6801 Depth=2
	v_bfe_u32 v7, v24, 24, 7
	v_mov_b32_e32 v4, 0x7f800001
	s_mov_b32 s40, exec_lo
	s_delay_alu instid0(VALU_DEP_2)
	v_cmpx_ne_u32_e32 0x7f, v7
	s_cbranch_execz .LBB6_8667
; %bb.8664:                             ;   in Loop: Header=BB6_6801 Depth=2
	v_dual_lshrrev_b32 v4, 3, v7 :: v_dual_bitop2_b32 v52, 7, v6 bitop3:0x40
	s_mov_b32 s41, exec_lo
	s_delay_alu instid0(VALU_DEP_1)
	v_mov_b64_e32 v[22:23], v[52:53]
	v_cmpx_gt_u32_e32 8, v7
; %bb.8665:                             ;   in Loop: Header=BB6_6801 Depth=2
	v_clz_i32_u32_e32 v4, v52
	s_delay_alu instid0(VALU_DEP_1) | instskip(NEXT) | instid1(VALU_DEP_1)
	v_min_u32_e32 v4, 32, v4
	v_subrev_nc_u32_e32 v7, 28, v4
	v_sub_nc_u32_e32 v4, 29, v4
	s_delay_alu instid0(VALU_DEP_2) | instskip(NEXT) | instid1(VALU_DEP_1)
	v_lshlrev_b64_e32 v[8:9], v7, v[52:53]
	v_and_b32_e32 v22, 7, v8
; %bb.8666:                             ;   in Loop: Header=BB6_6801 Depth=2
	s_or_b32 exec_lo, exec_lo, s41
	v_lshlrev_b32_e32 v6, 24, v6
	s_delay_alu instid0(VALU_DEP_2) | instskip(SKIP_1) | instid1(VALU_DEP_3)
	v_lshlrev_b32_e32 v7, 20, v22
	v_lshl_add_u32 v4, v4, 23, 0x3c000000
	v_and_b32_e32 v6, 0x80000000, v6
	s_delay_alu instid0(VALU_DEP_1)
	v_or3_b32 v4, v7, v6, v4
.LBB6_8667:                             ;   in Loop: Header=BB6_6801 Depth=2
	s_or_b32 exec_lo, exec_lo, s40
.LBB6_8668:                             ;   in Loop: Header=BB6_6801 Depth=2
	s_delay_alu instid0(SALU_CYCLE_1)
	s_or_b32 exec_lo, exec_lo, s29
.LBB6_8669:                             ;   in Loop: Header=BB6_6801 Depth=2
	s_delay_alu instid0(SALU_CYCLE_1) | instskip(NEXT) | instid1(VALU_DEP_1)
	s_or_b32 exec_lo, exec_lo, s7
	v_add_f32_e32 v5, v5, v4
                                        ; implicit-def: $vgpr110
	s_mov_b32 s7, exec_lo
	s_delay_alu instid0(VALU_DEP_1) | instskip(SKIP_1) | instid1(VALU_DEP_2)
	v_and_b32_e32 v52, 0x7f800000, v5
	v_lshrrev_b32_e32 v4, 24, v5
	v_cmpx_ne_u64_e32 0x7f800000, v[52:53]
	s_xor_b32 s29, exec_lo, s7
	s_cbranch_execz .LBB6_8683
; %bb.8670:                             ;   in Loop: Header=BB6_6801 Depth=2
	v_and_b32_e32 v52, 0x7fffffff, v5
	v_and_b32_e32 v4, 0x80, v4
                                        ; implicit-def: $vgpr110
	s_mov_b32 s7, exec_lo
	s_delay_alu instid0(VALU_DEP_2)
	v_cmpx_gt_u64_e32 0x43e00001, v[52:53]
	s_xor_b32 s40, exec_lo, s7
	s_cbranch_execz .LBB6_8680
; %bb.8671:                             ;   in Loop: Header=BB6_6801 Depth=2
	v_mov_b32_e32 v110, 0
	s_mov_b32 s41, exec_lo
	v_cmpx_ne_u32_e32 0, v5
	s_cbranch_execz .LBB6_8679
; %bb.8672:                             ;   in Loop: Header=BB6_6801 Depth=2
	v_and_b32_e32 v7, 0x7fffff, v5
	v_bfe_u32 v5, v5, 23, 8
	s_delay_alu instid0(VALU_DEP_2) | instskip(NEXT) | instid1(VALU_DEP_2)
	v_or_b32_e32 v8, 0x800000, v7
	v_cmp_gt_u32_e64 s7, 0x7a, v5
	v_sub_nc_u32_e32 v6, 0x79, v5
	v_cmp_eq_u32_e32 vcc_lo, 0, v5
	s_delay_alu instid0(VALU_DEP_2) | instskip(NEXT) | instid1(VALU_DEP_1)
	v_dual_cndmask_b32 v6, 0, v6, s7 :: v_dual_cndmask_b32 v52, v8, v7, vcc_lo
	v_cndmask_b32_e64 v6, v6, 0x78, vcc_lo
	s_delay_alu instid0(VALU_DEP_1) | instskip(NEXT) | instid1(VALU_DEP_1)
	v_add_nc_u32_e32 v7, 20, v6
	v_lshlrev_b64_e64 v[8:9], v7, -1
	v_add_nc_u32_e32 v7, 19, v6
	s_delay_alu instid0(VALU_DEP_1) | instskip(NEXT) | instid1(VALU_DEP_3)
	v_lshlrev_b64_e64 v[22:23], v7, 1
	v_bfi_b32 v9, v9, 0, 0
	s_delay_alu instid0(VALU_DEP_4) | instskip(NEXT) | instid1(VALU_DEP_1)
	v_bfi_b32 v8, v8, 0, v52
	v_cmp_eq_u64_e64 s7, v[8:9], v[22:23]
	v_lshrrev_b64 v[22:23], v6, v[52:53]
	s_delay_alu instid0(VALU_DEP_1)
	v_mov_b64_e32 v[112:113], v[22:23]
	s_and_saveexec_b32 s42, s7
; %bb.8673:                             ;   in Loop: Header=BB6_6801 Depth=2
	v_bfe_u32 v52, v22, 20, 1
	s_delay_alu instid0(VALU_DEP_1) | instskip(NEXT) | instid1(VALU_DEP_1)
	v_add_nc_u64_e32 v[8:9], v[22:23], v[52:53]
	v_add_nc_u64_e32 v[112:113], -1, v[8:9]
; %bb.8674:                             ;   in Loop: Header=BB6_6801 Depth=2
	s_or_b32 exec_lo, exec_lo, s42
	v_add_nc_u32_e32 v5, 0xffffff81, v5
	v_lshrrev_b32_e32 v7, 23, v22
	s_mov_b32 s7, exec_lo
	s_delay_alu instid0(VALU_DEP_2) | instskip(NEXT) | instid1(VALU_DEP_1)
	v_cndmask_b32_e64 v5, v5, 0xffffff82, vcc_lo
	v_add3_u32 v7, v6, v5, v7
	v_and_b32_e32 v5, 0xfffff, v112
	s_delay_alu instid0(VALU_DEP_1) | instskip(NEXT) | instid1(VALU_DEP_1)
	v_dual_add_nc_u32 v6, 6, v7 :: v_dual_add_nc_u32 v52, v5, v22
                                        ; implicit-def: $vgpr22_vgpr23
                                        ; implicit-def: $vgpr5
	v_cmpx_ne_u32_e32 0, v6
	s_xor_b32 s7, exec_lo, s7
; %bb.8675:                             ;   in Loop: Header=BB6_6801 Depth=2
	s_delay_alu instid0(VALU_DEP_2) | instskip(SKIP_1) | instid1(VALU_DEP_1)
	v_cmp_lt_u64_e32 vcc_lo, 0xffffff, v[52:53]
	v_add_nc_u32_e32 v5, 7, v7
	v_cndmask_b32_e32 v5, v6, v5, vcc_lo
	v_cndmask_b32_e64 v6, 0, 1, vcc_lo
	s_delay_alu instid0(VALU_DEP_1)
	v_lshrrev_b64 v[22:23], v6, v[52:53]
; %bb.8676:                             ;   in Loop: Header=BB6_6801 Depth=2
	s_and_not1_saveexec_b32 s7, s7
; %bb.8677:                             ;   in Loop: Header=BB6_6801 Depth=2
	v_mov_b64_e32 v[22:23], v[52:53]
	v_bfe_u32 v5, v52, 23, 1
; %bb.8678:                             ;   in Loop: Header=BB6_6801 Depth=2
	s_or_b32 exec_lo, exec_lo, s7
	s_delay_alu instid0(VALU_DEP_2) | instskip(NEXT) | instid1(VALU_DEP_2)
	v_lshrrev_b64 v[6:7], 20, v[22:23]
	v_cmp_gt_i32_e32 vcc_lo, 16, v5
	v_min_i32_e32 v8, 15, v5
	v_cmp_eq_u32_e64 s7, 0, v5
	s_delay_alu instid0(VALU_DEP_2) | instskip(SKIP_1) | instid1(VALU_DEP_2)
	v_dual_cndmask_b32 v7, 0, v7 :: v_dual_lshlrev_b32 v8, 3, v8
	v_cndmask_b32_e32 v6, 7, v6, vcc_lo
	v_and_b32_e32 v8, 0xf8, v8
	s_delay_alu instid0(VALU_DEP_2) | instskip(NEXT) | instid1(VALU_DEP_2)
	v_cmp_eq_u64_e32 vcc_lo, 0, v[6:7]
	v_and_or_b32 v5, v6, 7, v8
	s_and_b32 s7, s7, vcc_lo
	s_delay_alu instid0(VALU_DEP_1) | instid1(SALU_CYCLE_1)
	v_cndmask_b32_e64 v5, v5, 0, s7
	s_delay_alu instid0(VALU_DEP_1)
	v_or_b32_e32 v110, v5, v4
.LBB6_8679:                             ;   in Loop: Header=BB6_6801 Depth=2
	s_or_b32 exec_lo, exec_lo, s41
                                        ; implicit-def: $vgpr4
.LBB6_8680:                             ;   in Loop: Header=BB6_6801 Depth=2
	s_and_not1_saveexec_b32 s7, s40
; %bb.8681:                             ;   in Loop: Header=BB6_6801 Depth=2
	v_or_b32_e32 v110, 0x7e, v4
; %bb.8682:                             ;   in Loop: Header=BB6_6801 Depth=2
	s_or_b32 exec_lo, exec_lo, s7
                                        ; implicit-def: $vgpr4
.LBB6_8683:                             ;   in Loop: Header=BB6_6801 Depth=2
	s_and_not1_saveexec_b32 s7, s29
; %bb.8684:                             ;   in Loop: Header=BB6_6801 Depth=2
	v_or_b32_e32 v110, 0x7f, v4
; %bb.8685:                             ;   in Loop: Header=BB6_6801 Depth=2
	s_or_b32 exec_lo, exec_lo, s7
	v_dual_lshlrev_b32 v4, 24, v64 :: v_dual_lshlrev_b32 v5, 16, v121
	v_lshl_or_b32 v0, v0, 8, v37
	s_mov_b32 s7, exec_lo
	s_delay_alu instid0(VALU_DEP_1)
	v_or3_b32 v52, v5, v4, v0
	v_dual_mov_b32 v4, 0 :: v_dual_mov_b32 v5, 0
	v_cmpx_ne_u32_e32 0, v37
	s_cbranch_execz .LBB6_8691
; %bb.8686:                             ;   in Loop: Header=BB6_6801 Depth=2
	v_bfrev_b32_e32 v5, 1
	s_mov_b32 s29, exec_lo
	v_cmpx_ne_u32_e32 0x80, v37
	s_cbranch_execz .LBB6_8690
; %bb.8687:                             ;   in Loop: Header=BB6_6801 Depth=2
	v_and_b32_e32 v6, 0x7f, v37
	v_mov_b32_e32 v5, 0x7f800001
	s_mov_b32 s40, exec_lo
	s_delay_alu instid0(VALU_DEP_2)
	v_cmpx_ne_u32_e32 0x7f, v6
	s_cbranch_execz .LBB6_8689
; %bb.8688:                             ;   in Loop: Header=BB6_6801 Depth=2
	v_dual_lshrrev_b32 v7, 3, v6 :: v_dual_bitop2_b32 v5, 7, v37 bitop3:0x40
	v_cmp_gt_u32_e32 vcc_lo, 8, v6
	s_delay_alu instid0(VALU_DEP_2) | instskip(NEXT) | instid1(VALU_DEP_1)
	v_clz_i32_u32_e32 v5, v5
	v_min_u32_e32 v5, 32, v5
	s_delay_alu instid0(VALU_DEP_1) | instskip(NEXT) | instid1(VALU_DEP_1)
	v_subrev_nc_u32_e32 v6, 28, v5
	v_dual_cndmask_b32 v6, 0, v6 :: v_dual_sub_nc_u32 v5, 29, v5
	s_delay_alu instid0(VALU_DEP_1) | instskip(NEXT) | instid1(VALU_DEP_2)
	v_cndmask_b32_e32 v5, v7, v5, vcc_lo
	v_lshlrev_b64_e32 v[6:7], v6, v[52:53]
	v_lshlrev_b32_e32 v7, 24, v52
	s_delay_alu instid0(VALU_DEP_1) | instskip(NEXT) | instid1(VALU_DEP_3)
	v_and_b32_e32 v7, 0x80000000, v7
	v_lshlrev_b32_e32 v6, 20, v6
	v_lshl_add_u32 v5, v5, 23, 0x3c000000
	s_delay_alu instid0(VALU_DEP_2) | instskip(NEXT) | instid1(VALU_DEP_1)
	v_and_b32_e32 v6, 0x700000, v6
	v_or3_b32 v5, v6, v7, v5
.LBB6_8689:                             ;   in Loop: Header=BB6_6801 Depth=2
	s_or_b32 exec_lo, exec_lo, s40
.LBB6_8690:                             ;   in Loop: Header=BB6_6801 Depth=2
	s_delay_alu instid0(SALU_CYCLE_1)
	s_or_b32 exec_lo, exec_lo, s29
.LBB6_8691:                             ;   in Loop: Header=BB6_6801 Depth=2
	s_delay_alu instid0(SALU_CYCLE_1) | instskip(SKIP_2) | instid1(VALU_DEP_1)
	s_or_b32 exec_lo, exec_lo, s7
	v_and_b32_e32 v6, 0xff, v25
	s_mov_b32 s7, exec_lo
	v_cmpx_ne_u16_e32 0, v6
	s_cbranch_execz .LBB6_8697
; %bb.8692:                             ;   in Loop: Header=BB6_6801 Depth=2
	v_bfrev_b32_e32 v4, 1
	s_mov_b32 s29, exec_lo
	v_cmpx_ne_u16_e32 0x80, v6
	s_cbranch_execz .LBB6_8696
; %bb.8693:                             ;   in Loop: Header=BB6_6801 Depth=2
	v_and_b32_e32 v6, 0x7f, v25
	v_mov_b32_e32 v4, 0x7f800001
	s_mov_b32 s40, exec_lo
	s_delay_alu instid0(VALU_DEP_2)
	v_cmpx_ne_u32_e32 0x7f, v6
	s_cbranch_execz .LBB6_8695
; %bb.8694:                             ;   in Loop: Header=BB6_6801 Depth=2
	v_dual_lshrrev_b32 v8, 3, v6 :: v_dual_bitop2_b32 v4, 7, v25 bitop3:0x40
	v_cmp_gt_u32_e32 vcc_lo, 8, v6
	v_mov_b32_e32 v6, v25
	s_delay_alu instid0(VALU_DEP_3) | instskip(NEXT) | instid1(VALU_DEP_1)
	v_clz_i32_u32_e32 v4, v4
	v_min_u32_e32 v4, 32, v4
	s_delay_alu instid0(VALU_DEP_1) | instskip(SKIP_1) | instid1(VALU_DEP_2)
	v_sub_nc_u32_e32 v9, 29, v4
	v_subrev_nc_u32_e32 v4, 28, v4
	v_dual_mov_b32 v7, v53 :: v_dual_cndmask_b32 v22, v8, v9
	s_delay_alu instid0(VALU_DEP_2) | instskip(NEXT) | instid1(VALU_DEP_1)
	v_cndmask_b32_e32 v4, 0, v4, vcc_lo
	v_lshlrev_b64_e32 v[8:9], v4, v[6:7]
	v_lshlrev_b32_e32 v4, 24, v6
	s_delay_alu instid0(VALU_DEP_4) | instskip(NEXT) | instid1(VALU_DEP_3)
	v_lshl_add_u32 v7, v22, 23, 0x3c000000
	v_lshlrev_b32_e32 v6, 20, v8
	s_delay_alu instid0(VALU_DEP_3) | instskip(NEXT) | instid1(VALU_DEP_2)
	v_and_b32_e32 v4, 0x80000000, v4
	v_and_b32_e32 v6, 0x700000, v6
	s_delay_alu instid0(VALU_DEP_1)
	v_or3_b32 v4, v6, v4, v7
.LBB6_8695:                             ;   in Loop: Header=BB6_6801 Depth=2
	s_or_b32 exec_lo, exec_lo, s40
.LBB6_8696:                             ;   in Loop: Header=BB6_6801 Depth=2
	s_delay_alu instid0(SALU_CYCLE_1)
	s_or_b32 exec_lo, exec_lo, s29
.LBB6_8697:                             ;   in Loop: Header=BB6_6801 Depth=2
	s_delay_alu instid0(SALU_CYCLE_1) | instskip(NEXT) | instid1(VALU_DEP_1)
	s_or_b32 exec_lo, exec_lo, s7
	v_add_f32_e32 v5, v5, v4
	v_mov_b32_e32 v7, v53
                                        ; implicit-def: $vgpr121
	s_mov_b32 s7, exec_lo
	s_delay_alu instid0(VALU_DEP_2) | instskip(SKIP_1) | instid1(VALU_DEP_2)
	v_and_b32_e32 v6, 0x7f800000, v5
	v_lshrrev_b32_e32 v4, 24, v5
	v_cmpx_ne_u64_e32 0x7f800000, v[6:7]
	s_xor_b32 s29, exec_lo, s7
	s_cbranch_execz .LBB6_8711
; %bb.8698:                             ;   in Loop: Header=BB6_6801 Depth=2
	v_and_b32_e32 v6, 0x7fffffff, v5
	v_mov_b32_e32 v7, v53
	v_and_b32_e32 v4, 0x80, v4
                                        ; implicit-def: $vgpr121
	s_mov_b32 s7, exec_lo
	s_delay_alu instid0(VALU_DEP_2)
	v_cmpx_gt_u64_e32 0x43e00001, v[6:7]
	s_xor_b32 s40, exec_lo, s7
	s_cbranch_execz .LBB6_8708
; %bb.8699:                             ;   in Loop: Header=BB6_6801 Depth=2
	v_mov_b32_e32 v121, 0
	s_mov_b32 s41, exec_lo
	v_cmpx_ne_u32_e32 0, v5
	s_cbranch_execz .LBB6_8707
; %bb.8700:                             ;   in Loop: Header=BB6_6801 Depth=2
	v_and_b32_e32 v7, 0x7fffff, v5
	v_bfe_u32 v5, v5, 23, 8
	v_mov_b32_e32 v9, v53
	s_delay_alu instid0(VALU_DEP_3) | instskip(NEXT) | instid1(VALU_DEP_3)
	v_or_b32_e32 v8, 0x800000, v7
	v_cmp_gt_u32_e64 s7, 0x7a, v5
	v_sub_nc_u32_e32 v6, 0x79, v5
	v_cmp_eq_u32_e32 vcc_lo, 0, v5
	s_delay_alu instid0(VALU_DEP_2) | instskip(NEXT) | instid1(VALU_DEP_1)
	v_dual_cndmask_b32 v6, 0, v6, s7 :: v_dual_cndmask_b32 v8, v8, v7, vcc_lo
	v_cndmask_b32_e64 v6, v6, 0x78, vcc_lo
	s_delay_alu instid0(VALU_DEP_1) | instskip(NEXT) | instid1(VALU_DEP_1)
	v_add_nc_u32_e32 v7, 20, v6
	v_lshlrev_b64_e64 v[22:23], v7, -1
	v_add_nc_u32_e32 v7, 19, v6
	s_delay_alu instid0(VALU_DEP_1) | instskip(NEXT) | instid1(VALU_DEP_3)
	v_lshlrev_b64_e64 v[38:39], v7, 1
	v_bfi_b32 v23, v23, 0, 0
	s_delay_alu instid0(VALU_DEP_4) | instskip(NEXT) | instid1(VALU_DEP_1)
	v_bfi_b32 v22, v22, 0, v8
	v_cmp_eq_u64_e64 s7, v[22:23], v[38:39]
	v_lshrrev_b64 v[22:23], v6, v[8:9]
	s_delay_alu instid0(VALU_DEP_1)
	v_mov_b64_e32 v[112:113], v[22:23]
	s_and_saveexec_b32 s42, s7
; %bb.8701:                             ;   in Loop: Header=BB6_6801 Depth=2
	v_bfe_u32 v8, v22, 20, 1
	v_mov_b32_e32 v9, v53
	s_delay_alu instid0(VALU_DEP_1) | instskip(NEXT) | instid1(VALU_DEP_1)
	v_add_nc_u64_e32 v[8:9], v[22:23], v[8:9]
	v_add_nc_u64_e32 v[112:113], -1, v[8:9]
; %bb.8702:                             ;   in Loop: Header=BB6_6801 Depth=2
	s_or_b32 exec_lo, exec_lo, s42
	v_add_nc_u32_e32 v5, 0xffffff81, v5
	v_lshrrev_b32_e32 v7, 23, v22
	s_mov_b32 s7, exec_lo
	v_mov_b32_e32 v23, v53
	s_delay_alu instid0(VALU_DEP_3) | instskip(NEXT) | instid1(VALU_DEP_1)
	v_cndmask_b32_e64 v5, v5, 0xffffff82, vcc_lo
	v_add3_u32 v7, v6, v5, v7
	v_and_b32_e32 v5, 0xfffff, v112
	s_delay_alu instid0(VALU_DEP_1) | instskip(NEXT) | instid1(VALU_DEP_1)
	v_dual_add_nc_u32 v6, 6, v7 :: v_dual_add_nc_u32 v22, v5, v22
                                        ; implicit-def: $vgpr5
	v_cmpx_ne_u32_e32 0, v6
	s_xor_b32 s7, exec_lo, s7
; %bb.8703:                             ;   in Loop: Header=BB6_6801 Depth=2
	s_delay_alu instid0(VALU_DEP_2) | instskip(SKIP_1) | instid1(VALU_DEP_1)
	v_cmp_lt_u64_e32 vcc_lo, 0xffffff, v[22:23]
	v_add_nc_u32_e32 v5, 7, v7
	v_cndmask_b32_e32 v5, v6, v5, vcc_lo
	v_cndmask_b32_e64 v6, 0, 1, vcc_lo
	s_delay_alu instid0(VALU_DEP_1)
	v_lshrrev_b64 v[22:23], v6, v[22:23]
; %bb.8704:                             ;   in Loop: Header=BB6_6801 Depth=2
	s_and_not1_saveexec_b32 s7, s7
; %bb.8705:                             ;   in Loop: Header=BB6_6801 Depth=2
	s_delay_alu instid0(VALU_DEP_1)
	v_bfe_u32 v5, v22, 23, 1
; %bb.8706:                             ;   in Loop: Header=BB6_6801 Depth=2
	s_or_b32 exec_lo, exec_lo, s7
	s_delay_alu instid0(VALU_DEP_2) | instskip(NEXT) | instid1(VALU_DEP_2)
	v_lshrrev_b64 v[6:7], 20, v[22:23]
	v_cmp_gt_i32_e32 vcc_lo, 16, v5
	v_min_i32_e32 v8, 15, v5
	v_cmp_eq_u32_e64 s7, 0, v5
	s_delay_alu instid0(VALU_DEP_2) | instskip(SKIP_1) | instid1(VALU_DEP_2)
	v_dual_cndmask_b32 v7, 0, v7 :: v_dual_lshlrev_b32 v8, 3, v8
	v_cndmask_b32_e32 v6, 7, v6, vcc_lo
	v_and_b32_e32 v8, 0xf8, v8
	s_delay_alu instid0(VALU_DEP_2) | instskip(NEXT) | instid1(VALU_DEP_2)
	v_cmp_eq_u64_e32 vcc_lo, 0, v[6:7]
	v_and_or_b32 v5, v6, 7, v8
	s_and_b32 s7, s7, vcc_lo
	s_delay_alu instid0(VALU_DEP_1) | instid1(SALU_CYCLE_1)
	v_cndmask_b32_e64 v5, v5, 0, s7
	s_delay_alu instid0(VALU_DEP_1)
	v_or_b32_e32 v121, v5, v4
.LBB6_8707:                             ;   in Loop: Header=BB6_6801 Depth=2
	s_or_b32 exec_lo, exec_lo, s41
                                        ; implicit-def: $vgpr4
.LBB6_8708:                             ;   in Loop: Header=BB6_6801 Depth=2
	s_and_not1_saveexec_b32 s7, s40
; %bb.8709:                             ;   in Loop: Header=BB6_6801 Depth=2
	v_or_b32_e32 v121, 0x7e, v4
; %bb.8710:                             ;   in Loop: Header=BB6_6801 Depth=2
	s_or_b32 exec_lo, exec_lo, s7
                                        ; implicit-def: $vgpr4
.LBB6_8711:                             ;   in Loop: Header=BB6_6801 Depth=2
	s_and_not1_saveexec_b32 s7, s29
; %bb.8712:                             ;   in Loop: Header=BB6_6801 Depth=2
	v_or_b32_e32 v121, 0x7f, v4
; %bb.8713:                             ;   in Loop: Header=BB6_6801 Depth=2
	s_or_b32 exec_lo, exec_lo, s7
	v_lshrrev_b16 v6, 8, v0
	v_dual_mov_b32 v4, 0 :: v_dual_mov_b32 v5, 0
	s_mov_b32 s7, exec_lo
	s_delay_alu instid0(VALU_DEP_2)
	v_cmpx_ne_u16_e32 0, v6
	s_cbranch_execz .LBB6_8721
; %bb.8714:                             ;   in Loop: Header=BB6_6801 Depth=2
	v_bfrev_b32_e32 v5, 1
	s_mov_b32 s29, exec_lo
	v_cmpx_ne_u16_e32 0x80, v6
	s_cbranch_execz .LBB6_8720
; %bb.8715:                             ;   in Loop: Header=BB6_6801 Depth=2
	v_and_b32_e32 v7, 0xffff, v6
	v_mov_b32_e32 v5, 0x7f800001
	s_mov_b32 s40, exec_lo
	s_delay_alu instid0(VALU_DEP_2) | instskip(NEXT) | instid1(VALU_DEP_1)
	v_and_b32_e32 v6, 0x7f, v7
	v_cmpx_ne_u32_e32 0x7f, v6
	s_cbranch_execz .LBB6_8719
; %bb.8716:                             ;   in Loop: Header=BB6_6801 Depth=2
	v_dual_mov_b32 v23, v53 :: v_dual_bitop2_b32 v22, 7, v7 bitop3:0x40
	v_lshrrev_b32_e32 v5, 3, v6
	s_mov_b32 s41, exec_lo
	v_cmpx_gt_u32_e32 8, v6
; %bb.8717:                             ;   in Loop: Header=BB6_6801 Depth=2
	s_delay_alu instid0(VALU_DEP_3) | instskip(NEXT) | instid1(VALU_DEP_1)
	v_clz_i32_u32_e32 v5, v22
	v_min_u32_e32 v5, 32, v5
	s_delay_alu instid0(VALU_DEP_1) | instskip(NEXT) | instid1(VALU_DEP_1)
	v_subrev_nc_u32_e32 v6, 28, v5
	v_lshlrev_b64_e32 v[6:7], v6, v[22:23]
	s_delay_alu instid0(VALU_DEP_1)
	v_dual_sub_nc_u32 v5, 29, v5 :: v_dual_bitop2_b32 v22, 7, v6 bitop3:0x40
; %bb.8718:                             ;   in Loop: Header=BB6_6801 Depth=2
	s_or_b32 exec_lo, exec_lo, s41
	s_delay_alu instid0(VALU_DEP_1) | instskip(NEXT) | instid1(VALU_DEP_2)
	v_dual_lshlrev_b32 v0, 16, v0 :: v_dual_lshlrev_b32 v6, 20, v22
	v_lshl_add_u32 v5, v5, 23, 0x3c000000
	s_delay_alu instid0(VALU_DEP_2) | instskip(NEXT) | instid1(VALU_DEP_1)
	v_and_b32_e32 v0, 0x80000000, v0
	v_or3_b32 v5, v6, v0, v5
.LBB6_8719:                             ;   in Loop: Header=BB6_6801 Depth=2
	s_or_b32 exec_lo, exec_lo, s40
.LBB6_8720:                             ;   in Loop: Header=BB6_6801 Depth=2
	s_delay_alu instid0(SALU_CYCLE_1)
	s_or_b32 exec_lo, exec_lo, s29
.LBB6_8721:                             ;   in Loop: Header=BB6_6801 Depth=2
	s_delay_alu instid0(SALU_CYCLE_1) | instskip(SKIP_2) | instid1(VALU_DEP_1)
	s_or_b32 exec_lo, exec_lo, s7
	v_lshrrev_b16 v0, 8, v25
	s_mov_b32 s7, exec_lo
	v_cmpx_ne_u16_e32 0, v0
	s_cbranch_execz .LBB6_8729
; %bb.8722:                             ;   in Loop: Header=BB6_6801 Depth=2
	v_bfrev_b32_e32 v4, 1
	s_mov_b32 s29, exec_lo
	v_cmpx_ne_u16_e32 0x80, v0
	s_cbranch_execz .LBB6_8728
; %bb.8723:                             ;   in Loop: Header=BB6_6801 Depth=2
	v_and_b32_e32 v0, 0xffff, v0
	v_mov_b32_e32 v4, 0x7f800001
	s_mov_b32 s40, exec_lo
	s_delay_alu instid0(VALU_DEP_2) | instskip(NEXT) | instid1(VALU_DEP_1)
	v_and_b32_e32 v6, 0x7f, v0
	v_cmpx_ne_u32_e32 0x7f, v6
	s_cbranch_execz .LBB6_8727
; %bb.8724:                             ;   in Loop: Header=BB6_6801 Depth=2
	v_dual_mov_b32 v23, v53 :: v_dual_bitop2_b32 v22, 7, v0 bitop3:0x40
	v_lshrrev_b32_e32 v0, 3, v6
	s_mov_b32 s41, exec_lo
	v_cmpx_gt_u32_e32 8, v6
; %bb.8725:                             ;   in Loop: Header=BB6_6801 Depth=2
	s_delay_alu instid0(VALU_DEP_3) | instskip(NEXT) | instid1(VALU_DEP_1)
	v_clz_i32_u32_e32 v0, v22
	v_min_u32_e32 v0, 32, v0
	s_delay_alu instid0(VALU_DEP_1) | instskip(NEXT) | instid1(VALU_DEP_1)
	v_subrev_nc_u32_e32 v4, 28, v0
	v_lshlrev_b64_e32 v[6:7], v4, v[22:23]
	s_delay_alu instid0(VALU_DEP_1)
	v_dual_sub_nc_u32 v0, 29, v0 :: v_dual_bitop2_b32 v22, 7, v6 bitop3:0x40
; %bb.8726:                             ;   in Loop: Header=BB6_6801 Depth=2
	s_or_b32 exec_lo, exec_lo, s41
	s_delay_alu instid0(VALU_DEP_1) | instskip(NEXT) | instid1(VALU_DEP_2)
	v_dual_lshlrev_b32 v4, 16, v25 :: v_dual_lshlrev_b32 v6, 20, v22
	v_lshl_add_u32 v0, v0, 23, 0x3c000000
	s_delay_alu instid0(VALU_DEP_2) | instskip(NEXT) | instid1(VALU_DEP_1)
	v_and_b32_e32 v4, 0x80000000, v4
	v_or3_b32 v4, v6, v4, v0
.LBB6_8727:                             ;   in Loop: Header=BB6_6801 Depth=2
	s_or_b32 exec_lo, exec_lo, s40
.LBB6_8728:                             ;   in Loop: Header=BB6_6801 Depth=2
	s_delay_alu instid0(SALU_CYCLE_1)
	s_or_b32 exec_lo, exec_lo, s29
.LBB6_8729:                             ;   in Loop: Header=BB6_6801 Depth=2
	s_delay_alu instid0(SALU_CYCLE_1) | instskip(NEXT) | instid1(VALU_DEP_1)
	s_or_b32 exec_lo, exec_lo, s7
	v_add_f32_e32 v4, v5, v4
	v_mov_b32_e32 v7, v53
                                        ; implicit-def: $vgpr37
	s_mov_b32 s7, exec_lo
	s_delay_alu instid0(VALU_DEP_2) | instskip(SKIP_1) | instid1(VALU_DEP_2)
	v_and_b32_e32 v6, 0x7f800000, v4
	v_lshrrev_b32_e32 v0, 24, v4
	v_cmpx_ne_u64_e32 0x7f800000, v[6:7]
	s_xor_b32 s29, exec_lo, s7
	s_cbranch_execz .LBB6_8743
; %bb.8730:                             ;   in Loop: Header=BB6_6801 Depth=2
	v_and_b32_e32 v6, 0x7fffffff, v4
	v_mov_b32_e32 v7, v53
	v_and_b32_e32 v0, 0x80, v0
                                        ; implicit-def: $vgpr37
	s_mov_b32 s7, exec_lo
	s_delay_alu instid0(VALU_DEP_2)
	v_cmpx_gt_u64_e32 0x43e00001, v[6:7]
	s_xor_b32 s40, exec_lo, s7
	s_cbranch_execz .LBB6_8740
; %bb.8731:                             ;   in Loop: Header=BB6_6801 Depth=2
	v_mov_b32_e32 v37, 0
	s_mov_b32 s41, exec_lo
	v_cmpx_ne_u32_e32 0, v4
	s_cbranch_execz .LBB6_8739
; %bb.8732:                             ;   in Loop: Header=BB6_6801 Depth=2
	v_and_b32_e32 v6, 0x7fffff, v4
	v_bfe_u32 v4, v4, 23, 8
	s_delay_alu instid0(VALU_DEP_2) | instskip(NEXT) | instid1(VALU_DEP_2)
	v_or_b32_e32 v7, 0x800000, v6
	v_cmp_eq_u32_e32 vcc_lo, 0, v4
	v_cmp_gt_u32_e64 s7, 0x7a, v4
	s_delay_alu instid0(VALU_DEP_3) | instskip(NEXT) | instid1(VALU_DEP_1)
	v_dual_cndmask_b32 v6, v7, v6 :: v_dual_sub_nc_u32 v5, 0x79, v4
	v_dual_mov_b32 v7, v53 :: v_dual_cndmask_b32 v5, 0, v5, s7
	s_delay_alu instid0(VALU_DEP_1) | instskip(NEXT) | instid1(VALU_DEP_1)
	v_cndmask_b32_e64 v5, v5, 0x78, vcc_lo
	v_dual_add_nc_u32 v8, 20, v5 :: v_dual_add_nc_u32 v22, 19, v5
	s_delay_alu instid0(VALU_DEP_1) | instskip(NEXT) | instid1(VALU_DEP_2)
	v_lshlrev_b64_e64 v[8:9], v8, -1
	v_lshlrev_b64_e64 v[22:23], v22, 1
	s_delay_alu instid0(VALU_DEP_2) | instskip(NEXT) | instid1(VALU_DEP_3)
	v_bfi_b32 v9, v9, 0, 0
	v_bfi_b32 v8, v8, 0, v6
	s_delay_alu instid0(VALU_DEP_1) | instskip(SKIP_1) | instid1(VALU_DEP_1)
	v_cmp_eq_u64_e64 s7, v[8:9], v[22:23]
	v_lshrrev_b64 v[22:23], v5, v[6:7]
	v_mov_b64_e32 v[112:113], v[22:23]
	s_and_saveexec_b32 s42, s7
; %bb.8733:                             ;   in Loop: Header=BB6_6801 Depth=2
	v_bfe_u32 v6, v22, 20, 1
	v_mov_b32_e32 v7, v53
	s_delay_alu instid0(VALU_DEP_1) | instskip(NEXT) | instid1(VALU_DEP_1)
	v_add_nc_u64_e32 v[6:7], v[22:23], v[6:7]
	v_add_nc_u64_e32 v[112:113], -1, v[6:7]
; %bb.8734:                             ;   in Loop: Header=BB6_6801 Depth=2
	s_or_b32 exec_lo, exec_lo, s42
	v_dual_mov_b32 v23, v53 :: v_dual_add_nc_u32 v4, 0xffffff81, v4
	v_lshrrev_b32_e32 v6, 23, v22
	s_mov_b32 s7, exec_lo
	s_delay_alu instid0(VALU_DEP_2) | instskip(NEXT) | instid1(VALU_DEP_1)
	v_cndmask_b32_e64 v4, v4, 0xffffff82, vcc_lo
	v_add3_u32 v6, v5, v4, v6
	v_and_b32_e32 v4, 0xfffff, v112
	s_delay_alu instid0(VALU_DEP_2) | instskip(NEXT) | instid1(VALU_DEP_2)
	v_add_nc_u32_e32 v5, 6, v6
	v_add_nc_u32_e32 v22, v4, v22
                                        ; implicit-def: $vgpr4
	s_delay_alu instid0(VALU_DEP_2)
	v_cmpx_ne_u32_e32 0, v5
	s_xor_b32 s7, exec_lo, s7
; %bb.8735:                             ;   in Loop: Header=BB6_6801 Depth=2
	s_delay_alu instid0(VALU_DEP_2) | instskip(SKIP_1) | instid1(VALU_DEP_1)
	v_cmp_lt_u64_e32 vcc_lo, 0xffffff, v[22:23]
	v_add_nc_u32_e32 v4, 7, v6
	v_cndmask_b32_e32 v4, v5, v4, vcc_lo
	v_cndmask_b32_e64 v5, 0, 1, vcc_lo
	s_delay_alu instid0(VALU_DEP_1)
	v_lshrrev_b64 v[22:23], v5, v[22:23]
; %bb.8736:                             ;   in Loop: Header=BB6_6801 Depth=2
	s_and_not1_saveexec_b32 s7, s7
; %bb.8737:                             ;   in Loop: Header=BB6_6801 Depth=2
	s_delay_alu instid0(VALU_DEP_1)
	v_bfe_u32 v4, v22, 23, 1
; %bb.8738:                             ;   in Loop: Header=BB6_6801 Depth=2
	s_or_b32 exec_lo, exec_lo, s7
	s_delay_alu instid0(VALU_DEP_2) | instskip(NEXT) | instid1(VALU_DEP_2)
	v_lshrrev_b64 v[6:7], 20, v[22:23]
	v_cmp_gt_i32_e32 vcc_lo, 16, v4
	v_min_i32_e32 v5, 15, v4
	v_cmp_eq_u32_e64 s7, 0, v4
	s_delay_alu instid0(VALU_DEP_2) | instskip(SKIP_1) | instid1(VALU_DEP_2)
	v_dual_cndmask_b32 v7, 0, v7, vcc_lo :: v_dual_lshlrev_b32 v5, 3, v5
	v_cndmask_b32_e32 v6, 7, v6, vcc_lo
	v_and_b32_e32 v5, 0xf8, v5
	s_delay_alu instid0(VALU_DEP_2) | instskip(NEXT) | instid1(VALU_DEP_2)
	v_cmp_eq_u64_e32 vcc_lo, 0, v[6:7]
	v_and_or_b32 v4, v6, 7, v5
	s_and_b32 s7, s7, vcc_lo
	s_delay_alu instid0(VALU_DEP_1) | instid1(SALU_CYCLE_1)
	v_cndmask_b32_e64 v4, v4, 0, s7
	s_delay_alu instid0(VALU_DEP_1)
	v_or_b32_e32 v37, v4, v0
.LBB6_8739:                             ;   in Loop: Header=BB6_6801 Depth=2
	s_or_b32 exec_lo, exec_lo, s41
                                        ; implicit-def: $vgpr0
.LBB6_8740:                             ;   in Loop: Header=BB6_6801 Depth=2
	s_and_not1_saveexec_b32 s7, s40
; %bb.8741:                             ;   in Loop: Header=BB6_6801 Depth=2
	v_or_b32_e32 v37, 0x7e, v0
; %bb.8742:                             ;   in Loop: Header=BB6_6801 Depth=2
	s_or_b32 exec_lo, exec_lo, s7
                                        ; implicit-def: $vgpr0
.LBB6_8743:                             ;   in Loop: Header=BB6_6801 Depth=2
	s_and_not1_saveexec_b32 s7, s29
; %bb.8744:                             ;   in Loop: Header=BB6_6801 Depth=2
	v_or_b32_e32 v37, 0x7f, v0
; %bb.8745:                             ;   in Loop: Header=BB6_6801 Depth=2
	s_or_b32 exec_lo, exec_lo, s7
	v_dual_mov_b32 v0, 0 :: v_dual_lshrrev_b32 v5, 16, v52
	v_mov_b32_e32 v4, 0
	s_mov_b32 s7, exec_lo
	s_delay_alu instid0(VALU_DEP_2) | instskip(NEXT) | instid1(VALU_DEP_1)
	v_and_b32_e32 v6, 0xff, v5
	v_cmpx_ne_u16_e32 0, v6
	s_cbranch_execz .LBB6_8753
; %bb.8746:                             ;   in Loop: Header=BB6_6801 Depth=2
	v_bfrev_b32_e32 v4, 1
	s_mov_b32 s29, exec_lo
	v_cmpx_ne_u16_e32 0x80, v6
	s_cbranch_execz .LBB6_8752
; %bb.8747:                             ;   in Loop: Header=BB6_6801 Depth=2
	v_bfe_u32 v6, v52, 16, 7
	v_mov_b32_e32 v4, 0x7f800001
	s_mov_b32 s40, exec_lo
	s_delay_alu instid0(VALU_DEP_2)
	v_cmpx_ne_u32_e32 0x7f, v6
	s_cbranch_execz .LBB6_8751
; %bb.8748:                             ;   in Loop: Header=BB6_6801 Depth=2
	v_dual_mov_b32 v23, v53 :: v_dual_bitop2_b32 v22, 7, v5 bitop3:0x40
	v_lshrrev_b32_e32 v4, 3, v6
	s_mov_b32 s41, exec_lo
	v_cmpx_gt_u32_e32 8, v6
; %bb.8749:                             ;   in Loop: Header=BB6_6801 Depth=2
	s_delay_alu instid0(VALU_DEP_3) | instskip(NEXT) | instid1(VALU_DEP_1)
	v_clz_i32_u32_e32 v4, v22
	v_min_u32_e32 v4, 32, v4
	s_delay_alu instid0(VALU_DEP_1) | instskip(NEXT) | instid1(VALU_DEP_1)
	v_subrev_nc_u32_e32 v6, 28, v4
	v_lshlrev_b64_e32 v[6:7], v6, v[22:23]
	s_delay_alu instid0(VALU_DEP_1)
	v_dual_sub_nc_u32 v4, 29, v4 :: v_dual_bitop2_b32 v22, 7, v6 bitop3:0x40
; %bb.8750:                             ;   in Loop: Header=BB6_6801 Depth=2
	s_or_b32 exec_lo, exec_lo, s41
	s_delay_alu instid0(VALU_DEP_1) | instskip(NEXT) | instid1(VALU_DEP_2)
	v_dual_lshlrev_b32 v5, 24, v5 :: v_dual_lshlrev_b32 v6, 20, v22
	v_lshl_add_u32 v4, v4, 23, 0x3c000000
	s_delay_alu instid0(VALU_DEP_2) | instskip(NEXT) | instid1(VALU_DEP_1)
	v_and_b32_e32 v5, 0x80000000, v5
	v_or3_b32 v4, v6, v5, v4
.LBB6_8751:                             ;   in Loop: Header=BB6_6801 Depth=2
	s_or_b32 exec_lo, exec_lo, s40
.LBB6_8752:                             ;   in Loop: Header=BB6_6801 Depth=2
	s_delay_alu instid0(SALU_CYCLE_1)
	s_or_b32 exec_lo, exec_lo, s29
.LBB6_8753:                             ;   in Loop: Header=BB6_6801 Depth=2
	s_delay_alu instid0(SALU_CYCLE_1) | instskip(SKIP_2) | instid1(VALU_DEP_1)
	s_or_b32 exec_lo, exec_lo, s7
	v_lshrrev_b32_e32 v5, 16, v25
	s_mov_b32 s7, exec_lo
	v_and_b32_e32 v6, 0xff, v5
	s_delay_alu instid0(VALU_DEP_1)
	v_cmpx_ne_u16_e32 0, v6
	s_cbranch_execz .LBB6_8761
; %bb.8754:                             ;   in Loop: Header=BB6_6801 Depth=2
	v_bfrev_b32_e32 v0, 1
	s_mov_b32 s29, exec_lo
	v_cmpx_ne_u16_e32 0x80, v6
	s_cbranch_execz .LBB6_8760
; %bb.8755:                             ;   in Loop: Header=BB6_6801 Depth=2
	v_bfe_u32 v6, v25, 16, 7
	v_mov_b32_e32 v0, 0x7f800001
	s_mov_b32 s40, exec_lo
	s_delay_alu instid0(VALU_DEP_2)
	v_cmpx_ne_u32_e32 0x7f, v6
	s_cbranch_execz .LBB6_8759
; %bb.8756:                             ;   in Loop: Header=BB6_6801 Depth=2
	v_dual_mov_b32 v23, v53 :: v_dual_bitop2_b32 v22, 7, v5 bitop3:0x40
	v_lshrrev_b32_e32 v0, 3, v6
	s_mov_b32 s41, exec_lo
	v_cmpx_gt_u32_e32 8, v6
; %bb.8757:                             ;   in Loop: Header=BB6_6801 Depth=2
	s_delay_alu instid0(VALU_DEP_3) | instskip(NEXT) | instid1(VALU_DEP_1)
	v_clz_i32_u32_e32 v0, v22
	v_min_u32_e32 v0, 32, v0
	s_delay_alu instid0(VALU_DEP_1) | instskip(NEXT) | instid1(VALU_DEP_1)
	v_subrev_nc_u32_e32 v5, 28, v0
	v_lshlrev_b64_e32 v[6:7], v5, v[22:23]
	s_delay_alu instid0(VALU_DEP_1)
	v_dual_sub_nc_u32 v0, 29, v0 :: v_dual_bitop2_b32 v22, 7, v6 bitop3:0x40
; %bb.8758:                             ;   in Loop: Header=BB6_6801 Depth=2
	s_or_b32 exec_lo, exec_lo, s41
	s_delay_alu instid0(VALU_DEP_1) | instskip(NEXT) | instid1(VALU_DEP_2)
	v_dual_lshlrev_b32 v5, 8, v25 :: v_dual_lshlrev_b32 v6, 20, v22
	v_lshl_add_u32 v0, v0, 23, 0x3c000000
	s_delay_alu instid0(VALU_DEP_2) | instskip(NEXT) | instid1(VALU_DEP_1)
	v_and_b32_e32 v5, 0x80000000, v5
	v_or3_b32 v0, v6, v5, v0
.LBB6_8759:                             ;   in Loop: Header=BB6_6801 Depth=2
	s_or_b32 exec_lo, exec_lo, s40
.LBB6_8760:                             ;   in Loop: Header=BB6_6801 Depth=2
	s_delay_alu instid0(SALU_CYCLE_1)
	s_or_b32 exec_lo, exec_lo, s29
.LBB6_8761:                             ;   in Loop: Header=BB6_6801 Depth=2
	s_delay_alu instid0(SALU_CYCLE_1) | instskip(NEXT) | instid1(VALU_DEP_1)
	s_or_b32 exec_lo, exec_lo, s7
	v_dual_add_f32 v4, v4, v0 :: v_dual_mov_b32 v7, v53
                                        ; implicit-def: $vgpr112
	s_mov_b32 s7, exec_lo
	s_delay_alu instid0(VALU_DEP_1) | instskip(SKIP_1) | instid1(VALU_DEP_2)
	v_and_b32_e32 v6, 0x7f800000, v4
	v_lshrrev_b32_e32 v0, 24, v4
	v_cmpx_ne_u64_e32 0x7f800000, v[6:7]
	s_xor_b32 s29, exec_lo, s7
	s_cbranch_execz .LBB6_8775
; %bb.8762:                             ;   in Loop: Header=BB6_6801 Depth=2
	v_and_b32_e32 v6, 0x7fffffff, v4
	v_mov_b32_e32 v7, v53
	v_and_b32_e32 v0, 0x80, v0
                                        ; implicit-def: $vgpr112
	s_mov_b32 s7, exec_lo
	s_delay_alu instid0(VALU_DEP_2)
	v_cmpx_gt_u64_e32 0x43e00001, v[6:7]
	s_xor_b32 s40, exec_lo, s7
	s_cbranch_execz .LBB6_8772
; %bb.8763:                             ;   in Loop: Header=BB6_6801 Depth=2
	v_mov_b32_e32 v112, 0
	s_mov_b32 s41, exec_lo
	v_cmpx_ne_u32_e32 0, v4
	s_cbranch_execz .LBB6_8771
; %bb.8764:                             ;   in Loop: Header=BB6_6801 Depth=2
	v_and_b32_e32 v6, 0x7fffff, v4
	v_bfe_u32 v4, v4, 23, 8
	s_delay_alu instid0(VALU_DEP_2) | instskip(NEXT) | instid1(VALU_DEP_2)
	v_or_b32_e32 v7, 0x800000, v6
	v_cmp_eq_u32_e32 vcc_lo, 0, v4
	v_cmp_gt_u32_e64 s7, 0x7a, v4
	s_delay_alu instid0(VALU_DEP_3) | instskip(NEXT) | instid1(VALU_DEP_1)
	v_dual_cndmask_b32 v6, v7, v6 :: v_dual_sub_nc_u32 v5, 0x79, v4
	v_dual_mov_b32 v7, v53 :: v_dual_cndmask_b32 v5, 0, v5, s7
	s_delay_alu instid0(VALU_DEP_1) | instskip(NEXT) | instid1(VALU_DEP_1)
	v_cndmask_b32_e64 v5, v5, 0x78, vcc_lo
	v_dual_add_nc_u32 v8, 20, v5 :: v_dual_add_nc_u32 v22, 19, v5
	s_delay_alu instid0(VALU_DEP_1) | instskip(NEXT) | instid1(VALU_DEP_2)
	v_lshlrev_b64_e64 v[8:9], v8, -1
	v_lshlrev_b64_e64 v[22:23], v22, 1
	s_delay_alu instid0(VALU_DEP_2) | instskip(NEXT) | instid1(VALU_DEP_3)
	v_bfi_b32 v9, v9, 0, 0
	v_bfi_b32 v8, v8, 0, v6
	s_delay_alu instid0(VALU_DEP_1) | instskip(SKIP_1) | instid1(VALU_DEP_1)
	v_cmp_eq_u64_e64 s7, v[8:9], v[22:23]
	v_lshrrev_b64 v[22:23], v5, v[6:7]
	v_mov_b64_e32 v[112:113], v[22:23]
	s_and_saveexec_b32 s42, s7
; %bb.8765:                             ;   in Loop: Header=BB6_6801 Depth=2
	v_bfe_u32 v6, v22, 20, 1
	v_mov_b32_e32 v7, v53
	s_delay_alu instid0(VALU_DEP_1) | instskip(NEXT) | instid1(VALU_DEP_1)
	v_add_nc_u64_e32 v[6:7], v[22:23], v[6:7]
	v_add_nc_u64_e32 v[112:113], -1, v[6:7]
; %bb.8766:                             ;   in Loop: Header=BB6_6801 Depth=2
	s_or_b32 exec_lo, exec_lo, s42
	v_dual_mov_b32 v23, v53 :: v_dual_add_nc_u32 v4, 0xffffff81, v4
	v_lshrrev_b32_e32 v6, 23, v22
	s_mov_b32 s7, exec_lo
	s_delay_alu instid0(VALU_DEP_2) | instskip(NEXT) | instid1(VALU_DEP_1)
	v_cndmask_b32_e64 v4, v4, 0xffffff82, vcc_lo
	v_add3_u32 v6, v5, v4, v6
	v_and_b32_e32 v4, 0xfffff, v112
	s_delay_alu instid0(VALU_DEP_2) | instskip(NEXT) | instid1(VALU_DEP_2)
	v_add_nc_u32_e32 v5, 6, v6
	v_add_nc_u32_e32 v22, v4, v22
                                        ; implicit-def: $vgpr4
	s_delay_alu instid0(VALU_DEP_2)
	v_cmpx_ne_u32_e32 0, v5
	s_xor_b32 s7, exec_lo, s7
; %bb.8767:                             ;   in Loop: Header=BB6_6801 Depth=2
	s_delay_alu instid0(VALU_DEP_2) | instskip(SKIP_1) | instid1(VALU_DEP_1)
	v_cmp_lt_u64_e32 vcc_lo, 0xffffff, v[22:23]
	v_add_nc_u32_e32 v4, 7, v6
	v_cndmask_b32_e32 v4, v5, v4, vcc_lo
	v_cndmask_b32_e64 v5, 0, 1, vcc_lo
	s_delay_alu instid0(VALU_DEP_1)
	v_lshrrev_b64 v[22:23], v5, v[22:23]
; %bb.8768:                             ;   in Loop: Header=BB6_6801 Depth=2
	s_and_not1_saveexec_b32 s7, s7
; %bb.8769:                             ;   in Loop: Header=BB6_6801 Depth=2
	s_delay_alu instid0(VALU_DEP_1)
	v_bfe_u32 v4, v22, 23, 1
; %bb.8770:                             ;   in Loop: Header=BB6_6801 Depth=2
	s_or_b32 exec_lo, exec_lo, s7
	s_delay_alu instid0(VALU_DEP_2) | instskip(NEXT) | instid1(VALU_DEP_2)
	v_lshrrev_b64 v[6:7], 20, v[22:23]
	v_cmp_gt_i32_e32 vcc_lo, 16, v4
	v_min_i32_e32 v5, 15, v4
	v_cmp_eq_u32_e64 s7, 0, v4
	s_delay_alu instid0(VALU_DEP_2) | instskip(SKIP_1) | instid1(VALU_DEP_2)
	v_dual_cndmask_b32 v7, 0, v7, vcc_lo :: v_dual_lshlrev_b32 v5, 3, v5
	v_cndmask_b32_e32 v6, 7, v6, vcc_lo
	v_and_b32_e32 v5, 0xf8, v5
	s_delay_alu instid0(VALU_DEP_2) | instskip(NEXT) | instid1(VALU_DEP_2)
	v_cmp_eq_u64_e32 vcc_lo, 0, v[6:7]
	v_and_or_b32 v4, v6, 7, v5
	s_and_b32 s7, s7, vcc_lo
	s_delay_alu instid0(VALU_DEP_1) | instid1(SALU_CYCLE_1)
	v_cndmask_b32_e64 v4, v4, 0, s7
	s_delay_alu instid0(VALU_DEP_1)
	v_or_b32_e32 v112, v4, v0
.LBB6_8771:                             ;   in Loop: Header=BB6_6801 Depth=2
	s_or_b32 exec_lo, exec_lo, s41
                                        ; implicit-def: $vgpr0
.LBB6_8772:                             ;   in Loop: Header=BB6_6801 Depth=2
	s_and_not1_saveexec_b32 s7, s40
; %bb.8773:                             ;   in Loop: Header=BB6_6801 Depth=2
	v_or_b32_e32 v112, 0x7e, v0
; %bb.8774:                             ;   in Loop: Header=BB6_6801 Depth=2
	s_or_b32 exec_lo, exec_lo, s7
                                        ; implicit-def: $vgpr0
.LBB6_8775:                             ;   in Loop: Header=BB6_6801 Depth=2
	s_and_not1_saveexec_b32 s7, s29
; %bb.8776:                             ;   in Loop: Header=BB6_6801 Depth=2
	v_or_b32_e32 v112, 0x7f, v0
; %bb.8777:                             ;   in Loop: Header=BB6_6801 Depth=2
	s_or_b32 exec_lo, exec_lo, s7
	v_dual_mov_b32 v0, 0 :: v_dual_mov_b32 v4, 0
	s_mov_b32 s7, exec_lo
	v_cmpx_lt_u32_e32 0xffffff, v52
	s_cbranch_execz .LBB6_8785
; %bb.8778:                             ;   in Loop: Header=BB6_6801 Depth=2
	v_lshrrev_b32_e32 v5, 24, v52
	v_bfrev_b32_e32 v4, 1
	s_mov_b32 s29, exec_lo
	s_delay_alu instid0(VALU_DEP_2)
	v_cmpx_ne_u32_e32 0x80, v5
	s_cbranch_execz .LBB6_8784
; %bb.8779:                             ;   in Loop: Header=BB6_6801 Depth=2
	v_bfe_u32 v6, v52, 24, 7
	v_mov_b32_e32 v4, 0x7f800001
	s_mov_b32 s40, exec_lo
	s_delay_alu instid0(VALU_DEP_2)
	v_cmpx_ne_u32_e32 0x7f, v6
	s_cbranch_execz .LBB6_8783
; %bb.8780:                             ;   in Loop: Header=BB6_6801 Depth=2
	v_dual_lshrrev_b32 v4, 3, v6 :: v_dual_bitop2_b32 v52, 7, v5 bitop3:0x40
	s_mov_b32 s41, exec_lo
	s_delay_alu instid0(VALU_DEP_1)
	v_mov_b64_e32 v[22:23], v[52:53]
	v_cmpx_gt_u32_e32 8, v6
; %bb.8781:                             ;   in Loop: Header=BB6_6801 Depth=2
	v_clz_i32_u32_e32 v4, v52
	s_delay_alu instid0(VALU_DEP_1) | instskip(NEXT) | instid1(VALU_DEP_1)
	v_min_u32_e32 v4, 32, v4
	v_subrev_nc_u32_e32 v6, 28, v4
	s_delay_alu instid0(VALU_DEP_1) | instskip(NEXT) | instid1(VALU_DEP_1)
	v_lshlrev_b64_e32 v[6:7], v6, v[52:53]
	v_dual_sub_nc_u32 v4, 29, v4 :: v_dual_bitop2_b32 v22, 7, v6 bitop3:0x40
; %bb.8782:                             ;   in Loop: Header=BB6_6801 Depth=2
	s_or_b32 exec_lo, exec_lo, s41
	s_delay_alu instid0(VALU_DEP_1) | instskip(NEXT) | instid1(VALU_DEP_2)
	v_dual_lshlrev_b32 v5, 24, v5 :: v_dual_lshlrev_b32 v6, 20, v22
	v_lshl_add_u32 v4, v4, 23, 0x3c000000
	s_delay_alu instid0(VALU_DEP_2) | instskip(NEXT) | instid1(VALU_DEP_1)
	v_and_b32_e32 v5, 0x80000000, v5
	v_or3_b32 v4, v6, v5, v4
.LBB6_8783:                             ;   in Loop: Header=BB6_6801 Depth=2
	s_or_b32 exec_lo, exec_lo, s40
.LBB6_8784:                             ;   in Loop: Header=BB6_6801 Depth=2
	s_delay_alu instid0(SALU_CYCLE_1)
	s_or_b32 exec_lo, exec_lo, s29
.LBB6_8785:                             ;   in Loop: Header=BB6_6801 Depth=2
	s_delay_alu instid0(SALU_CYCLE_1) | instskip(NEXT) | instid1(SALU_CYCLE_1)
	s_or_b32 exec_lo, exec_lo, s7
	s_mov_b32 s7, exec_lo
	v_cmpx_lt_u64_e64 s[12:13], v[24:25]
	s_cbranch_execz .LBB6_8793
; %bb.8786:                             ;   in Loop: Header=BB6_6801 Depth=2
	v_lshrrev_b32_e32 v5, 24, v25
	v_bfrev_b32_e32 v0, 1
	s_mov_b32 s29, exec_lo
	s_delay_alu instid0(VALU_DEP_2)
	v_cmpx_ne_u32_e32 0x80, v5
	s_cbranch_execz .LBB6_8792
; %bb.8787:                             ;   in Loop: Header=BB6_6801 Depth=2
	v_bfe_u32 v6, v25, 24, 7
	v_mov_b32_e32 v0, 0x7f800001
	s_mov_b32 s40, exec_lo
	s_delay_alu instid0(VALU_DEP_2)
	v_cmpx_ne_u32_e32 0x7f, v6
	s_cbranch_execz .LBB6_8791
; %bb.8788:                             ;   in Loop: Header=BB6_6801 Depth=2
	v_dual_lshrrev_b32 v0, 3, v6 :: v_dual_bitop2_b32 v52, 7, v5 bitop3:0x40
	s_mov_b32 s41, exec_lo
	s_delay_alu instid0(VALU_DEP_1)
	v_mov_b64_e32 v[22:23], v[52:53]
	v_cmpx_gt_u32_e32 8, v6
; %bb.8789:                             ;   in Loop: Header=BB6_6801 Depth=2
	v_clz_i32_u32_e32 v0, v52
	s_delay_alu instid0(VALU_DEP_1) | instskip(NEXT) | instid1(VALU_DEP_1)
	v_min_u32_e32 v0, 32, v0
	v_subrev_nc_u32_e32 v6, 28, v0
	s_delay_alu instid0(VALU_DEP_1) | instskip(NEXT) | instid1(VALU_DEP_1)
	v_lshlrev_b64_e32 v[6:7], v6, v[52:53]
	v_dual_sub_nc_u32 v0, 29, v0 :: v_dual_bitop2_b32 v22, 7, v6 bitop3:0x40
; %bb.8790:                             ;   in Loop: Header=BB6_6801 Depth=2
	s_or_b32 exec_lo, exec_lo, s41
	s_delay_alu instid0(VALU_DEP_1) | instskip(NEXT) | instid1(VALU_DEP_2)
	v_dual_lshlrev_b32 v5, 24, v5 :: v_dual_lshlrev_b32 v6, 20, v22
	v_lshl_add_u32 v0, v0, 23, 0x3c000000
	s_delay_alu instid0(VALU_DEP_2) | instskip(NEXT) | instid1(VALU_DEP_1)
	v_and_b32_e32 v5, 0x80000000, v5
	v_or3_b32 v0, v6, v5, v0
.LBB6_8791:                             ;   in Loop: Header=BB6_6801 Depth=2
	s_or_b32 exec_lo, exec_lo, s40
.LBB6_8792:                             ;   in Loop: Header=BB6_6801 Depth=2
	s_delay_alu instid0(SALU_CYCLE_1)
	s_or_b32 exec_lo, exec_lo, s29
.LBB6_8793:                             ;   in Loop: Header=BB6_6801 Depth=2
	s_delay_alu instid0(SALU_CYCLE_1) | instskip(NEXT) | instid1(VALU_DEP_1)
	s_or_b32 exec_lo, exec_lo, s7
	v_add_f32_e32 v4, v4, v0
                                        ; implicit-def: $vgpr113
	s_mov_b32 s7, exec_lo
	s_delay_alu instid0(VALU_DEP_1) | instskip(SKIP_1) | instid1(VALU_DEP_2)
	v_and_b32_e32 v52, 0x7f800000, v4
	v_lshrrev_b32_e32 v0, 24, v4
	v_cmpx_ne_u64_e32 0x7f800000, v[52:53]
	s_xor_b32 s29, exec_lo, s7
	s_cbranch_execz .LBB6_8807
; %bb.8794:                             ;   in Loop: Header=BB6_6801 Depth=2
	v_and_b32_e32 v52, 0x7fffffff, v4
	v_and_b32_e32 v0, 0x80, v0
                                        ; implicit-def: $vgpr113
	s_mov_b32 s7, exec_lo
	s_delay_alu instid0(VALU_DEP_2)
	v_cmpx_gt_u64_e32 0x43e00001, v[52:53]
	s_xor_b32 s40, exec_lo, s7
	s_cbranch_execz .LBB6_8804
; %bb.8795:                             ;   in Loop: Header=BB6_6801 Depth=2
	v_mov_b32_e32 v113, 0
	s_mov_b32 s41, exec_lo
	v_cmpx_ne_u32_e32 0, v4
	s_cbranch_execz .LBB6_8803
; %bb.8796:                             ;   in Loop: Header=BB6_6801 Depth=2
	v_and_b32_e32 v6, 0x7fffff, v4
	v_bfe_u32 v4, v4, 23, 8
	s_mov_b32 s42, exec_lo
	s_delay_alu instid0(VALU_DEP_2) | instskip(NEXT) | instid1(VALU_DEP_2)
	v_or_b32_e32 v7, 0x800000, v6
	v_cmp_eq_u32_e32 vcc_lo, 0, v4
	v_cmp_gt_u32_e64 s7, 0x7a, v4
	s_delay_alu instid0(VALU_DEP_3) | instskip(NEXT) | instid1(VALU_DEP_1)
	v_dual_cndmask_b32 v52, v7, v6 :: v_dual_sub_nc_u32 v5, 0x79, v4
	v_cndmask_b32_e64 v5, 0, v5, s7
	s_delay_alu instid0(VALU_DEP_1) | instskip(NEXT) | instid1(VALU_DEP_1)
	v_cndmask_b32_e64 v5, v5, 0x78, vcc_lo
	v_dual_add_nc_u32 v6, 20, v5 :: v_dual_add_nc_u32 v8, 19, v5
	s_delay_alu instid0(VALU_DEP_4) | instskip(NEXT) | instid1(VALU_DEP_2)
	v_lshrrev_b64 v[22:23], v5, v[52:53]
	v_lshlrev_b64_e64 v[6:7], v6, -1
	s_delay_alu instid0(VALU_DEP_3) | instskip(NEXT) | instid1(VALU_DEP_3)
	v_lshlrev_b64_e64 v[8:9], v8, 1
	v_mov_b64_e32 v[24:25], v[22:23]
	s_delay_alu instid0(VALU_DEP_3) | instskip(NEXT) | instid1(VALU_DEP_4)
	v_bfi_b32 v7, v7, 0, 0
	v_bfi_b32 v6, v6, 0, v52
	s_delay_alu instid0(VALU_DEP_1)
	v_cmpx_eq_u64_e64 v[6:7], v[8:9]
; %bb.8797:                             ;   in Loop: Header=BB6_6801 Depth=2
	v_bfe_u32 v52, v22, 20, 1
	s_delay_alu instid0(VALU_DEP_1) | instskip(NEXT) | instid1(VALU_DEP_1)
	v_add_nc_u64_e32 v[6:7], v[22:23], v[52:53]
	v_add_nc_u64_e32 v[24:25], -1, v[6:7]
; %bb.8798:                             ;   in Loop: Header=BB6_6801 Depth=2
	s_or_b32 exec_lo, exec_lo, s42
	v_add_nc_u32_e32 v4, 0xffffff81, v4
	v_lshrrev_b32_e32 v6, 23, v22
	s_mov_b32 s7, exec_lo
	s_delay_alu instid0(VALU_DEP_2) | instskip(NEXT) | instid1(VALU_DEP_1)
	v_cndmask_b32_e64 v4, v4, 0xffffff82, vcc_lo
	v_add3_u32 v6, v5, v4, v6
	v_and_b32_e32 v4, 0xfffff, v24
	s_delay_alu instid0(VALU_DEP_2) | instskip(NEXT) | instid1(VALU_DEP_2)
	v_add_nc_u32_e32 v5, 6, v6
	v_add_nc_u32_e32 v52, v4, v22
                                        ; implicit-def: $vgpr22_vgpr23
                                        ; implicit-def: $vgpr4
	s_delay_alu instid0(VALU_DEP_2)
	v_cmpx_ne_u32_e32 0, v5
	s_xor_b32 s7, exec_lo, s7
; %bb.8799:                             ;   in Loop: Header=BB6_6801 Depth=2
	s_delay_alu instid0(VALU_DEP_2) | instskip(SKIP_1) | instid1(VALU_DEP_1)
	v_cmp_lt_u64_e32 vcc_lo, 0xffffff, v[52:53]
	v_add_nc_u32_e32 v4, 7, v6
	v_cndmask_b32_e32 v4, v5, v4, vcc_lo
	v_cndmask_b32_e64 v5, 0, 1, vcc_lo
	s_delay_alu instid0(VALU_DEP_1)
	v_lshrrev_b64 v[22:23], v5, v[52:53]
; %bb.8800:                             ;   in Loop: Header=BB6_6801 Depth=2
	s_and_not1_saveexec_b32 s7, s7
; %bb.8801:                             ;   in Loop: Header=BB6_6801 Depth=2
	v_mov_b64_e32 v[22:23], v[52:53]
	v_bfe_u32 v4, v52, 23, 1
; %bb.8802:                             ;   in Loop: Header=BB6_6801 Depth=2
	s_or_b32 exec_lo, exec_lo, s7
	s_delay_alu instid0(VALU_DEP_2) | instskip(NEXT) | instid1(VALU_DEP_2)
	v_lshrrev_b64 v[6:7], 20, v[22:23]
	v_cmp_gt_i32_e32 vcc_lo, 16, v4
	v_min_i32_e32 v5, 15, v4
	v_cmp_eq_u32_e64 s7, 0, v4
	s_delay_alu instid0(VALU_DEP_2) | instskip(SKIP_1) | instid1(VALU_DEP_2)
	v_dual_cndmask_b32 v7, 0, v7, vcc_lo :: v_dual_lshlrev_b32 v5, 3, v5
	v_cndmask_b32_e32 v6, 7, v6, vcc_lo
	v_and_b32_e32 v5, 0xf8, v5
	s_delay_alu instid0(VALU_DEP_2) | instskip(NEXT) | instid1(VALU_DEP_2)
	v_cmp_eq_u64_e32 vcc_lo, 0, v[6:7]
	v_and_or_b32 v4, v6, 7, v5
	s_and_b32 s7, s7, vcc_lo
	s_delay_alu instid0(VALU_DEP_1) | instid1(SALU_CYCLE_1)
	v_cndmask_b32_e64 v4, v4, 0, s7
	s_delay_alu instid0(VALU_DEP_1)
	v_or_b32_e32 v113, v4, v0
.LBB6_8803:                             ;   in Loop: Header=BB6_6801 Depth=2
	s_or_b32 exec_lo, exec_lo, s41
                                        ; implicit-def: $vgpr0
.LBB6_8804:                             ;   in Loop: Header=BB6_6801 Depth=2
	s_and_not1_saveexec_b32 s7, s40
; %bb.8805:                             ;   in Loop: Header=BB6_6801 Depth=2
	v_or_b32_e32 v113, 0x7e, v0
; %bb.8806:                             ;   in Loop: Header=BB6_6801 Depth=2
	s_or_b32 exec_lo, exec_lo, s7
                                        ; implicit-def: $vgpr0
.LBB6_8807:                             ;   in Loop: Header=BB6_6801 Depth=2
	s_and_not1_saveexec_b32 s7, s29
; %bb.8808:                             ;   in Loop: Header=BB6_6801 Depth=2
	v_or_b32_e32 v113, 0x7f, v0
; %bb.8809:                             ;   in Loop: Header=BB6_6801 Depth=2
	s_or_b32 exec_lo, exec_lo, s7
	v_lshl_or_b32 v4, v27, 8, v118
	v_lshlrev_b32_e32 v0, 16, v117
	v_lshlrev_b32_e32 v1, 24, v1
	s_mov_b32 s7, exec_lo
	s_delay_alu instid0(VALU_DEP_1)
	v_or3_b32 v52, v0, v1, v4
	v_dual_mov_b32 v0, 0 :: v_dual_mov_b32 v1, 0
	v_cmpx_ne_u32_e32 0, v118
	s_cbranch_execz .LBB6_8815
; %bb.8810:                             ;   in Loop: Header=BB6_6801 Depth=2
	v_bfrev_b32_e32 v1, 1
	s_mov_b32 s29, exec_lo
	v_cmpx_ne_u32_e32 0x80, v118
	s_cbranch_execz .LBB6_8814
; %bb.8811:                             ;   in Loop: Header=BB6_6801 Depth=2
	v_and_b32_e32 v5, 0x7f, v118
	v_mov_b32_e32 v1, 0x7f800001
	s_mov_b32 s40, exec_lo
	s_delay_alu instid0(VALU_DEP_2)
	v_cmpx_ne_u32_e32 0x7f, v5
	s_cbranch_execz .LBB6_8813
; %bb.8812:                             ;   in Loop: Header=BB6_6801 Depth=2
	v_dual_lshrrev_b32 v6, 3, v5 :: v_dual_bitop2_b32 v1, 7, v118 bitop3:0x40
	v_cmp_gt_u32_e32 vcc_lo, 8, v5
	s_delay_alu instid0(VALU_DEP_2) | instskip(NEXT) | instid1(VALU_DEP_1)
	v_clz_i32_u32_e32 v1, v1
	v_min_u32_e32 v1, 32, v1
	s_delay_alu instid0(VALU_DEP_1) | instskip(SKIP_1) | instid1(VALU_DEP_2)
	v_subrev_nc_u32_e32 v5, 28, v1
	v_sub_nc_u32_e32 v1, 29, v1
	v_cndmask_b32_e32 v5, 0, v5, vcc_lo
	s_delay_alu instid0(VALU_DEP_2) | instskip(NEXT) | instid1(VALU_DEP_2)
	v_cndmask_b32_e32 v1, v6, v1, vcc_lo
	v_lshlrev_b64_e32 v[6:7], v5, v[52:53]
	s_delay_alu instid0(VALU_DEP_1) | instskip(NEXT) | instid1(VALU_DEP_3)
	v_dual_lshlrev_b32 v5, 20, v6 :: v_dual_lshlrev_b32 v6, 24, v52
	v_lshl_add_u32 v1, v1, 23, 0x3c000000
	s_delay_alu instid0(VALU_DEP_2) | instskip(NEXT) | instid1(VALU_DEP_3)
	v_and_b32_e32 v5, 0x700000, v5
	v_and_b32_e32 v6, 0x80000000, v6
	s_delay_alu instid0(VALU_DEP_1)
	v_or3_b32 v1, v5, v6, v1
.LBB6_8813:                             ;   in Loop: Header=BB6_6801 Depth=2
	s_or_b32 exec_lo, exec_lo, s40
.LBB6_8814:                             ;   in Loop: Header=BB6_6801 Depth=2
	s_delay_alu instid0(SALU_CYCLE_1)
	s_or_b32 exec_lo, exec_lo, s29
.LBB6_8815:                             ;   in Loop: Header=BB6_6801 Depth=2
	s_delay_alu instid0(SALU_CYCLE_1) | instskip(SKIP_3) | instid1(VALU_DEP_1)
	s_or_b32 exec_lo, exec_lo, s7
	s_wait_loadcnt 0x2
	v_and_b32_e32 v5, 0xff, v18
	s_mov_b32 s7, exec_lo
	v_cmpx_ne_u16_e32 0, v5
	s_cbranch_execz .LBB6_8821
; %bb.8816:                             ;   in Loop: Header=BB6_6801 Depth=2
	v_bfrev_b32_e32 v0, 1
	s_mov_b32 s29, exec_lo
	v_cmpx_ne_u16_e32 0x80, v5
	s_cbranch_execz .LBB6_8820
; %bb.8817:                             ;   in Loop: Header=BB6_6801 Depth=2
	v_and_b32_e32 v5, 0x7f, v18
	v_mov_b32_e32 v0, 0x7f800001
	s_mov_b32 s40, exec_lo
	s_delay_alu instid0(VALU_DEP_2)
	v_cmpx_ne_u32_e32 0x7f, v5
	s_cbranch_execz .LBB6_8819
; %bb.8818:                             ;   in Loop: Header=BB6_6801 Depth=2
	v_dual_lshrrev_b32 v6, 3, v5 :: v_dual_bitop2_b32 v0, 7, v18 bitop3:0x40
	v_cmp_gt_u32_e32 vcc_lo, 8, v5
	s_delay_alu instid0(VALU_DEP_2) | instskip(NEXT) | instid1(VALU_DEP_1)
	v_clz_i32_u32_e32 v0, v0
	v_min_u32_e32 v0, 32, v0
	s_delay_alu instid0(VALU_DEP_1) | instskip(NEXT) | instid1(VALU_DEP_1)
	v_subrev_nc_u32_e32 v5, 28, v0
	v_dual_cndmask_b32 v5, 0, v5 :: v_dual_sub_nc_u32 v0, 29, v0
	s_delay_alu instid0(VALU_DEP_1) | instskip(NEXT) | instid1(VALU_DEP_2)
	v_cndmask_b32_e32 v0, v6, v0, vcc_lo
	v_lshlrev_b64_e32 v[6:7], v5, v[18:19]
	s_delay_alu instid0(VALU_DEP_1) | instskip(SKIP_1) | instid1(VALU_DEP_4)
	v_lshlrev_b32_e32 v5, 20, v6
	v_lshlrev_b32_e32 v6, 24, v18
	v_lshl_add_u32 v0, v0, 23, 0x3c000000
	s_delay_alu instid0(VALU_DEP_3) | instskip(NEXT) | instid1(VALU_DEP_3)
	v_and_b32_e32 v5, 0x700000, v5
	v_and_b32_e32 v6, 0x80000000, v6
	s_delay_alu instid0(VALU_DEP_1)
	v_or3_b32 v0, v5, v6, v0
.LBB6_8819:                             ;   in Loop: Header=BB6_6801 Depth=2
	s_or_b32 exec_lo, exec_lo, s40
.LBB6_8820:                             ;   in Loop: Header=BB6_6801 Depth=2
	s_delay_alu instid0(SALU_CYCLE_1)
	s_or_b32 exec_lo, exec_lo, s29
.LBB6_8821:                             ;   in Loop: Header=BB6_6801 Depth=2
	s_delay_alu instid0(SALU_CYCLE_1) | instskip(NEXT) | instid1(VALU_DEP_1)
	s_or_b32 exec_lo, exec_lo, s7
	v_add_f32_e32 v5, v1, v0
	v_mov_b32_e32 v1, v53
	s_delay_alu instid0(VALU_DEP_2) | instskip(NEXT) | instid1(VALU_DEP_1)
	v_and_b32_e32 v0, 0x7f800000, v5
	v_cmp_ne_u64_e32 vcc_lo, 0x7f800000, v[0:1]
	v_lshrrev_b32_e32 v1, 24, v5
                                        ; implicit-def: $vgpr0
	s_and_saveexec_b32 s7, vcc_lo
	s_delay_alu instid0(SALU_CYCLE_1)
	s_xor_b32 s29, exec_lo, s7
	s_cbranch_execz .LBB6_8835
; %bb.8822:                             ;   in Loop: Header=BB6_6801 Depth=2
	v_and_b32_e32 v6, 0x7fffffff, v5
	v_mov_b32_e32 v7, v53
	v_and_b32_e32 v1, 0x80, v1
                                        ; implicit-def: $vgpr0
	s_mov_b32 s7, exec_lo
	s_delay_alu instid0(VALU_DEP_2)
	v_cmpx_gt_u64_e32 0x43e00001, v[6:7]
	s_xor_b32 s40, exec_lo, s7
	s_cbranch_execz .LBB6_8832
; %bb.8823:                             ;   in Loop: Header=BB6_6801 Depth=2
	v_mov_b32_e32 v0, 0
	s_mov_b32 s41, exec_lo
	v_cmpx_ne_u32_e32 0, v5
	s_cbranch_execz .LBB6_8831
; %bb.8824:                             ;   in Loop: Header=BB6_6801 Depth=2
	v_and_b32_e32 v6, 0x7fffff, v5
	v_bfe_u32 v0, v5, 23, 8
	s_delay_alu instid0(VALU_DEP_2) | instskip(NEXT) | instid1(VALU_DEP_2)
	v_or_b32_e32 v7, 0x800000, v6
	v_cmp_eq_u32_e32 vcc_lo, 0, v0
	v_cmp_gt_u32_e64 s7, 0x7a, v0
	s_delay_alu instid0(VALU_DEP_3) | instskip(NEXT) | instid1(VALU_DEP_1)
	v_dual_cndmask_b32 v6, v7, v6 :: v_dual_sub_nc_u32 v5, 0x79, v0
	v_dual_mov_b32 v7, v53 :: v_dual_cndmask_b32 v5, 0, v5, s7
	s_delay_alu instid0(VALU_DEP_1) | instskip(NEXT) | instid1(VALU_DEP_1)
	v_cndmask_b32_e64 v5, v5, 0x78, vcc_lo
	v_dual_add_nc_u32 v8, 20, v5 :: v_dual_add_nc_u32 v22, 19, v5
	s_delay_alu instid0(VALU_DEP_1) | instskip(NEXT) | instid1(VALU_DEP_2)
	v_lshlrev_b64_e64 v[8:9], v8, -1
	v_lshlrev_b64_e64 v[22:23], v22, 1
	s_delay_alu instid0(VALU_DEP_2) | instskip(NEXT) | instid1(VALU_DEP_3)
	v_bfi_b32 v9, v9, 0, 0
	v_bfi_b32 v8, v8, 0, v6
	s_delay_alu instid0(VALU_DEP_1) | instskip(SKIP_1) | instid1(VALU_DEP_1)
	v_cmp_eq_u64_e64 s7, v[8:9], v[22:23]
	v_lshrrev_b64 v[22:23], v5, v[6:7]
	v_mov_b64_e32 v[24:25], v[22:23]
	s_and_saveexec_b32 s42, s7
; %bb.8825:                             ;   in Loop: Header=BB6_6801 Depth=2
	v_bfe_u32 v6, v22, 20, 1
	v_mov_b32_e32 v7, v53
	s_delay_alu instid0(VALU_DEP_1) | instskip(NEXT) | instid1(VALU_DEP_1)
	v_add_nc_u64_e32 v[6:7], v[22:23], v[6:7]
	v_add_nc_u64_e32 v[24:25], -1, v[6:7]
; %bb.8826:                             ;   in Loop: Header=BB6_6801 Depth=2
	s_or_b32 exec_lo, exec_lo, s42
	v_dual_mov_b32 v23, v53 :: v_dual_add_nc_u32 v0, 0xffffff81, v0
	v_lshrrev_b32_e32 v6, 23, v22
	s_mov_b32 s7, exec_lo
	s_delay_alu instid0(VALU_DEP_2) | instskip(NEXT) | instid1(VALU_DEP_1)
	v_cndmask_b32_e64 v0, v0, 0xffffff82, vcc_lo
	v_add3_u32 v6, v5, v0, v6
	v_and_b32_e32 v0, 0xfffff, v24
	s_delay_alu instid0(VALU_DEP_2) | instskip(NEXT) | instid1(VALU_DEP_2)
	v_add_nc_u32_e32 v5, 6, v6
	v_add_nc_u32_e32 v22, v0, v22
                                        ; implicit-def: $vgpr0
	s_delay_alu instid0(VALU_DEP_2)
	v_cmpx_ne_u32_e32 0, v5
	s_xor_b32 s7, exec_lo, s7
; %bb.8827:                             ;   in Loop: Header=BB6_6801 Depth=2
	s_delay_alu instid0(VALU_DEP_2) | instskip(SKIP_1) | instid1(VALU_DEP_1)
	v_cmp_lt_u64_e32 vcc_lo, 0xffffff, v[22:23]
	v_add_nc_u32_e32 v0, 7, v6
	v_cndmask_b32_e32 v0, v5, v0, vcc_lo
	v_cndmask_b32_e64 v5, 0, 1, vcc_lo
	s_delay_alu instid0(VALU_DEP_1)
	v_lshrrev_b64 v[22:23], v5, v[22:23]
; %bb.8828:                             ;   in Loop: Header=BB6_6801 Depth=2
	s_and_not1_saveexec_b32 s7, s7
; %bb.8829:                             ;   in Loop: Header=BB6_6801 Depth=2
	s_delay_alu instid0(VALU_DEP_1)
	v_bfe_u32 v0, v22, 23, 1
; %bb.8830:                             ;   in Loop: Header=BB6_6801 Depth=2
	s_or_b32 exec_lo, exec_lo, s7
	s_delay_alu instid0(VALU_DEP_2) | instskip(NEXT) | instid1(VALU_DEP_2)
	v_lshrrev_b64 v[6:7], 20, v[22:23]
	v_cmp_gt_i32_e32 vcc_lo, 16, v0
	v_min_i32_e32 v5, 15, v0
	v_cmp_eq_u32_e64 s7, 0, v0
	s_delay_alu instid0(VALU_DEP_2) | instskip(SKIP_1) | instid1(VALU_DEP_2)
	v_dual_cndmask_b32 v7, 0, v7, vcc_lo :: v_dual_lshlrev_b32 v5, 3, v5
	v_cndmask_b32_e32 v6, 7, v6, vcc_lo
	v_and_b32_e32 v5, 0xf8, v5
	s_delay_alu instid0(VALU_DEP_2) | instskip(NEXT) | instid1(VALU_DEP_2)
	v_cmp_eq_u64_e32 vcc_lo, 0, v[6:7]
	v_and_or_b32 v0, v6, 7, v5
	s_and_b32 s7, s7, vcc_lo
	s_delay_alu instid0(VALU_DEP_1) | instid1(SALU_CYCLE_1)
	v_cndmask_b32_e64 v0, v0, 0, s7
	s_delay_alu instid0(VALU_DEP_1)
	v_or_b32_e32 v0, v0, v1
.LBB6_8831:                             ;   in Loop: Header=BB6_6801 Depth=2
	s_or_b32 exec_lo, exec_lo, s41
                                        ; implicit-def: $vgpr1
.LBB6_8832:                             ;   in Loop: Header=BB6_6801 Depth=2
	s_and_not1_saveexec_b32 s7, s40
; %bb.8833:                             ;   in Loop: Header=BB6_6801 Depth=2
	v_or_b32_e32 v0, 0x7e, v1
; %bb.8834:                             ;   in Loop: Header=BB6_6801 Depth=2
	s_or_b32 exec_lo, exec_lo, s7
                                        ; implicit-def: $vgpr1
.LBB6_8835:                             ;   in Loop: Header=BB6_6801 Depth=2
	s_and_not1_saveexec_b32 s7, s29
; %bb.8836:                             ;   in Loop: Header=BB6_6801 Depth=2
	v_or_b32_e32 v0, 0x7f, v1
; %bb.8837:                             ;   in Loop: Header=BB6_6801 Depth=2
	s_or_b32 exec_lo, exec_lo, s7
	v_lshrrev_b16 v6, 8, v4
	v_dual_mov_b32 v1, 0 :: v_dual_mov_b32 v5, 0
	s_mov_b32 s7, exec_lo
	s_delay_alu instid0(VALU_DEP_2)
	v_cmpx_ne_u16_e32 0, v6
	s_cbranch_execz .LBB6_8845
; %bb.8838:                             ;   in Loop: Header=BB6_6801 Depth=2
	v_bfrev_b32_e32 v5, 1
	s_mov_b32 s29, exec_lo
	v_cmpx_ne_u16_e32 0x80, v6
	s_cbranch_execz .LBB6_8844
; %bb.8839:                             ;   in Loop: Header=BB6_6801 Depth=2
	v_and_b32_e32 v7, 0xffff, v6
	v_mov_b32_e32 v5, 0x7f800001
	s_mov_b32 s40, exec_lo
	s_delay_alu instid0(VALU_DEP_2) | instskip(NEXT) | instid1(VALU_DEP_1)
	v_and_b32_e32 v6, 0x7f, v7
	v_cmpx_ne_u32_e32 0x7f, v6
	s_cbranch_execz .LBB6_8843
; %bb.8840:                             ;   in Loop: Header=BB6_6801 Depth=2
	v_dual_mov_b32 v23, v53 :: v_dual_bitop2_b32 v22, 7, v7 bitop3:0x40
	v_lshrrev_b32_e32 v5, 3, v6
	s_mov_b32 s41, exec_lo
	v_cmpx_gt_u32_e32 8, v6
; %bb.8841:                             ;   in Loop: Header=BB6_6801 Depth=2
	s_delay_alu instid0(VALU_DEP_3) | instskip(NEXT) | instid1(VALU_DEP_1)
	v_clz_i32_u32_e32 v5, v22
	v_min_u32_e32 v5, 32, v5
	s_delay_alu instid0(VALU_DEP_1) | instskip(NEXT) | instid1(VALU_DEP_1)
	v_subrev_nc_u32_e32 v6, 28, v5
	v_lshlrev_b64_e32 v[6:7], v6, v[22:23]
	s_delay_alu instid0(VALU_DEP_1)
	v_dual_sub_nc_u32 v5, 29, v5 :: v_dual_bitop2_b32 v22, 7, v6 bitop3:0x40
; %bb.8842:                             ;   in Loop: Header=BB6_6801 Depth=2
	s_or_b32 exec_lo, exec_lo, s41
	s_delay_alu instid0(VALU_DEP_1) | instskip(NEXT) | instid1(VALU_DEP_2)
	v_dual_lshlrev_b32 v4, 16, v4 :: v_dual_lshlrev_b32 v6, 20, v22
	v_lshl_add_u32 v5, v5, 23, 0x3c000000
	s_delay_alu instid0(VALU_DEP_2) | instskip(NEXT) | instid1(VALU_DEP_1)
	v_and_b32_e32 v4, 0x80000000, v4
	v_or3_b32 v5, v6, v4, v5
.LBB6_8843:                             ;   in Loop: Header=BB6_6801 Depth=2
	s_or_b32 exec_lo, exec_lo, s40
.LBB6_8844:                             ;   in Loop: Header=BB6_6801 Depth=2
	s_delay_alu instid0(SALU_CYCLE_1)
	s_or_b32 exec_lo, exec_lo, s29
.LBB6_8845:                             ;   in Loop: Header=BB6_6801 Depth=2
	s_delay_alu instid0(SALU_CYCLE_1) | instskip(SKIP_2) | instid1(VALU_DEP_1)
	s_or_b32 exec_lo, exec_lo, s7
	v_lshrrev_b16 v4, 8, v18
	s_mov_b32 s7, exec_lo
	v_cmpx_ne_u16_e32 0, v4
	s_cbranch_execz .LBB6_8853
; %bb.8846:                             ;   in Loop: Header=BB6_6801 Depth=2
	v_bfrev_b32_e32 v1, 1
	s_mov_b32 s29, exec_lo
	v_cmpx_ne_u16_e32 0x80, v4
	s_cbranch_execz .LBB6_8852
; %bb.8847:                             ;   in Loop: Header=BB6_6801 Depth=2
	v_and_b32_e32 v6, 0xffff, v4
	v_mov_b32_e32 v1, 0x7f800001
	s_mov_b32 s40, exec_lo
	s_delay_alu instid0(VALU_DEP_2) | instskip(NEXT) | instid1(VALU_DEP_1)
	v_and_b32_e32 v4, 0x7f, v6
	v_cmpx_ne_u32_e32 0x7f, v4
	s_cbranch_execz .LBB6_8851
; %bb.8848:                             ;   in Loop: Header=BB6_6801 Depth=2
	v_dual_mov_b32 v23, v53 :: v_dual_bitop2_b32 v22, 7, v6 bitop3:0x40
	v_lshrrev_b32_e32 v1, 3, v4
	s_mov_b32 s41, exec_lo
	v_cmpx_gt_u32_e32 8, v4
; %bb.8849:                             ;   in Loop: Header=BB6_6801 Depth=2
	s_delay_alu instid0(VALU_DEP_3) | instskip(NEXT) | instid1(VALU_DEP_1)
	v_clz_i32_u32_e32 v1, v22
	v_min_u32_e32 v1, 32, v1
	s_delay_alu instid0(VALU_DEP_1) | instskip(NEXT) | instid1(VALU_DEP_1)
	v_subrev_nc_u32_e32 v4, 28, v1
	v_lshlrev_b64_e32 v[6:7], v4, v[22:23]
	s_delay_alu instid0(VALU_DEP_1)
	v_dual_sub_nc_u32 v1, 29, v1 :: v_dual_bitop2_b32 v22, 7, v6 bitop3:0x40
; %bb.8850:                             ;   in Loop: Header=BB6_6801 Depth=2
	s_or_b32 exec_lo, exec_lo, s41
	v_lshlrev_b32_e32 v4, 16, v18
	s_delay_alu instid0(VALU_DEP_2) | instskip(NEXT) | instid1(VALU_DEP_3)
	v_lshlrev_b32_e32 v6, 20, v22
	v_lshl_add_u32 v1, v1, 23, 0x3c000000
	s_delay_alu instid0(VALU_DEP_3) | instskip(NEXT) | instid1(VALU_DEP_1)
	v_and_b32_e32 v4, 0x80000000, v4
	v_or3_b32 v1, v6, v4, v1
.LBB6_8851:                             ;   in Loop: Header=BB6_6801 Depth=2
	s_or_b32 exec_lo, exec_lo, s40
.LBB6_8852:                             ;   in Loop: Header=BB6_6801 Depth=2
	s_delay_alu instid0(SALU_CYCLE_1)
	s_or_b32 exec_lo, exec_lo, s29
.LBB6_8853:                             ;   in Loop: Header=BB6_6801 Depth=2
	s_delay_alu instid0(SALU_CYCLE_1) | instskip(NEXT) | instid1(VALU_DEP_1)
	s_or_b32 exec_lo, exec_lo, s7
	v_add_f32_e32 v5, v5, v1
	v_mov_b32_e32 v7, v53
                                        ; implicit-def: $vgpr1
	s_mov_b32 s7, exec_lo
	s_delay_alu instid0(VALU_DEP_2) | instskip(SKIP_1) | instid1(VALU_DEP_2)
	v_and_b32_e32 v6, 0x7f800000, v5
	v_lshrrev_b32_e32 v4, 24, v5
	v_cmpx_ne_u64_e32 0x7f800000, v[6:7]
	s_xor_b32 s29, exec_lo, s7
	s_cbranch_execz .LBB6_8867
; %bb.8854:                             ;   in Loop: Header=BB6_6801 Depth=2
	v_and_b32_e32 v6, 0x7fffffff, v5
	v_mov_b32_e32 v7, v53
	v_and_b32_e32 v4, 0x80, v4
                                        ; implicit-def: $vgpr1
	s_mov_b32 s7, exec_lo
	s_delay_alu instid0(VALU_DEP_2)
	v_cmpx_gt_u64_e32 0x43e00001, v[6:7]
	s_xor_b32 s40, exec_lo, s7
	s_cbranch_execz .LBB6_8864
; %bb.8855:                             ;   in Loop: Header=BB6_6801 Depth=2
	v_mov_b32_e32 v1, 0
	s_mov_b32 s41, exec_lo
	v_cmpx_ne_u32_e32 0, v5
	s_cbranch_execz .LBB6_8863
; %bb.8856:                             ;   in Loop: Header=BB6_6801 Depth=2
	v_and_b32_e32 v6, 0x7fffff, v5
	v_bfe_u32 v1, v5, 23, 8
	s_delay_alu instid0(VALU_DEP_2) | instskip(NEXT) | instid1(VALU_DEP_2)
	v_or_b32_e32 v7, 0x800000, v6
	v_cmp_eq_u32_e32 vcc_lo, 0, v1
	v_cmp_gt_u32_e64 s7, 0x7a, v1
	s_delay_alu instid0(VALU_DEP_3) | instskip(NEXT) | instid1(VALU_DEP_1)
	v_dual_cndmask_b32 v6, v7, v6 :: v_dual_sub_nc_u32 v5, 0x79, v1
	v_dual_mov_b32 v7, v53 :: v_dual_cndmask_b32 v5, 0, v5, s7
	s_delay_alu instid0(VALU_DEP_1) | instskip(NEXT) | instid1(VALU_DEP_1)
	v_cndmask_b32_e64 v5, v5, 0x78, vcc_lo
	v_dual_add_nc_u32 v8, 20, v5 :: v_dual_add_nc_u32 v22, 19, v5
	s_delay_alu instid0(VALU_DEP_1) | instskip(NEXT) | instid1(VALU_DEP_2)
	v_lshlrev_b64_e64 v[8:9], v8, -1
	v_lshlrev_b64_e64 v[22:23], v22, 1
	s_delay_alu instid0(VALU_DEP_2) | instskip(NEXT) | instid1(VALU_DEP_3)
	v_bfi_b32 v9, v9, 0, 0
	v_bfi_b32 v8, v8, 0, v6
	s_delay_alu instid0(VALU_DEP_1) | instskip(SKIP_1) | instid1(VALU_DEP_1)
	v_cmp_eq_u64_e64 s7, v[8:9], v[22:23]
	v_lshrrev_b64 v[22:23], v5, v[6:7]
	v_mov_b64_e32 v[24:25], v[22:23]
	s_and_saveexec_b32 s42, s7
; %bb.8857:                             ;   in Loop: Header=BB6_6801 Depth=2
	v_bfe_u32 v6, v22, 20, 1
	v_mov_b32_e32 v7, v53
	s_delay_alu instid0(VALU_DEP_1) | instskip(NEXT) | instid1(VALU_DEP_1)
	v_add_nc_u64_e32 v[6:7], v[22:23], v[6:7]
	v_add_nc_u64_e32 v[24:25], -1, v[6:7]
; %bb.8858:                             ;   in Loop: Header=BB6_6801 Depth=2
	s_or_b32 exec_lo, exec_lo, s42
	v_add_nc_u32_e32 v1, 0xffffff81, v1
	v_lshrrev_b32_e32 v6, 23, v22
	s_mov_b32 s7, exec_lo
	v_mov_b32_e32 v23, v53
	s_delay_alu instid0(VALU_DEP_3) | instskip(NEXT) | instid1(VALU_DEP_1)
	v_cndmask_b32_e64 v1, v1, 0xffffff82, vcc_lo
	v_add3_u32 v6, v5, v1, v6
	v_and_b32_e32 v1, 0xfffff, v24
	s_delay_alu instid0(VALU_DEP_2) | instskip(NEXT) | instid1(VALU_DEP_2)
	v_add_nc_u32_e32 v5, 6, v6
	v_add_nc_u32_e32 v22, v1, v22
                                        ; implicit-def: $vgpr1
	s_delay_alu instid0(VALU_DEP_2)
	v_cmpx_ne_u32_e32 0, v5
	s_xor_b32 s7, exec_lo, s7
; %bb.8859:                             ;   in Loop: Header=BB6_6801 Depth=2
	s_delay_alu instid0(VALU_DEP_2) | instskip(SKIP_1) | instid1(VALU_DEP_1)
	v_cmp_lt_u64_e32 vcc_lo, 0xffffff, v[22:23]
	v_add_nc_u32_e32 v1, 7, v6
	v_cndmask_b32_e32 v1, v5, v1, vcc_lo
	v_cndmask_b32_e64 v5, 0, 1, vcc_lo
	s_delay_alu instid0(VALU_DEP_1)
	v_lshrrev_b64 v[22:23], v5, v[22:23]
; %bb.8860:                             ;   in Loop: Header=BB6_6801 Depth=2
	s_and_not1_saveexec_b32 s7, s7
; %bb.8861:                             ;   in Loop: Header=BB6_6801 Depth=2
	s_delay_alu instid0(VALU_DEP_1)
	v_bfe_u32 v1, v22, 23, 1
; %bb.8862:                             ;   in Loop: Header=BB6_6801 Depth=2
	s_or_b32 exec_lo, exec_lo, s7
	s_delay_alu instid0(VALU_DEP_2) | instskip(NEXT) | instid1(VALU_DEP_2)
	v_lshrrev_b64 v[6:7], 20, v[22:23]
	v_cmp_gt_i32_e32 vcc_lo, 16, v1
	v_min_i32_e32 v5, 15, v1
	v_cmp_eq_u32_e64 s7, 0, v1
	s_delay_alu instid0(VALU_DEP_2) | instskip(SKIP_1) | instid1(VALU_DEP_2)
	v_dual_cndmask_b32 v7, 0, v7, vcc_lo :: v_dual_lshlrev_b32 v5, 3, v5
	v_cndmask_b32_e32 v6, 7, v6, vcc_lo
	v_and_b32_e32 v5, 0xf8, v5
	s_delay_alu instid0(VALU_DEP_2) | instskip(NEXT) | instid1(VALU_DEP_2)
	v_cmp_eq_u64_e32 vcc_lo, 0, v[6:7]
	v_and_or_b32 v1, v6, 7, v5
	s_and_b32 s7, s7, vcc_lo
	s_delay_alu instid0(VALU_DEP_1) | instid1(SALU_CYCLE_1)
	v_cndmask_b32_e64 v1, v1, 0, s7
	s_delay_alu instid0(VALU_DEP_1)
	v_or_b32_e32 v1, v1, v4
.LBB6_8863:                             ;   in Loop: Header=BB6_6801 Depth=2
	s_or_b32 exec_lo, exec_lo, s41
                                        ; implicit-def: $vgpr4
.LBB6_8864:                             ;   in Loop: Header=BB6_6801 Depth=2
	s_and_not1_saveexec_b32 s7, s40
; %bb.8865:                             ;   in Loop: Header=BB6_6801 Depth=2
	v_or_b32_e32 v1, 0x7e, v4
; %bb.8866:                             ;   in Loop: Header=BB6_6801 Depth=2
	s_or_b32 exec_lo, exec_lo, s7
                                        ; implicit-def: $vgpr4
.LBB6_8867:                             ;   in Loop: Header=BB6_6801 Depth=2
	s_and_not1_saveexec_b32 s7, s29
; %bb.8868:                             ;   in Loop: Header=BB6_6801 Depth=2
	v_or_b32_e32 v1, 0x7f, v4
; %bb.8869:                             ;   in Loop: Header=BB6_6801 Depth=2
	s_or_b32 exec_lo, exec_lo, s7
	v_dual_lshrrev_b32 v6, 16, v52 :: v_dual_mov_b32 v4, 0
	v_mov_b32_e32 v5, 0
	s_mov_b32 s7, exec_lo
	s_delay_alu instid0(VALU_DEP_2) | instskip(NEXT) | instid1(VALU_DEP_1)
	v_and_b32_e32 v7, 0xff, v6
	v_cmpx_ne_u16_e32 0, v7
	s_cbranch_execz .LBB6_8877
; %bb.8870:                             ;   in Loop: Header=BB6_6801 Depth=2
	v_bfrev_b32_e32 v5, 1
	s_mov_b32 s29, exec_lo
	v_cmpx_ne_u16_e32 0x80, v7
	s_cbranch_execz .LBB6_8876
; %bb.8871:                             ;   in Loop: Header=BB6_6801 Depth=2
	v_bfe_u32 v7, v52, 16, 7
	v_mov_b32_e32 v5, 0x7f800001
	s_mov_b32 s40, exec_lo
	s_delay_alu instid0(VALU_DEP_2)
	v_cmpx_ne_u32_e32 0x7f, v7
	s_cbranch_execz .LBB6_8875
; %bb.8872:                             ;   in Loop: Header=BB6_6801 Depth=2
	v_dual_mov_b32 v23, v53 :: v_dual_bitop2_b32 v22, 7, v6 bitop3:0x40
	v_lshrrev_b32_e32 v5, 3, v7
	s_mov_b32 s41, exec_lo
	v_cmpx_gt_u32_e32 8, v7
; %bb.8873:                             ;   in Loop: Header=BB6_6801 Depth=2
	s_delay_alu instid0(VALU_DEP_3) | instskip(NEXT) | instid1(VALU_DEP_1)
	v_clz_i32_u32_e32 v5, v22
	v_min_u32_e32 v5, 32, v5
	s_delay_alu instid0(VALU_DEP_1) | instskip(NEXT) | instid1(VALU_DEP_1)
	v_subrev_nc_u32_e32 v7, 28, v5
	v_lshlrev_b64_e32 v[8:9], v7, v[22:23]
	s_delay_alu instid0(VALU_DEP_1)
	v_dual_sub_nc_u32 v5, 29, v5 :: v_dual_bitop2_b32 v22, 7, v8 bitop3:0x40
; %bb.8874:                             ;   in Loop: Header=BB6_6801 Depth=2
	s_or_b32 exec_lo, exec_lo, s41
	v_lshlrev_b32_e32 v6, 24, v6
	s_delay_alu instid0(VALU_DEP_2) | instskip(NEXT) | instid1(VALU_DEP_3)
	v_lshlrev_b32_e32 v7, 20, v22
	v_lshl_add_u32 v5, v5, 23, 0x3c000000
	s_delay_alu instid0(VALU_DEP_3) | instskip(NEXT) | instid1(VALU_DEP_1)
	v_and_b32_e32 v6, 0x80000000, v6
	v_or3_b32 v5, v7, v6, v5
.LBB6_8875:                             ;   in Loop: Header=BB6_6801 Depth=2
	s_or_b32 exec_lo, exec_lo, s40
.LBB6_8876:                             ;   in Loop: Header=BB6_6801 Depth=2
	s_delay_alu instid0(SALU_CYCLE_1)
	s_or_b32 exec_lo, exec_lo, s29
.LBB6_8877:                             ;   in Loop: Header=BB6_6801 Depth=2
	s_delay_alu instid0(SALU_CYCLE_1) | instskip(SKIP_2) | instid1(VALU_DEP_1)
	s_or_b32 exec_lo, exec_lo, s7
	v_lshrrev_b32_e32 v6, 16, v18
	s_mov_b32 s7, exec_lo
	v_and_b32_e32 v7, 0xff, v6
	s_delay_alu instid0(VALU_DEP_1)
	v_cmpx_ne_u16_e32 0, v7
	s_cbranch_execz .LBB6_8885
; %bb.8878:                             ;   in Loop: Header=BB6_6801 Depth=2
	v_bfrev_b32_e32 v4, 1
	s_mov_b32 s29, exec_lo
	v_cmpx_ne_u16_e32 0x80, v7
	s_cbranch_execz .LBB6_8884
; %bb.8879:                             ;   in Loop: Header=BB6_6801 Depth=2
	v_bfe_u32 v7, v18, 16, 7
	v_mov_b32_e32 v4, 0x7f800001
	s_mov_b32 s40, exec_lo
	s_delay_alu instid0(VALU_DEP_2)
	v_cmpx_ne_u32_e32 0x7f, v7
	s_cbranch_execz .LBB6_8883
; %bb.8880:                             ;   in Loop: Header=BB6_6801 Depth=2
	v_dual_mov_b32 v23, v53 :: v_dual_bitop2_b32 v22, 7, v6 bitop3:0x40
	v_lshrrev_b32_e32 v4, 3, v7
	s_mov_b32 s41, exec_lo
	v_cmpx_gt_u32_e32 8, v7
; %bb.8881:                             ;   in Loop: Header=BB6_6801 Depth=2
	s_delay_alu instid0(VALU_DEP_3) | instskip(NEXT) | instid1(VALU_DEP_1)
	v_clz_i32_u32_e32 v4, v22
	v_min_u32_e32 v4, 32, v4
	s_delay_alu instid0(VALU_DEP_1) | instskip(NEXT) | instid1(VALU_DEP_1)
	v_subrev_nc_u32_e32 v6, 28, v4
	v_lshlrev_b64_e32 v[6:7], v6, v[22:23]
	s_delay_alu instid0(VALU_DEP_1)
	v_dual_sub_nc_u32 v4, 29, v4 :: v_dual_bitop2_b32 v22, 7, v6 bitop3:0x40
; %bb.8882:                             ;   in Loop: Header=BB6_6801 Depth=2
	s_or_b32 exec_lo, exec_lo, s41
	v_lshlrev_b32_e32 v6, 8, v18
	s_delay_alu instid0(VALU_DEP_2) | instskip(NEXT) | instid1(VALU_DEP_3)
	v_lshlrev_b32_e32 v7, 20, v22
	v_lshl_add_u32 v4, v4, 23, 0x3c000000
	s_delay_alu instid0(VALU_DEP_3) | instskip(NEXT) | instid1(VALU_DEP_1)
	v_and_b32_e32 v6, 0x80000000, v6
	v_or3_b32 v4, v7, v6, v4
.LBB6_8883:                             ;   in Loop: Header=BB6_6801 Depth=2
	s_or_b32 exec_lo, exec_lo, s40
.LBB6_8884:                             ;   in Loop: Header=BB6_6801 Depth=2
	s_delay_alu instid0(SALU_CYCLE_1)
	s_or_b32 exec_lo, exec_lo, s29
.LBB6_8885:                             ;   in Loop: Header=BB6_6801 Depth=2
	s_delay_alu instid0(SALU_CYCLE_1) | instskip(NEXT) | instid1(VALU_DEP_1)
	s_or_b32 exec_lo, exec_lo, s7
	v_add_f32_e32 v5, v5, v4
	v_mov_b32_e32 v7, v53
                                        ; implicit-def: $vgpr27
	s_mov_b32 s7, exec_lo
	s_delay_alu instid0(VALU_DEP_2) | instskip(SKIP_1) | instid1(VALU_DEP_2)
	v_and_b32_e32 v6, 0x7f800000, v5
	v_lshrrev_b32_e32 v4, 24, v5
	v_cmpx_ne_u64_e32 0x7f800000, v[6:7]
	s_xor_b32 s29, exec_lo, s7
	s_cbranch_execz .LBB6_8899
; %bb.8886:                             ;   in Loop: Header=BB6_6801 Depth=2
	v_and_b32_e32 v6, 0x7fffffff, v5
	v_mov_b32_e32 v7, v53
	v_and_b32_e32 v4, 0x80, v4
                                        ; implicit-def: $vgpr27
	s_mov_b32 s7, exec_lo
	s_delay_alu instid0(VALU_DEP_2)
	v_cmpx_gt_u64_e32 0x43e00001, v[6:7]
	s_xor_b32 s40, exec_lo, s7
	s_cbranch_execz .LBB6_8896
; %bb.8887:                             ;   in Loop: Header=BB6_6801 Depth=2
	v_mov_b32_e32 v27, 0
	s_mov_b32 s41, exec_lo
	v_cmpx_ne_u32_e32 0, v5
	s_cbranch_execz .LBB6_8895
; %bb.8888:                             ;   in Loop: Header=BB6_6801 Depth=2
	v_and_b32_e32 v7, 0x7fffff, v5
	v_bfe_u32 v5, v5, 23, 8
	v_mov_b32_e32 v9, v53
	s_delay_alu instid0(VALU_DEP_3) | instskip(NEXT) | instid1(VALU_DEP_3)
	v_or_b32_e32 v8, 0x800000, v7
	v_cmp_gt_u32_e64 s7, 0x7a, v5
	v_sub_nc_u32_e32 v6, 0x79, v5
	v_cmp_eq_u32_e32 vcc_lo, 0, v5
	s_delay_alu instid0(VALU_DEP_2) | instskip(NEXT) | instid1(VALU_DEP_1)
	v_dual_cndmask_b32 v6, 0, v6, s7 :: v_dual_cndmask_b32 v8, v8, v7, vcc_lo
	v_cndmask_b32_e64 v6, v6, 0x78, vcc_lo
	s_delay_alu instid0(VALU_DEP_1) | instskip(NEXT) | instid1(VALU_DEP_1)
	v_add_nc_u32_e32 v7, 20, v6
	v_lshlrev_b64_e64 v[22:23], v7, -1
	v_add_nc_u32_e32 v7, 19, v6
	s_delay_alu instid0(VALU_DEP_1) | instskip(NEXT) | instid1(VALU_DEP_3)
	v_lshlrev_b64_e64 v[24:25], v7, 1
	v_bfi_b32 v23, v23, 0, 0
	s_delay_alu instid0(VALU_DEP_4) | instskip(NEXT) | instid1(VALU_DEP_1)
	v_bfi_b32 v22, v22, 0, v8
	v_cmp_eq_u64_e64 s7, v[22:23], v[24:25]
	v_lshrrev_b64 v[22:23], v6, v[8:9]
	s_delay_alu instid0(VALU_DEP_1)
	v_mov_b64_e32 v[24:25], v[22:23]
	s_and_saveexec_b32 s42, s7
; %bb.8889:                             ;   in Loop: Header=BB6_6801 Depth=2
	v_bfe_u32 v8, v22, 20, 1
	v_mov_b32_e32 v9, v53
	s_delay_alu instid0(VALU_DEP_1) | instskip(NEXT) | instid1(VALU_DEP_1)
	v_add_nc_u64_e32 v[8:9], v[22:23], v[8:9]
	v_add_nc_u64_e32 v[24:25], -1, v[8:9]
; %bb.8890:                             ;   in Loop: Header=BB6_6801 Depth=2
	s_or_b32 exec_lo, exec_lo, s42
	v_add_nc_u32_e32 v5, 0xffffff81, v5
	v_lshrrev_b32_e32 v7, 23, v22
	s_mov_b32 s7, exec_lo
	v_mov_b32_e32 v23, v53
	s_delay_alu instid0(VALU_DEP_3) | instskip(NEXT) | instid1(VALU_DEP_1)
	v_cndmask_b32_e64 v5, v5, 0xffffff82, vcc_lo
	v_add3_u32 v7, v6, v5, v7
	v_and_b32_e32 v5, 0xfffff, v24
	s_delay_alu instid0(VALU_DEP_1) | instskip(NEXT) | instid1(VALU_DEP_1)
	v_dual_add_nc_u32 v6, 6, v7 :: v_dual_add_nc_u32 v22, v5, v22
                                        ; implicit-def: $vgpr5
	v_cmpx_ne_u32_e32 0, v6
	s_xor_b32 s7, exec_lo, s7
; %bb.8891:                             ;   in Loop: Header=BB6_6801 Depth=2
	s_delay_alu instid0(VALU_DEP_2) | instskip(SKIP_1) | instid1(VALU_DEP_1)
	v_cmp_lt_u64_e32 vcc_lo, 0xffffff, v[22:23]
	v_add_nc_u32_e32 v5, 7, v7
	v_cndmask_b32_e32 v5, v6, v5, vcc_lo
	v_cndmask_b32_e64 v6, 0, 1, vcc_lo
	s_delay_alu instid0(VALU_DEP_1)
	v_lshrrev_b64 v[22:23], v6, v[22:23]
; %bb.8892:                             ;   in Loop: Header=BB6_6801 Depth=2
	s_and_not1_saveexec_b32 s7, s7
; %bb.8893:                             ;   in Loop: Header=BB6_6801 Depth=2
	s_delay_alu instid0(VALU_DEP_1)
	v_bfe_u32 v5, v22, 23, 1
; %bb.8894:                             ;   in Loop: Header=BB6_6801 Depth=2
	s_or_b32 exec_lo, exec_lo, s7
	s_delay_alu instid0(VALU_DEP_2) | instskip(NEXT) | instid1(VALU_DEP_2)
	v_lshrrev_b64 v[6:7], 20, v[22:23]
	v_cmp_gt_i32_e32 vcc_lo, 16, v5
	v_min_i32_e32 v8, 15, v5
	v_cmp_eq_u32_e64 s7, 0, v5
	s_delay_alu instid0(VALU_DEP_2) | instskip(SKIP_1) | instid1(VALU_DEP_2)
	v_dual_cndmask_b32 v7, 0, v7 :: v_dual_lshlrev_b32 v8, 3, v8
	v_cndmask_b32_e32 v6, 7, v6, vcc_lo
	v_and_b32_e32 v8, 0xf8, v8
	s_delay_alu instid0(VALU_DEP_2) | instskip(NEXT) | instid1(VALU_DEP_2)
	v_cmp_eq_u64_e32 vcc_lo, 0, v[6:7]
	v_and_or_b32 v5, v6, 7, v8
	s_and_b32 s7, s7, vcc_lo
	s_delay_alu instid0(VALU_DEP_1) | instid1(SALU_CYCLE_1)
	v_cndmask_b32_e64 v5, v5, 0, s7
	s_delay_alu instid0(VALU_DEP_1)
	v_or_b32_e32 v27, v5, v4
.LBB6_8895:                             ;   in Loop: Header=BB6_6801 Depth=2
	s_or_b32 exec_lo, exec_lo, s41
                                        ; implicit-def: $vgpr4
.LBB6_8896:                             ;   in Loop: Header=BB6_6801 Depth=2
	s_and_not1_saveexec_b32 s7, s40
; %bb.8897:                             ;   in Loop: Header=BB6_6801 Depth=2
	v_or_b32_e32 v27, 0x7e, v4
; %bb.8898:                             ;   in Loop: Header=BB6_6801 Depth=2
	s_or_b32 exec_lo, exec_lo, s7
                                        ; implicit-def: $vgpr4
.LBB6_8899:                             ;   in Loop: Header=BB6_6801 Depth=2
	s_and_not1_saveexec_b32 s7, s29
; %bb.8900:                             ;   in Loop: Header=BB6_6801 Depth=2
	v_or_b32_e32 v27, 0x7f, v4
; %bb.8901:                             ;   in Loop: Header=BB6_6801 Depth=2
	s_or_b32 exec_lo, exec_lo, s7
	v_dual_mov_b32 v4, 0 :: v_dual_mov_b32 v5, 0
	s_mov_b32 s7, exec_lo
	v_cmpx_lt_u32_e32 0xffffff, v52
	s_cbranch_execz .LBB6_8909
; %bb.8902:                             ;   in Loop: Header=BB6_6801 Depth=2
	v_lshrrev_b32_e32 v6, 24, v52
	v_bfrev_b32_e32 v5, 1
	s_mov_b32 s29, exec_lo
	s_delay_alu instid0(VALU_DEP_2)
	v_cmpx_ne_u32_e32 0x80, v6
	s_cbranch_execz .LBB6_8908
; %bb.8903:                             ;   in Loop: Header=BB6_6801 Depth=2
	v_bfe_u32 v7, v52, 24, 7
	v_mov_b32_e32 v5, 0x7f800001
	s_mov_b32 s40, exec_lo
	s_delay_alu instid0(VALU_DEP_2)
	v_cmpx_ne_u32_e32 0x7f, v7
	s_cbranch_execz .LBB6_8907
; %bb.8904:                             ;   in Loop: Header=BB6_6801 Depth=2
	v_dual_lshrrev_b32 v5, 3, v7 :: v_dual_bitop2_b32 v52, 7, v6 bitop3:0x40
	s_mov_b32 s41, exec_lo
	s_delay_alu instid0(VALU_DEP_1)
	v_mov_b64_e32 v[22:23], v[52:53]
	v_cmpx_gt_u32_e32 8, v7
; %bb.8905:                             ;   in Loop: Header=BB6_6801 Depth=2
	v_clz_i32_u32_e32 v5, v52
	s_delay_alu instid0(VALU_DEP_1) | instskip(NEXT) | instid1(VALU_DEP_1)
	v_min_u32_e32 v5, 32, v5
	v_subrev_nc_u32_e32 v7, 28, v5
	s_delay_alu instid0(VALU_DEP_1) | instskip(NEXT) | instid1(VALU_DEP_1)
	v_lshlrev_b64_e32 v[8:9], v7, v[52:53]
	v_dual_sub_nc_u32 v5, 29, v5 :: v_dual_bitop2_b32 v22, 7, v8 bitop3:0x40
; %bb.8906:                             ;   in Loop: Header=BB6_6801 Depth=2
	s_or_b32 exec_lo, exec_lo, s41
	v_lshlrev_b32_e32 v6, 24, v6
	s_delay_alu instid0(VALU_DEP_2) | instskip(NEXT) | instid1(VALU_DEP_3)
	v_lshlrev_b32_e32 v7, 20, v22
	v_lshl_add_u32 v5, v5, 23, 0x3c000000
	s_delay_alu instid0(VALU_DEP_3) | instskip(NEXT) | instid1(VALU_DEP_1)
	v_and_b32_e32 v6, 0x80000000, v6
	v_or3_b32 v5, v7, v6, v5
.LBB6_8907:                             ;   in Loop: Header=BB6_6801 Depth=2
	s_or_b32 exec_lo, exec_lo, s40
.LBB6_8908:                             ;   in Loop: Header=BB6_6801 Depth=2
	s_delay_alu instid0(SALU_CYCLE_1)
	s_or_b32 exec_lo, exec_lo, s29
.LBB6_8909:                             ;   in Loop: Header=BB6_6801 Depth=2
	s_delay_alu instid0(SALU_CYCLE_1) | instskip(NEXT) | instid1(SALU_CYCLE_1)
	s_or_b32 exec_lo, exec_lo, s7
	s_mov_b32 s7, exec_lo
	v_cmpx_lt_u32_e32 0xffffff, v18
	s_cbranch_execz .LBB6_8917
; %bb.8910:                             ;   in Loop: Header=BB6_6801 Depth=2
	v_lshrrev_b32_e32 v6, 24, v18
	v_bfrev_b32_e32 v4, 1
	s_mov_b32 s29, exec_lo
	s_delay_alu instid0(VALU_DEP_2)
	v_cmpx_ne_u32_e32 0x80, v6
	s_cbranch_execz .LBB6_8916
; %bb.8911:                             ;   in Loop: Header=BB6_6801 Depth=2
	v_bfe_u32 v7, v18, 24, 7
	v_mov_b32_e32 v4, 0x7f800001
	s_mov_b32 s40, exec_lo
	s_delay_alu instid0(VALU_DEP_2)
	v_cmpx_ne_u32_e32 0x7f, v7
	s_cbranch_execz .LBB6_8915
; %bb.8912:                             ;   in Loop: Header=BB6_6801 Depth=2
	v_dual_lshrrev_b32 v4, 3, v7 :: v_dual_bitop2_b32 v52, 7, v6 bitop3:0x40
	s_mov_b32 s41, exec_lo
	s_delay_alu instid0(VALU_DEP_1)
	v_mov_b64_e32 v[22:23], v[52:53]
	v_cmpx_gt_u32_e32 8, v7
; %bb.8913:                             ;   in Loop: Header=BB6_6801 Depth=2
	v_clz_i32_u32_e32 v4, v52
	s_delay_alu instid0(VALU_DEP_1) | instskip(NEXT) | instid1(VALU_DEP_1)
	v_min_u32_e32 v4, 32, v4
	v_subrev_nc_u32_e32 v7, 28, v4
	v_sub_nc_u32_e32 v4, 29, v4
	s_delay_alu instid0(VALU_DEP_2) | instskip(NEXT) | instid1(VALU_DEP_1)
	v_lshlrev_b64_e32 v[8:9], v7, v[52:53]
	v_and_b32_e32 v22, 7, v8
; %bb.8914:                             ;   in Loop: Header=BB6_6801 Depth=2
	s_or_b32 exec_lo, exec_lo, s41
	v_lshlrev_b32_e32 v6, 24, v6
	s_delay_alu instid0(VALU_DEP_2) | instskip(SKIP_1) | instid1(VALU_DEP_3)
	v_lshlrev_b32_e32 v7, 20, v22
	v_lshl_add_u32 v4, v4, 23, 0x3c000000
	v_and_b32_e32 v6, 0x80000000, v6
	s_delay_alu instid0(VALU_DEP_1)
	v_or3_b32 v4, v7, v6, v4
.LBB6_8915:                             ;   in Loop: Header=BB6_6801 Depth=2
	s_or_b32 exec_lo, exec_lo, s40
.LBB6_8916:                             ;   in Loop: Header=BB6_6801 Depth=2
	s_delay_alu instid0(SALU_CYCLE_1)
	s_or_b32 exec_lo, exec_lo, s29
.LBB6_8917:                             ;   in Loop: Header=BB6_6801 Depth=2
	s_delay_alu instid0(SALU_CYCLE_1) | instskip(NEXT) | instid1(VALU_DEP_1)
	s_or_b32 exec_lo, exec_lo, s7
	v_add_f32_e32 v5, v5, v4
                                        ; implicit-def: $vgpr64
	s_mov_b32 s7, exec_lo
	s_delay_alu instid0(VALU_DEP_1) | instskip(SKIP_1) | instid1(VALU_DEP_2)
	v_and_b32_e32 v52, 0x7f800000, v5
	v_lshrrev_b32_e32 v4, 24, v5
	v_cmpx_ne_u64_e32 0x7f800000, v[52:53]
	s_xor_b32 s29, exec_lo, s7
	s_cbranch_execz .LBB6_8931
; %bb.8918:                             ;   in Loop: Header=BB6_6801 Depth=2
	v_and_b32_e32 v52, 0x7fffffff, v5
	v_and_b32_e32 v4, 0x80, v4
                                        ; implicit-def: $vgpr64
	s_mov_b32 s7, exec_lo
	s_delay_alu instid0(VALU_DEP_2)
	v_cmpx_gt_u64_e32 0x43e00001, v[52:53]
	s_xor_b32 s40, exec_lo, s7
	s_cbranch_execz .LBB6_8928
; %bb.8919:                             ;   in Loop: Header=BB6_6801 Depth=2
	v_mov_b32_e32 v64, 0
	s_mov_b32 s41, exec_lo
	v_cmpx_ne_u32_e32 0, v5
	s_cbranch_execz .LBB6_8927
; %bb.8920:                             ;   in Loop: Header=BB6_6801 Depth=2
	v_and_b32_e32 v7, 0x7fffff, v5
	v_bfe_u32 v5, v5, 23, 8
	s_delay_alu instid0(VALU_DEP_2) | instskip(NEXT) | instid1(VALU_DEP_2)
	v_or_b32_e32 v8, 0x800000, v7
	v_cmp_gt_u32_e64 s7, 0x7a, v5
	v_sub_nc_u32_e32 v6, 0x79, v5
	v_cmp_eq_u32_e32 vcc_lo, 0, v5
	s_delay_alu instid0(VALU_DEP_2) | instskip(NEXT) | instid1(VALU_DEP_1)
	v_dual_cndmask_b32 v6, 0, v6, s7 :: v_dual_cndmask_b32 v52, v8, v7, vcc_lo
	v_cndmask_b32_e64 v6, v6, 0x78, vcc_lo
	s_delay_alu instid0(VALU_DEP_1) | instskip(NEXT) | instid1(VALU_DEP_1)
	v_add_nc_u32_e32 v7, 20, v6
	v_lshlrev_b64_e64 v[8:9], v7, -1
	v_add_nc_u32_e32 v7, 19, v6
	s_delay_alu instid0(VALU_DEP_1) | instskip(NEXT) | instid1(VALU_DEP_3)
	v_lshlrev_b64_e64 v[22:23], v7, 1
	v_bfi_b32 v9, v9, 0, 0
	s_delay_alu instid0(VALU_DEP_4) | instskip(NEXT) | instid1(VALU_DEP_1)
	v_bfi_b32 v8, v8, 0, v52
	v_cmp_eq_u64_e64 s7, v[8:9], v[22:23]
	v_lshrrev_b64 v[22:23], v6, v[52:53]
	s_delay_alu instid0(VALU_DEP_1)
	v_mov_b64_e32 v[24:25], v[22:23]
	s_and_saveexec_b32 s42, s7
; %bb.8921:                             ;   in Loop: Header=BB6_6801 Depth=2
	v_bfe_u32 v52, v22, 20, 1
	s_delay_alu instid0(VALU_DEP_1) | instskip(NEXT) | instid1(VALU_DEP_1)
	v_add_nc_u64_e32 v[8:9], v[22:23], v[52:53]
	v_add_nc_u64_e32 v[24:25], -1, v[8:9]
; %bb.8922:                             ;   in Loop: Header=BB6_6801 Depth=2
	s_or_b32 exec_lo, exec_lo, s42
	v_add_nc_u32_e32 v5, 0xffffff81, v5
	v_lshrrev_b32_e32 v7, 23, v22
	s_mov_b32 s7, exec_lo
	s_delay_alu instid0(VALU_DEP_2) | instskip(NEXT) | instid1(VALU_DEP_1)
	v_cndmask_b32_e64 v5, v5, 0xffffff82, vcc_lo
	v_add3_u32 v7, v6, v5, v7
	v_and_b32_e32 v5, 0xfffff, v24
	s_delay_alu instid0(VALU_DEP_1) | instskip(NEXT) | instid1(VALU_DEP_1)
	v_dual_add_nc_u32 v6, 6, v7 :: v_dual_add_nc_u32 v52, v5, v22
                                        ; implicit-def: $vgpr22_vgpr23
                                        ; implicit-def: $vgpr5
	v_cmpx_ne_u32_e32 0, v6
	s_xor_b32 s7, exec_lo, s7
; %bb.8923:                             ;   in Loop: Header=BB6_6801 Depth=2
	s_delay_alu instid0(VALU_DEP_2) | instskip(SKIP_1) | instid1(VALU_DEP_1)
	v_cmp_lt_u64_e32 vcc_lo, 0xffffff, v[52:53]
	v_add_nc_u32_e32 v5, 7, v7
	v_cndmask_b32_e32 v5, v6, v5, vcc_lo
	v_cndmask_b32_e64 v6, 0, 1, vcc_lo
	s_delay_alu instid0(VALU_DEP_1)
	v_lshrrev_b64 v[22:23], v6, v[52:53]
; %bb.8924:                             ;   in Loop: Header=BB6_6801 Depth=2
	s_and_not1_saveexec_b32 s7, s7
; %bb.8925:                             ;   in Loop: Header=BB6_6801 Depth=2
	v_mov_b64_e32 v[22:23], v[52:53]
	v_bfe_u32 v5, v52, 23, 1
; %bb.8926:                             ;   in Loop: Header=BB6_6801 Depth=2
	s_or_b32 exec_lo, exec_lo, s7
	s_delay_alu instid0(VALU_DEP_2) | instskip(NEXT) | instid1(VALU_DEP_2)
	v_lshrrev_b64 v[6:7], 20, v[22:23]
	v_cmp_gt_i32_e32 vcc_lo, 16, v5
	v_min_i32_e32 v8, 15, v5
	v_cmp_eq_u32_e64 s7, 0, v5
	s_delay_alu instid0(VALU_DEP_2) | instskip(SKIP_1) | instid1(VALU_DEP_2)
	v_dual_cndmask_b32 v7, 0, v7 :: v_dual_lshlrev_b32 v8, 3, v8
	v_cndmask_b32_e32 v6, 7, v6, vcc_lo
	v_and_b32_e32 v8, 0xf8, v8
	s_delay_alu instid0(VALU_DEP_2) | instskip(NEXT) | instid1(VALU_DEP_2)
	v_cmp_eq_u64_e32 vcc_lo, 0, v[6:7]
	v_and_or_b32 v5, v6, 7, v8
	s_and_b32 s7, s7, vcc_lo
	s_delay_alu instid0(VALU_DEP_1) | instid1(SALU_CYCLE_1)
	v_cndmask_b32_e64 v5, v5, 0, s7
	s_delay_alu instid0(VALU_DEP_1)
	v_or_b32_e32 v64, v5, v4
.LBB6_8927:                             ;   in Loop: Header=BB6_6801 Depth=2
	s_or_b32 exec_lo, exec_lo, s41
                                        ; implicit-def: $vgpr4
.LBB6_8928:                             ;   in Loop: Header=BB6_6801 Depth=2
	s_and_not1_saveexec_b32 s7, s40
; %bb.8929:                             ;   in Loop: Header=BB6_6801 Depth=2
	v_or_b32_e32 v64, 0x7e, v4
; %bb.8930:                             ;   in Loop: Header=BB6_6801 Depth=2
	s_or_b32 exec_lo, exec_lo, s7
                                        ; implicit-def: $vgpr4
.LBB6_8931:                             ;   in Loop: Header=BB6_6801 Depth=2
	s_and_not1_saveexec_b32 s7, s29
; %bb.8932:                             ;   in Loop: Header=BB6_6801 Depth=2
	v_or_b32_e32 v64, 0x7f, v4
; %bb.8933:                             ;   in Loop: Header=BB6_6801 Depth=2
	s_or_b32 exec_lo, exec_lo, s7
	v_lshl_or_b32 v4, v125, 8, v124
	v_dual_lshlrev_b32 v5, 16, v26 :: v_dual_lshlrev_b32 v6, 24, v116
	s_mov_b32 s7, exec_lo
	s_delay_alu instid0(VALU_DEP_1)
	v_or3_b32 v52, v5, v6, v4
	v_dual_mov_b32 v5, 0 :: v_dual_mov_b32 v6, 0
	v_cmpx_ne_u32_e32 0, v124
	s_cbranch_execz .LBB6_8939
; %bb.8934:                             ;   in Loop: Header=BB6_6801 Depth=2
	v_bfrev_b32_e32 v6, 1
	s_mov_b32 s29, exec_lo
	v_cmpx_ne_u32_e32 0x80, v124
	s_cbranch_execz .LBB6_8938
; %bb.8935:                             ;   in Loop: Header=BB6_6801 Depth=2
	v_and_b32_e32 v7, 0x7f, v124
	v_mov_b32_e32 v6, 0x7f800001
	s_mov_b32 s40, exec_lo
	s_delay_alu instid0(VALU_DEP_2)
	v_cmpx_ne_u32_e32 0x7f, v7
	s_cbranch_execz .LBB6_8937
; %bb.8936:                             ;   in Loop: Header=BB6_6801 Depth=2
	v_dual_lshrrev_b32 v8, 3, v7 :: v_dual_bitop2_b32 v6, 7, v124 bitop3:0x40
	v_cmp_gt_u32_e32 vcc_lo, 8, v7
	s_delay_alu instid0(VALU_DEP_2) | instskip(NEXT) | instid1(VALU_DEP_1)
	v_clz_i32_u32_e32 v6, v6
	v_min_u32_e32 v6, 32, v6
	s_delay_alu instid0(VALU_DEP_1) | instskip(SKIP_1) | instid1(VALU_DEP_1)
	v_subrev_nc_u32_e32 v7, 28, v6
	v_sub_nc_u32_e32 v6, 29, v6
	v_dual_cndmask_b32 v8, v8, v6, vcc_lo :: v_dual_cndmask_b32 v6, 0, v7, vcc_lo
	s_delay_alu instid0(VALU_DEP_1) | instskip(NEXT) | instid1(VALU_DEP_2)
	v_lshl_add_u32 v8, v8, 23, 0x3c000000
	v_lshlrev_b64_e32 v[6:7], v6, v[52:53]
	v_lshlrev_b32_e32 v7, 24, v52
	s_delay_alu instid0(VALU_DEP_1) | instskip(NEXT) | instid1(VALU_DEP_3)
	v_and_b32_e32 v7, 0x80000000, v7
	v_lshlrev_b32_e32 v6, 20, v6
	s_delay_alu instid0(VALU_DEP_1) | instskip(NEXT) | instid1(VALU_DEP_1)
	v_and_b32_e32 v6, 0x700000, v6
	v_or3_b32 v6, v6, v7, v8
.LBB6_8937:                             ;   in Loop: Header=BB6_6801 Depth=2
	s_or_b32 exec_lo, exec_lo, s40
.LBB6_8938:                             ;   in Loop: Header=BB6_6801 Depth=2
	s_delay_alu instid0(SALU_CYCLE_1)
	s_or_b32 exec_lo, exec_lo, s29
.LBB6_8939:                             ;   in Loop: Header=BB6_6801 Depth=2
	s_delay_alu instid0(SALU_CYCLE_1) | instskip(SKIP_2) | instid1(VALU_DEP_1)
	s_or_b32 exec_lo, exec_lo, s7
	v_and_b32_e32 v7, 0xff, v19
	s_mov_b32 s7, exec_lo
	v_cmpx_ne_u16_e32 0, v7
	s_cbranch_execz .LBB6_8945
; %bb.8940:                             ;   in Loop: Header=BB6_6801 Depth=2
	v_bfrev_b32_e32 v5, 1
	s_mov_b32 s29, exec_lo
	v_cmpx_ne_u16_e32 0x80, v7
	s_cbranch_execz .LBB6_8944
; %bb.8941:                             ;   in Loop: Header=BB6_6801 Depth=2
	v_and_b32_e32 v7, 0x7f, v19
	v_mov_b32_e32 v5, 0x7f800001
	s_mov_b32 s40, exec_lo
	s_delay_alu instid0(VALU_DEP_2)
	v_cmpx_ne_u32_e32 0x7f, v7
	s_cbranch_execz .LBB6_8943
; %bb.8942:                             ;   in Loop: Header=BB6_6801 Depth=2
	v_dual_mov_b32 v8, v19 :: v_dual_bitop2_b32 v5, 7, v19 bitop3:0x40
	v_cmp_gt_u32_e32 vcc_lo, 8, v7
	s_delay_alu instid0(VALU_DEP_2) | instskip(NEXT) | instid1(VALU_DEP_1)
	v_clz_i32_u32_e32 v5, v5
	v_min_u32_e32 v5, 32, v5
	s_delay_alu instid0(VALU_DEP_1) | instskip(SKIP_1) | instid1(VALU_DEP_2)
	v_dual_lshrrev_b32 v22, 3, v7 :: v_dual_sub_nc_u32 v23, 29, v5
	v_subrev_nc_u32_e32 v5, 28, v5
	v_dual_mov_b32 v9, v53 :: v_dual_cndmask_b32 v7, v22, v23, vcc_lo
	s_delay_alu instid0(VALU_DEP_2) | instskip(NEXT) | instid1(VALU_DEP_2)
	v_cndmask_b32_e32 v5, 0, v5, vcc_lo
	v_lshl_add_u32 v7, v7, 23, 0x3c000000
	s_delay_alu instid0(VALU_DEP_2) | instskip(SKIP_1) | instid1(VALU_DEP_1)
	v_lshlrev_b64_e32 v[22:23], v5, v[8:9]
	v_lshlrev_b32_e32 v5, 24, v8
	v_and_b32_e32 v5, 0x80000000, v5
	s_delay_alu instid0(VALU_DEP_3) | instskip(NEXT) | instid1(VALU_DEP_1)
	v_lshlrev_b32_e32 v8, 20, v22
	v_and_b32_e32 v8, 0x700000, v8
	s_delay_alu instid0(VALU_DEP_1)
	v_or3_b32 v5, v8, v5, v7
.LBB6_8943:                             ;   in Loop: Header=BB6_6801 Depth=2
	s_or_b32 exec_lo, exec_lo, s40
.LBB6_8944:                             ;   in Loop: Header=BB6_6801 Depth=2
	s_delay_alu instid0(SALU_CYCLE_1)
	s_or_b32 exec_lo, exec_lo, s29
.LBB6_8945:                             ;   in Loop: Header=BB6_6801 Depth=2
	s_delay_alu instid0(SALU_CYCLE_1) | instskip(NEXT) | instid1(VALU_DEP_1)
	s_or_b32 exec_lo, exec_lo, s7
	v_dual_add_f32 v6, v6, v5 :: v_dual_mov_b32 v9, v53
                                        ; implicit-def: $vgpr26
	s_mov_b32 s7, exec_lo
	s_delay_alu instid0(VALU_DEP_1) | instskip(SKIP_1) | instid1(VALU_DEP_2)
	v_and_b32_e32 v8, 0x7f800000, v6
	v_lshrrev_b32_e32 v5, 24, v6
	v_cmpx_ne_u64_e32 0x7f800000, v[8:9]
	s_xor_b32 s29, exec_lo, s7
	s_cbranch_execz .LBB6_8959
; %bb.8946:                             ;   in Loop: Header=BB6_6801 Depth=2
	v_and_b32_e32 v8, 0x7fffffff, v6
	v_mov_b32_e32 v9, v53
	v_and_b32_e32 v5, 0x80, v5
                                        ; implicit-def: $vgpr26
	s_mov_b32 s7, exec_lo
	s_delay_alu instid0(VALU_DEP_2)
	v_cmpx_gt_u64_e32 0x43e00001, v[8:9]
	s_xor_b32 s40, exec_lo, s7
	s_cbranch_execz .LBB6_8956
; %bb.8947:                             ;   in Loop: Header=BB6_6801 Depth=2
	v_mov_b32_e32 v26, 0
	s_mov_b32 s41, exec_lo
	v_cmpx_ne_u32_e32 0, v6
	s_cbranch_execz .LBB6_8955
; %bb.8948:                             ;   in Loop: Header=BB6_6801 Depth=2
	v_and_b32_e32 v8, 0x7fffff, v6
	v_bfe_u32 v6, v6, 23, 8
	s_delay_alu instid0(VALU_DEP_2) | instskip(NEXT) | instid1(VALU_DEP_2)
	v_or_b32_e32 v9, 0x800000, v8
	v_cmp_eq_u32_e32 vcc_lo, 0, v6
	v_cmp_gt_u32_e64 s7, 0x7a, v6
	s_delay_alu instid0(VALU_DEP_3) | instskip(NEXT) | instid1(VALU_DEP_1)
	v_dual_cndmask_b32 v8, v9, v8 :: v_dual_sub_nc_u32 v7, 0x79, v6
	v_dual_mov_b32 v9, v53 :: v_dual_cndmask_b32 v7, 0, v7, s7
	s_delay_alu instid0(VALU_DEP_1) | instskip(NEXT) | instid1(VALU_DEP_1)
	v_cndmask_b32_e64 v7, v7, 0x78, vcc_lo
	v_dual_add_nc_u32 v22, 20, v7 :: v_dual_add_nc_u32 v24, 19, v7
	s_delay_alu instid0(VALU_DEP_1) | instskip(NEXT) | instid1(VALU_DEP_2)
	v_lshlrev_b64_e64 v[22:23], v22, -1
	v_lshlrev_b64_e64 v[24:25], v24, 1
	s_delay_alu instid0(VALU_DEP_2) | instskip(NEXT) | instid1(VALU_DEP_3)
	v_bfi_b32 v23, v23, 0, 0
	v_bfi_b32 v22, v22, 0, v8
	s_delay_alu instid0(VALU_DEP_1) | instskip(SKIP_1) | instid1(VALU_DEP_1)
	v_cmp_eq_u64_e64 s7, v[22:23], v[24:25]
	v_lshrrev_b64 v[22:23], v7, v[8:9]
	v_mov_b64_e32 v[24:25], v[22:23]
	s_and_saveexec_b32 s42, s7
; %bb.8949:                             ;   in Loop: Header=BB6_6801 Depth=2
	v_bfe_u32 v8, v22, 20, 1
	v_mov_b32_e32 v9, v53
	s_delay_alu instid0(VALU_DEP_1) | instskip(NEXT) | instid1(VALU_DEP_1)
	v_add_nc_u64_e32 v[8:9], v[22:23], v[8:9]
	v_add_nc_u64_e32 v[24:25], -1, v[8:9]
; %bb.8950:                             ;   in Loop: Header=BB6_6801 Depth=2
	s_or_b32 exec_lo, exec_lo, s42
	v_dual_mov_b32 v23, v53 :: v_dual_add_nc_u32 v6, 0xffffff81, v6
	v_lshrrev_b32_e32 v8, 23, v22
	s_mov_b32 s7, exec_lo
	s_delay_alu instid0(VALU_DEP_2) | instskip(NEXT) | instid1(VALU_DEP_1)
	v_cndmask_b32_e64 v6, v6, 0xffffff82, vcc_lo
	v_add3_u32 v8, v7, v6, v8
	v_and_b32_e32 v6, 0xfffff, v24
	s_delay_alu instid0(VALU_DEP_1) | instskip(NEXT) | instid1(VALU_DEP_1)
	v_dual_add_nc_u32 v7, 6, v8 :: v_dual_add_nc_u32 v22, v6, v22
                                        ; implicit-def: $vgpr6
	v_cmpx_ne_u32_e32 0, v7
	s_xor_b32 s7, exec_lo, s7
; %bb.8951:                             ;   in Loop: Header=BB6_6801 Depth=2
	s_delay_alu instid0(VALU_DEP_2) | instskip(SKIP_1) | instid1(VALU_DEP_1)
	v_cmp_lt_u64_e32 vcc_lo, 0xffffff, v[22:23]
	v_add_nc_u32_e32 v6, 7, v8
	v_cndmask_b32_e32 v6, v7, v6, vcc_lo
	v_cndmask_b32_e64 v7, 0, 1, vcc_lo
	s_delay_alu instid0(VALU_DEP_1)
	v_lshrrev_b64 v[22:23], v7, v[22:23]
; %bb.8952:                             ;   in Loop: Header=BB6_6801 Depth=2
	s_and_not1_saveexec_b32 s7, s7
; %bb.8953:                             ;   in Loop: Header=BB6_6801 Depth=2
	s_delay_alu instid0(VALU_DEP_1)
	v_bfe_u32 v6, v22, 23, 1
; %bb.8954:                             ;   in Loop: Header=BB6_6801 Depth=2
	s_or_b32 exec_lo, exec_lo, s7
	s_delay_alu instid0(VALU_DEP_2) | instskip(NEXT) | instid1(VALU_DEP_2)
	v_lshrrev_b64 v[8:9], 20, v[22:23]
	v_cmp_gt_i32_e32 vcc_lo, 16, v6
	v_min_i32_e32 v7, 15, v6
	v_cmp_eq_u32_e64 s7, 0, v6
	s_delay_alu instid0(VALU_DEP_2) | instskip(SKIP_1) | instid1(VALU_DEP_2)
	v_dual_cndmask_b32 v9, 0, v9, vcc_lo :: v_dual_lshlrev_b32 v7, 3, v7
	v_cndmask_b32_e32 v8, 7, v8, vcc_lo
	v_and_b32_e32 v7, 0xf8, v7
	s_delay_alu instid0(VALU_DEP_2) | instskip(NEXT) | instid1(VALU_DEP_2)
	v_cmp_eq_u64_e32 vcc_lo, 0, v[8:9]
	v_and_or_b32 v6, v8, 7, v7
	s_and_b32 s7, s7, vcc_lo
	s_delay_alu instid0(VALU_DEP_1) | instid1(SALU_CYCLE_1)
	v_cndmask_b32_e64 v6, v6, 0, s7
	s_delay_alu instid0(VALU_DEP_1)
	v_or_b32_e32 v26, v6, v5
.LBB6_8955:                             ;   in Loop: Header=BB6_6801 Depth=2
	s_or_b32 exec_lo, exec_lo, s41
                                        ; implicit-def: $vgpr5
.LBB6_8956:                             ;   in Loop: Header=BB6_6801 Depth=2
	s_and_not1_saveexec_b32 s7, s40
; %bb.8957:                             ;   in Loop: Header=BB6_6801 Depth=2
	v_or_b32_e32 v26, 0x7e, v5
; %bb.8958:                             ;   in Loop: Header=BB6_6801 Depth=2
	s_or_b32 exec_lo, exec_lo, s7
                                        ; implicit-def: $vgpr5
.LBB6_8959:                             ;   in Loop: Header=BB6_6801 Depth=2
	s_and_not1_saveexec_b32 s7, s29
; %bb.8960:                             ;   in Loop: Header=BB6_6801 Depth=2
	v_or_b32_e32 v26, 0x7f, v5
; %bb.8961:                             ;   in Loop: Header=BB6_6801 Depth=2
	s_or_b32 exec_lo, exec_lo, s7
	v_lshrrev_b16 v7, 8, v4
	v_dual_mov_b32 v5, 0 :: v_dual_mov_b32 v6, 0
	s_mov_b32 s7, exec_lo
	s_delay_alu instid0(VALU_DEP_2)
	v_cmpx_ne_u16_e32 0, v7
	s_cbranch_execz .LBB6_8969
; %bb.8962:                             ;   in Loop: Header=BB6_6801 Depth=2
	v_bfrev_b32_e32 v6, 1
	s_mov_b32 s29, exec_lo
	v_cmpx_ne_u16_e32 0x80, v7
	s_cbranch_execz .LBB6_8968
; %bb.8963:                             ;   in Loop: Header=BB6_6801 Depth=2
	v_and_b32_e32 v8, 0xffff, v7
	v_mov_b32_e32 v6, 0x7f800001
	s_mov_b32 s40, exec_lo
	s_delay_alu instid0(VALU_DEP_2) | instskip(NEXT) | instid1(VALU_DEP_1)
	v_and_b32_e32 v7, 0x7f, v8
	v_cmpx_ne_u32_e32 0x7f, v7
	s_cbranch_execz .LBB6_8967
; %bb.8964:                             ;   in Loop: Header=BB6_6801 Depth=2
	v_dual_mov_b32 v23, v53 :: v_dual_bitop2_b32 v22, 7, v8 bitop3:0x40
	v_lshrrev_b32_e32 v6, 3, v7
	s_mov_b32 s41, exec_lo
	v_cmpx_gt_u32_e32 8, v7
; %bb.8965:                             ;   in Loop: Header=BB6_6801 Depth=2
	s_delay_alu instid0(VALU_DEP_3) | instskip(NEXT) | instid1(VALU_DEP_1)
	v_clz_i32_u32_e32 v6, v22
	v_min_u32_e32 v6, 32, v6
	s_delay_alu instid0(VALU_DEP_1) | instskip(NEXT) | instid1(VALU_DEP_1)
	v_subrev_nc_u32_e32 v7, 28, v6
	v_lshlrev_b64_e32 v[8:9], v7, v[22:23]
	s_delay_alu instid0(VALU_DEP_1)
	v_dual_sub_nc_u32 v6, 29, v6 :: v_dual_bitop2_b32 v22, 7, v8 bitop3:0x40
; %bb.8966:                             ;   in Loop: Header=BB6_6801 Depth=2
	s_or_b32 exec_lo, exec_lo, s41
	s_delay_alu instid0(VALU_DEP_1) | instskip(NEXT) | instid1(VALU_DEP_2)
	v_dual_lshlrev_b32 v4, 16, v4 :: v_dual_lshlrev_b32 v7, 20, v22
	v_lshl_add_u32 v6, v6, 23, 0x3c000000
	s_delay_alu instid0(VALU_DEP_2) | instskip(NEXT) | instid1(VALU_DEP_1)
	v_and_b32_e32 v4, 0x80000000, v4
	v_or3_b32 v6, v7, v4, v6
.LBB6_8967:                             ;   in Loop: Header=BB6_6801 Depth=2
	s_or_b32 exec_lo, exec_lo, s40
.LBB6_8968:                             ;   in Loop: Header=BB6_6801 Depth=2
	s_delay_alu instid0(SALU_CYCLE_1)
	s_or_b32 exec_lo, exec_lo, s29
.LBB6_8969:                             ;   in Loop: Header=BB6_6801 Depth=2
	s_delay_alu instid0(SALU_CYCLE_1) | instskip(SKIP_2) | instid1(VALU_DEP_1)
	s_or_b32 exec_lo, exec_lo, s7
	v_lshrrev_b16 v4, 8, v19
	s_mov_b32 s7, exec_lo
	v_cmpx_ne_u16_e32 0, v4
	s_cbranch_execz .LBB6_8977
; %bb.8970:                             ;   in Loop: Header=BB6_6801 Depth=2
	v_bfrev_b32_e32 v5, 1
	s_mov_b32 s29, exec_lo
	v_cmpx_ne_u16_e32 0x80, v4
	s_cbranch_execz .LBB6_8976
; %bb.8971:                             ;   in Loop: Header=BB6_6801 Depth=2
	v_and_b32_e32 v4, 0xffff, v4
	v_mov_b32_e32 v5, 0x7f800001
	s_mov_b32 s40, exec_lo
	s_delay_alu instid0(VALU_DEP_2) | instskip(NEXT) | instid1(VALU_DEP_1)
	v_and_b32_e32 v7, 0x7f, v4
	v_cmpx_ne_u32_e32 0x7f, v7
	s_cbranch_execz .LBB6_8975
; %bb.8972:                             ;   in Loop: Header=BB6_6801 Depth=2
	v_dual_mov_b32 v23, v53 :: v_dual_bitop2_b32 v22, 7, v4 bitop3:0x40
	v_lshrrev_b32_e32 v4, 3, v7
	s_mov_b32 s41, exec_lo
	v_cmpx_gt_u32_e32 8, v7
; %bb.8973:                             ;   in Loop: Header=BB6_6801 Depth=2
	s_delay_alu instid0(VALU_DEP_3) | instskip(NEXT) | instid1(VALU_DEP_1)
	v_clz_i32_u32_e32 v4, v22
	v_min_u32_e32 v4, 32, v4
	s_delay_alu instid0(VALU_DEP_1) | instskip(SKIP_1) | instid1(VALU_DEP_2)
	v_subrev_nc_u32_e32 v5, 28, v4
	v_sub_nc_u32_e32 v4, 29, v4
	v_lshlrev_b64_e32 v[8:9], v5, v[22:23]
	s_delay_alu instid0(VALU_DEP_1)
	v_and_b32_e32 v22, 7, v8
; %bb.8974:                             ;   in Loop: Header=BB6_6801 Depth=2
	s_or_b32 exec_lo, exec_lo, s41
	s_delay_alu instid0(VALU_DEP_1) | instskip(SKIP_1) | instid1(VALU_DEP_2)
	v_dual_lshlrev_b32 v5, 16, v19 :: v_dual_lshlrev_b32 v7, 20, v22
	v_lshl_add_u32 v4, v4, 23, 0x3c000000
	v_and_b32_e32 v5, 0x80000000, v5
	s_delay_alu instid0(VALU_DEP_1)
	v_or3_b32 v5, v7, v5, v4
.LBB6_8975:                             ;   in Loop: Header=BB6_6801 Depth=2
	s_or_b32 exec_lo, exec_lo, s40
.LBB6_8976:                             ;   in Loop: Header=BB6_6801 Depth=2
	s_delay_alu instid0(SALU_CYCLE_1)
	s_or_b32 exec_lo, exec_lo, s29
.LBB6_8977:                             ;   in Loop: Header=BB6_6801 Depth=2
	s_delay_alu instid0(SALU_CYCLE_1) | instskip(NEXT) | instid1(VALU_DEP_1)
	s_or_b32 exec_lo, exec_lo, s7
	v_dual_add_f32 v6, v6, v5 :: v_dual_mov_b32 v5, v53
	s_delay_alu instid0(VALU_DEP_1) | instskip(NEXT) | instid1(VALU_DEP_1)
	v_and_b32_e32 v4, 0x7f800000, v6
	v_cmp_ne_u64_e32 vcc_lo, 0x7f800000, v[4:5]
	v_lshrrev_b32_e32 v5, 24, v6
                                        ; implicit-def: $vgpr4
	s_and_saveexec_b32 s7, vcc_lo
	s_delay_alu instid0(SALU_CYCLE_1)
	s_xor_b32 s29, exec_lo, s7
	s_cbranch_execz .LBB6_8991
; %bb.8978:                             ;   in Loop: Header=BB6_6801 Depth=2
	v_and_b32_e32 v8, 0x7fffffff, v6
	v_mov_b32_e32 v9, v53
	v_and_b32_e32 v5, 0x80, v5
                                        ; implicit-def: $vgpr4
	s_mov_b32 s7, exec_lo
	s_delay_alu instid0(VALU_DEP_2)
	v_cmpx_gt_u64_e32 0x43e00001, v[8:9]
	s_xor_b32 s40, exec_lo, s7
	s_cbranch_execz .LBB6_8988
; %bb.8979:                             ;   in Loop: Header=BB6_6801 Depth=2
	v_mov_b32_e32 v4, 0
	s_mov_b32 s41, exec_lo
	v_cmpx_ne_u32_e32 0, v6
	s_cbranch_execz .LBB6_8987
; %bb.8980:                             ;   in Loop: Header=BB6_6801 Depth=2
	v_bfe_u32 v4, v6, 23, 8
	v_and_b32_e32 v7, 0x7fffff, v6
	s_delay_alu instid0(VALU_DEP_2) | instskip(SKIP_2) | instid1(VALU_DEP_4)
	v_dual_mov_b32 v9, v53 :: v_dual_sub_nc_u32 v6, 0x79, v4
	v_cmp_gt_u32_e64 s7, 0x7a, v4
	v_cmp_eq_u32_e32 vcc_lo, 0, v4
	v_or_b32_e32 v8, 0x800000, v7
	s_delay_alu instid0(VALU_DEP_1) | instskip(NEXT) | instid1(VALU_DEP_1)
	v_dual_cndmask_b32 v6, 0, v6, s7 :: v_dual_cndmask_b32 v8, v8, v7, vcc_lo
	v_cndmask_b32_e64 v6, v6, 0x78, vcc_lo
	s_delay_alu instid0(VALU_DEP_1) | instskip(NEXT) | instid1(VALU_DEP_1)
	v_add_nc_u32_e32 v7, 20, v6
	v_lshlrev_b64_e64 v[22:23], v7, -1
	v_add_nc_u32_e32 v7, 19, v6
	s_delay_alu instid0(VALU_DEP_1) | instskip(NEXT) | instid1(VALU_DEP_3)
	v_lshlrev_b64_e64 v[24:25], v7, 1
	v_bfi_b32 v23, v23, 0, 0
	s_delay_alu instid0(VALU_DEP_4) | instskip(NEXT) | instid1(VALU_DEP_1)
	v_bfi_b32 v22, v22, 0, v8
	v_cmp_eq_u64_e64 s7, v[22:23], v[24:25]
	v_lshrrev_b64 v[22:23], v6, v[8:9]
	s_delay_alu instid0(VALU_DEP_1)
	v_mov_b64_e32 v[24:25], v[22:23]
	s_and_saveexec_b32 s42, s7
; %bb.8981:                             ;   in Loop: Header=BB6_6801 Depth=2
	v_bfe_u32 v8, v22, 20, 1
	v_mov_b32_e32 v9, v53
	s_delay_alu instid0(VALU_DEP_1) | instskip(NEXT) | instid1(VALU_DEP_1)
	v_add_nc_u64_e32 v[8:9], v[22:23], v[8:9]
	v_add_nc_u64_e32 v[24:25], -1, v[8:9]
; %bb.8982:                             ;   in Loop: Header=BB6_6801 Depth=2
	s_or_b32 exec_lo, exec_lo, s42
	v_dual_mov_b32 v23, v53 :: v_dual_add_nc_u32 v4, 0xffffff81, v4
	v_lshrrev_b32_e32 v7, 23, v22
	s_mov_b32 s7, exec_lo
	s_delay_alu instid0(VALU_DEP_2) | instskip(NEXT) | instid1(VALU_DEP_1)
	v_cndmask_b32_e64 v4, v4, 0xffffff82, vcc_lo
	v_add3_u32 v7, v6, v4, v7
	v_and_b32_e32 v4, 0xfffff, v24
	s_delay_alu instid0(VALU_DEP_1) | instskip(NEXT) | instid1(VALU_DEP_1)
	v_dual_add_nc_u32 v6, 6, v7 :: v_dual_add_nc_u32 v22, v4, v22
                                        ; implicit-def: $vgpr4
	v_cmpx_ne_u32_e32 0, v6
	s_xor_b32 s7, exec_lo, s7
; %bb.8983:                             ;   in Loop: Header=BB6_6801 Depth=2
	s_delay_alu instid0(VALU_DEP_2) | instskip(SKIP_1) | instid1(VALU_DEP_1)
	v_cmp_lt_u64_e32 vcc_lo, 0xffffff, v[22:23]
	v_add_nc_u32_e32 v4, 7, v7
	v_cndmask_b32_e32 v4, v6, v4, vcc_lo
	v_cndmask_b32_e64 v6, 0, 1, vcc_lo
	s_delay_alu instid0(VALU_DEP_1)
	v_lshrrev_b64 v[22:23], v6, v[22:23]
; %bb.8984:                             ;   in Loop: Header=BB6_6801 Depth=2
	s_and_not1_saveexec_b32 s7, s7
; %bb.8985:                             ;   in Loop: Header=BB6_6801 Depth=2
	s_delay_alu instid0(VALU_DEP_1)
	v_bfe_u32 v4, v22, 23, 1
; %bb.8986:                             ;   in Loop: Header=BB6_6801 Depth=2
	s_or_b32 exec_lo, exec_lo, s7
	s_delay_alu instid0(VALU_DEP_2) | instskip(NEXT) | instid1(VALU_DEP_2)
	v_lshrrev_b64 v[6:7], 20, v[22:23]
	v_cmp_gt_i32_e32 vcc_lo, 16, v4
	v_min_i32_e32 v8, 15, v4
	v_cmp_eq_u32_e64 s7, 0, v4
	s_delay_alu instid0(VALU_DEP_2) | instskip(SKIP_1) | instid1(VALU_DEP_2)
	v_dual_cndmask_b32 v7, 0, v7 :: v_dual_lshlrev_b32 v8, 3, v8
	v_cndmask_b32_e32 v6, 7, v6, vcc_lo
	v_and_b32_e32 v8, 0xf8, v8
	s_delay_alu instid0(VALU_DEP_2) | instskip(NEXT) | instid1(VALU_DEP_2)
	v_cmp_eq_u64_e32 vcc_lo, 0, v[6:7]
	v_and_or_b32 v4, v6, 7, v8
	s_and_b32 s7, s7, vcc_lo
	s_delay_alu instid0(VALU_DEP_1) | instid1(SALU_CYCLE_1)
	v_cndmask_b32_e64 v4, v4, 0, s7
	s_delay_alu instid0(VALU_DEP_1)
	v_or_b32_e32 v4, v4, v5
.LBB6_8987:                             ;   in Loop: Header=BB6_6801 Depth=2
	s_or_b32 exec_lo, exec_lo, s41
                                        ; implicit-def: $vgpr5
.LBB6_8988:                             ;   in Loop: Header=BB6_6801 Depth=2
	s_and_not1_saveexec_b32 s7, s40
; %bb.8989:                             ;   in Loop: Header=BB6_6801 Depth=2
	v_or_b32_e32 v4, 0x7e, v5
; %bb.8990:                             ;   in Loop: Header=BB6_6801 Depth=2
	s_or_b32 exec_lo, exec_lo, s7
                                        ; implicit-def: $vgpr5
.LBB6_8991:                             ;   in Loop: Header=BB6_6801 Depth=2
	s_and_not1_saveexec_b32 s7, s29
; %bb.8992:                             ;   in Loop: Header=BB6_6801 Depth=2
	v_or_b32_e32 v4, 0x7f, v5
; %bb.8993:                             ;   in Loop: Header=BB6_6801 Depth=2
	s_or_b32 exec_lo, exec_lo, s7
	v_dual_lshrrev_b32 v7, 16, v52 :: v_dual_mov_b32 v5, 0
	v_mov_b32_e32 v6, 0
	s_mov_b32 s7, exec_lo
	s_delay_alu instid0(VALU_DEP_2) | instskip(NEXT) | instid1(VALU_DEP_1)
	v_and_b32_e32 v8, 0xff, v7
	v_cmpx_ne_u16_e32 0, v8
	s_cbranch_execz .LBB6_9001
; %bb.8994:                             ;   in Loop: Header=BB6_6801 Depth=2
	v_bfrev_b32_e32 v6, 1
	s_mov_b32 s29, exec_lo
	v_cmpx_ne_u16_e32 0x80, v8
	s_cbranch_execz .LBB6_9000
; %bb.8995:                             ;   in Loop: Header=BB6_6801 Depth=2
	v_bfe_u32 v8, v52, 16, 7
	v_mov_b32_e32 v6, 0x7f800001
	s_mov_b32 s40, exec_lo
	s_delay_alu instid0(VALU_DEP_2)
	v_cmpx_ne_u32_e32 0x7f, v8
	s_cbranch_execz .LBB6_8999
; %bb.8996:                             ;   in Loop: Header=BB6_6801 Depth=2
	v_dual_mov_b32 v23, v53 :: v_dual_bitop2_b32 v22, 7, v7 bitop3:0x40
	v_lshrrev_b32_e32 v6, 3, v8
	s_mov_b32 s41, exec_lo
	v_cmpx_gt_u32_e32 8, v8
; %bb.8997:                             ;   in Loop: Header=BB6_6801 Depth=2
	s_delay_alu instid0(VALU_DEP_3) | instskip(NEXT) | instid1(VALU_DEP_1)
	v_clz_i32_u32_e32 v6, v22
	v_min_u32_e32 v6, 32, v6
	s_delay_alu instid0(VALU_DEP_1) | instskip(NEXT) | instid1(VALU_DEP_1)
	v_subrev_nc_u32_e32 v8, 28, v6
	v_lshlrev_b64_e32 v[8:9], v8, v[22:23]
	s_delay_alu instid0(VALU_DEP_1)
	v_dual_sub_nc_u32 v6, 29, v6 :: v_dual_bitop2_b32 v22, 7, v8 bitop3:0x40
; %bb.8998:                             ;   in Loop: Header=BB6_6801 Depth=2
	s_or_b32 exec_lo, exec_lo, s41
	s_delay_alu instid0(VALU_DEP_1) | instskip(NEXT) | instid1(VALU_DEP_2)
	v_dual_lshlrev_b32 v7, 24, v7 :: v_dual_lshlrev_b32 v8, 20, v22
	v_lshl_add_u32 v6, v6, 23, 0x3c000000
	s_delay_alu instid0(VALU_DEP_2) | instskip(NEXT) | instid1(VALU_DEP_1)
	v_and_b32_e32 v7, 0x80000000, v7
	v_or3_b32 v6, v8, v7, v6
.LBB6_8999:                             ;   in Loop: Header=BB6_6801 Depth=2
	s_or_b32 exec_lo, exec_lo, s40
.LBB6_9000:                             ;   in Loop: Header=BB6_6801 Depth=2
	s_delay_alu instid0(SALU_CYCLE_1)
	s_or_b32 exec_lo, exec_lo, s29
.LBB6_9001:                             ;   in Loop: Header=BB6_6801 Depth=2
	s_delay_alu instid0(SALU_CYCLE_1) | instskip(SKIP_2) | instid1(VALU_DEP_1)
	s_or_b32 exec_lo, exec_lo, s7
	v_lshrrev_b32_e32 v7, 16, v19
	s_mov_b32 s7, exec_lo
	v_and_b32_e32 v8, 0xff, v7
	s_delay_alu instid0(VALU_DEP_1)
	v_cmpx_ne_u16_e32 0, v8
	s_cbranch_execz .LBB6_9009
; %bb.9002:                             ;   in Loop: Header=BB6_6801 Depth=2
	v_bfrev_b32_e32 v5, 1
	s_mov_b32 s29, exec_lo
	v_cmpx_ne_u16_e32 0x80, v8
	s_cbranch_execz .LBB6_9008
; %bb.9003:                             ;   in Loop: Header=BB6_6801 Depth=2
	v_bfe_u32 v8, v19, 16, 7
	v_mov_b32_e32 v5, 0x7f800001
	s_mov_b32 s40, exec_lo
	s_delay_alu instid0(VALU_DEP_2)
	v_cmpx_ne_u32_e32 0x7f, v8
	s_cbranch_execz .LBB6_9007
; %bb.9004:                             ;   in Loop: Header=BB6_6801 Depth=2
	v_dual_mov_b32 v23, v53 :: v_dual_bitop2_b32 v22, 7, v7 bitop3:0x40
	v_lshrrev_b32_e32 v5, 3, v8
	s_mov_b32 s41, exec_lo
	v_cmpx_gt_u32_e32 8, v8
; %bb.9005:                             ;   in Loop: Header=BB6_6801 Depth=2
	s_delay_alu instid0(VALU_DEP_3) | instskip(NEXT) | instid1(VALU_DEP_1)
	v_clz_i32_u32_e32 v5, v22
	v_min_u32_e32 v5, 32, v5
	s_delay_alu instid0(VALU_DEP_1) | instskip(NEXT) | instid1(VALU_DEP_1)
	v_subrev_nc_u32_e32 v7, 28, v5
	v_lshlrev_b64_e32 v[8:9], v7, v[22:23]
	s_delay_alu instid0(VALU_DEP_1)
	v_dual_sub_nc_u32 v5, 29, v5 :: v_dual_bitop2_b32 v22, 7, v8 bitop3:0x40
; %bb.9006:                             ;   in Loop: Header=BB6_6801 Depth=2
	s_or_b32 exec_lo, exec_lo, s41
	s_delay_alu instid0(VALU_DEP_1) | instskip(NEXT) | instid1(VALU_DEP_2)
	v_dual_lshlrev_b32 v7, 8, v19 :: v_dual_lshlrev_b32 v8, 20, v22
	v_lshl_add_u32 v5, v5, 23, 0x3c000000
	s_delay_alu instid0(VALU_DEP_2) | instskip(NEXT) | instid1(VALU_DEP_1)
	v_and_b32_e32 v7, 0x80000000, v7
	v_or3_b32 v5, v8, v7, v5
.LBB6_9007:                             ;   in Loop: Header=BB6_6801 Depth=2
	s_or_b32 exec_lo, exec_lo, s40
.LBB6_9008:                             ;   in Loop: Header=BB6_6801 Depth=2
	s_delay_alu instid0(SALU_CYCLE_1)
	s_or_b32 exec_lo, exec_lo, s29
.LBB6_9009:                             ;   in Loop: Header=BB6_6801 Depth=2
	s_delay_alu instid0(SALU_CYCLE_1) | instskip(NEXT) | instid1(VALU_DEP_1)
	s_or_b32 exec_lo, exec_lo, s7
	v_dual_add_f32 v7, v6, v5 :: v_dual_mov_b32 v9, v53
                                        ; implicit-def: $vgpr5
	s_mov_b32 s7, exec_lo
	s_delay_alu instid0(VALU_DEP_1) | instskip(SKIP_1) | instid1(VALU_DEP_2)
	v_and_b32_e32 v8, 0x7f800000, v7
	v_lshrrev_b32_e32 v6, 24, v7
	v_cmpx_ne_u64_e32 0x7f800000, v[8:9]
	s_xor_b32 s29, exec_lo, s7
	s_cbranch_execz .LBB6_9023
; %bb.9010:                             ;   in Loop: Header=BB6_6801 Depth=2
	v_and_b32_e32 v8, 0x7fffffff, v7
	v_mov_b32_e32 v9, v53
	v_and_b32_e32 v6, 0x80, v6
                                        ; implicit-def: $vgpr5
	s_mov_b32 s7, exec_lo
	s_delay_alu instid0(VALU_DEP_2)
	v_cmpx_gt_u64_e32 0x43e00001, v[8:9]
	s_xor_b32 s40, exec_lo, s7
	s_cbranch_execz .LBB6_9020
; %bb.9011:                             ;   in Loop: Header=BB6_6801 Depth=2
	v_mov_b32_e32 v5, 0
	s_mov_b32 s41, exec_lo
	v_cmpx_ne_u32_e32 0, v7
	s_cbranch_execz .LBB6_9019
; %bb.9012:                             ;   in Loop: Header=BB6_6801 Depth=2
	v_and_b32_e32 v8, 0x7fffff, v7
	v_bfe_u32 v5, v7, 23, 8
	s_delay_alu instid0(VALU_DEP_2) | instskip(NEXT) | instid1(VALU_DEP_2)
	v_or_b32_e32 v9, 0x800000, v8
	v_cmp_eq_u32_e32 vcc_lo, 0, v5
	v_cmp_gt_u32_e64 s7, 0x7a, v5
	s_delay_alu instid0(VALU_DEP_3) | instskip(NEXT) | instid1(VALU_DEP_1)
	v_dual_cndmask_b32 v8, v9, v8 :: v_dual_sub_nc_u32 v7, 0x79, v5
	v_dual_mov_b32 v9, v53 :: v_dual_cndmask_b32 v7, 0, v7, s7
	s_delay_alu instid0(VALU_DEP_1) | instskip(NEXT) | instid1(VALU_DEP_1)
	v_cndmask_b32_e64 v7, v7, 0x78, vcc_lo
	v_dual_add_nc_u32 v22, 20, v7 :: v_dual_add_nc_u32 v24, 19, v7
	s_delay_alu instid0(VALU_DEP_1) | instskip(NEXT) | instid1(VALU_DEP_2)
	v_lshlrev_b64_e64 v[22:23], v22, -1
	v_lshlrev_b64_e64 v[24:25], v24, 1
	s_delay_alu instid0(VALU_DEP_2) | instskip(NEXT) | instid1(VALU_DEP_3)
	v_bfi_b32 v23, v23, 0, 0
	v_bfi_b32 v22, v22, 0, v8
	s_delay_alu instid0(VALU_DEP_1) | instskip(SKIP_1) | instid1(VALU_DEP_1)
	v_cmp_eq_u64_e64 s7, v[22:23], v[24:25]
	v_lshrrev_b64 v[22:23], v7, v[8:9]
	v_mov_b64_e32 v[24:25], v[22:23]
	s_and_saveexec_b32 s42, s7
; %bb.9013:                             ;   in Loop: Header=BB6_6801 Depth=2
	v_bfe_u32 v8, v22, 20, 1
	v_mov_b32_e32 v9, v53
	s_delay_alu instid0(VALU_DEP_1) | instskip(NEXT) | instid1(VALU_DEP_1)
	v_add_nc_u64_e32 v[8:9], v[22:23], v[8:9]
	v_add_nc_u64_e32 v[24:25], -1, v[8:9]
; %bb.9014:                             ;   in Loop: Header=BB6_6801 Depth=2
	s_or_b32 exec_lo, exec_lo, s42
	v_add_nc_u32_e32 v5, 0xffffff81, v5
	v_lshrrev_b32_e32 v8, 23, v22
	s_mov_b32 s7, exec_lo
	v_mov_b32_e32 v23, v53
	s_delay_alu instid0(VALU_DEP_3) | instskip(NEXT) | instid1(VALU_DEP_1)
	v_cndmask_b32_e64 v5, v5, 0xffffff82, vcc_lo
	v_add3_u32 v8, v7, v5, v8
	v_and_b32_e32 v5, 0xfffff, v24
	s_delay_alu instid0(VALU_DEP_1) | instskip(NEXT) | instid1(VALU_DEP_1)
	v_dual_add_nc_u32 v7, 6, v8 :: v_dual_add_nc_u32 v22, v5, v22
                                        ; implicit-def: $vgpr5
	v_cmpx_ne_u32_e32 0, v7
	s_xor_b32 s7, exec_lo, s7
; %bb.9015:                             ;   in Loop: Header=BB6_6801 Depth=2
	s_delay_alu instid0(VALU_DEP_2) | instskip(SKIP_1) | instid1(VALU_DEP_1)
	v_cmp_lt_u64_e32 vcc_lo, 0xffffff, v[22:23]
	v_add_nc_u32_e32 v5, 7, v8
	v_cndmask_b32_e32 v5, v7, v5, vcc_lo
	v_cndmask_b32_e64 v7, 0, 1, vcc_lo
	s_delay_alu instid0(VALU_DEP_1)
	v_lshrrev_b64 v[22:23], v7, v[22:23]
; %bb.9016:                             ;   in Loop: Header=BB6_6801 Depth=2
	s_and_not1_saveexec_b32 s7, s7
; %bb.9017:                             ;   in Loop: Header=BB6_6801 Depth=2
	s_delay_alu instid0(VALU_DEP_1)
	v_bfe_u32 v5, v22, 23, 1
; %bb.9018:                             ;   in Loop: Header=BB6_6801 Depth=2
	s_or_b32 exec_lo, exec_lo, s7
	s_delay_alu instid0(VALU_DEP_2) | instskip(NEXT) | instid1(VALU_DEP_2)
	v_lshrrev_b64 v[8:9], 20, v[22:23]
	v_cmp_gt_i32_e32 vcc_lo, 16, v5
	v_min_i32_e32 v7, 15, v5
	v_cmp_eq_u32_e64 s7, 0, v5
	s_delay_alu instid0(VALU_DEP_2) | instskip(SKIP_1) | instid1(VALU_DEP_2)
	v_dual_cndmask_b32 v8, 7, v8 :: v_dual_lshlrev_b32 v7, 3, v7
	v_cndmask_b32_e32 v9, 0, v9, vcc_lo
	v_and_b32_e32 v7, 0xf8, v7
	s_delay_alu instid0(VALU_DEP_2) | instskip(NEXT) | instid1(VALU_DEP_2)
	v_cmp_eq_u64_e32 vcc_lo, 0, v[8:9]
	v_and_or_b32 v5, v8, 7, v7
	s_and_b32 s7, s7, vcc_lo
	s_delay_alu instid0(VALU_DEP_1) | instid1(SALU_CYCLE_1)
	v_cndmask_b32_e64 v5, v5, 0, s7
	s_delay_alu instid0(VALU_DEP_1)
	v_or_b32_e32 v5, v5, v6
.LBB6_9019:                             ;   in Loop: Header=BB6_6801 Depth=2
	s_or_b32 exec_lo, exec_lo, s41
                                        ; implicit-def: $vgpr6
.LBB6_9020:                             ;   in Loop: Header=BB6_6801 Depth=2
	s_and_not1_saveexec_b32 s7, s40
; %bb.9021:                             ;   in Loop: Header=BB6_6801 Depth=2
	v_or_b32_e32 v5, 0x7e, v6
; %bb.9022:                             ;   in Loop: Header=BB6_6801 Depth=2
	s_or_b32 exec_lo, exec_lo, s7
                                        ; implicit-def: $vgpr6
.LBB6_9023:                             ;   in Loop: Header=BB6_6801 Depth=2
	s_and_not1_saveexec_b32 s7, s29
; %bb.9024:                             ;   in Loop: Header=BB6_6801 Depth=2
	v_or_b32_e32 v5, 0x7f, v6
; %bb.9025:                             ;   in Loop: Header=BB6_6801 Depth=2
	s_or_b32 exec_lo, exec_lo, s7
	v_dual_mov_b32 v6, 0 :: v_dual_mov_b32 v7, 0
	s_mov_b32 s7, exec_lo
	v_cmpx_lt_u32_e32 0xffffff, v52
	s_cbranch_execz .LBB6_9033
; %bb.9026:                             ;   in Loop: Header=BB6_6801 Depth=2
	v_lshrrev_b32_e32 v8, 24, v52
	v_bfrev_b32_e32 v7, 1
	s_mov_b32 s29, exec_lo
	s_delay_alu instid0(VALU_DEP_2)
	v_cmpx_ne_u32_e32 0x80, v8
	s_cbranch_execz .LBB6_9032
; %bb.9027:                             ;   in Loop: Header=BB6_6801 Depth=2
	v_bfe_u32 v9, v52, 24, 7
	v_mov_b32_e32 v7, 0x7f800001
	s_mov_b32 s40, exec_lo
	s_delay_alu instid0(VALU_DEP_2)
	v_cmpx_ne_u32_e32 0x7f, v9
	s_cbranch_execz .LBB6_9031
; %bb.9028:                             ;   in Loop: Header=BB6_6801 Depth=2
	v_dual_lshrrev_b32 v7, 3, v9 :: v_dual_bitop2_b32 v52, 7, v8 bitop3:0x40
	s_mov_b32 s41, exec_lo
	s_delay_alu instid0(VALU_DEP_1)
	v_mov_b64_e32 v[22:23], v[52:53]
	v_cmpx_gt_u32_e32 8, v9
; %bb.9029:                             ;   in Loop: Header=BB6_6801 Depth=2
	v_clz_i32_u32_e32 v7, v52
	s_delay_alu instid0(VALU_DEP_1) | instskip(NEXT) | instid1(VALU_DEP_1)
	v_min_u32_e32 v7, 32, v7
	v_subrev_nc_u32_e32 v9, 28, v7
	s_delay_alu instid0(VALU_DEP_1) | instskip(NEXT) | instid1(VALU_DEP_1)
	v_lshlrev_b64_e32 v[22:23], v9, v[52:53]
	v_dual_sub_nc_u32 v7, 29, v7 :: v_dual_bitop2_b32 v22, 7, v22 bitop3:0x40
; %bb.9030:                             ;   in Loop: Header=BB6_6801 Depth=2
	s_or_b32 exec_lo, exec_lo, s41
	s_delay_alu instid0(VALU_DEP_1) | instskip(NEXT) | instid1(VALU_DEP_2)
	v_dual_lshlrev_b32 v8, 24, v8 :: v_dual_lshlrev_b32 v9, 20, v22
	v_lshl_add_u32 v7, v7, 23, 0x3c000000
	s_delay_alu instid0(VALU_DEP_2) | instskip(NEXT) | instid1(VALU_DEP_1)
	v_and_b32_e32 v8, 0x80000000, v8
	v_or3_b32 v7, v9, v8, v7
.LBB6_9031:                             ;   in Loop: Header=BB6_6801 Depth=2
	s_or_b32 exec_lo, exec_lo, s40
.LBB6_9032:                             ;   in Loop: Header=BB6_6801 Depth=2
	s_delay_alu instid0(SALU_CYCLE_1)
	s_or_b32 exec_lo, exec_lo, s29
.LBB6_9033:                             ;   in Loop: Header=BB6_6801 Depth=2
	s_delay_alu instid0(SALU_CYCLE_1) | instskip(NEXT) | instid1(SALU_CYCLE_1)
	s_or_b32 exec_lo, exec_lo, s7
	s_mov_b32 s7, exec_lo
	v_cmpx_lt_u64_e64 s[12:13], v[18:19]
	s_cbranch_execz .LBB6_9041
; %bb.9034:                             ;   in Loop: Header=BB6_6801 Depth=2
	v_lshrrev_b32_e32 v8, 24, v19
	v_bfrev_b32_e32 v6, 1
	s_mov_b32 s29, exec_lo
	s_delay_alu instid0(VALU_DEP_2)
	v_cmpx_ne_u32_e32 0x80, v8
	s_cbranch_execz .LBB6_9040
; %bb.9035:                             ;   in Loop: Header=BB6_6801 Depth=2
	v_bfe_u32 v9, v19, 24, 7
	v_mov_b32_e32 v6, 0x7f800001
	s_mov_b32 s40, exec_lo
	s_delay_alu instid0(VALU_DEP_2)
	v_cmpx_ne_u32_e32 0x7f, v9
	s_cbranch_execz .LBB6_9039
; %bb.9036:                             ;   in Loop: Header=BB6_6801 Depth=2
	v_dual_lshrrev_b32 v6, 3, v9 :: v_dual_bitop2_b32 v52, 7, v8 bitop3:0x40
	s_mov_b32 s41, exec_lo
	s_delay_alu instid0(VALU_DEP_1)
	v_mov_b64_e32 v[18:19], v[52:53]
	v_cmpx_gt_u32_e32 8, v9
; %bb.9037:                             ;   in Loop: Header=BB6_6801 Depth=2
	v_clz_i32_u32_e32 v6, v52
	s_delay_alu instid0(VALU_DEP_1) | instskip(NEXT) | instid1(VALU_DEP_1)
	v_min_u32_e32 v6, 32, v6
	v_subrev_nc_u32_e32 v9, 28, v6
	v_sub_nc_u32_e32 v6, 29, v6
	s_delay_alu instid0(VALU_DEP_2) | instskip(NEXT) | instid1(VALU_DEP_1)
	v_lshlrev_b64_e32 v[18:19], v9, v[52:53]
	v_and_b32_e32 v18, 7, v18
; %bb.9038:                             ;   in Loop: Header=BB6_6801 Depth=2
	s_or_b32 exec_lo, exec_lo, s41
	s_delay_alu instid0(VALU_DEP_1) | instskip(SKIP_1) | instid1(VALU_DEP_2)
	v_dual_lshlrev_b32 v8, 24, v8 :: v_dual_lshlrev_b32 v9, 20, v18
	v_lshl_add_u32 v6, v6, 23, 0x3c000000
	v_and_b32_e32 v8, 0x80000000, v8
	s_delay_alu instid0(VALU_DEP_1)
	v_or3_b32 v6, v9, v8, v6
.LBB6_9039:                             ;   in Loop: Header=BB6_6801 Depth=2
	s_or_b32 exec_lo, exec_lo, s40
.LBB6_9040:                             ;   in Loop: Header=BB6_6801 Depth=2
	s_delay_alu instid0(SALU_CYCLE_1)
	s_or_b32 exec_lo, exec_lo, s29
.LBB6_9041:                             ;   in Loop: Header=BB6_6801 Depth=2
	s_delay_alu instid0(SALU_CYCLE_1) | instskip(NEXT) | instid1(VALU_DEP_1)
	s_or_b32 exec_lo, exec_lo, s7
	v_add_f32_e32 v7, v7, v6
                                        ; implicit-def: $vgpr24
	s_mov_b32 s7, exec_lo
	s_delay_alu instid0(VALU_DEP_1) | instskip(SKIP_1) | instid1(VALU_DEP_2)
	v_and_b32_e32 v52, 0x7f800000, v7
	v_lshrrev_b32_e32 v6, 24, v7
	v_cmpx_ne_u64_e32 0x7f800000, v[52:53]
	s_xor_b32 s29, exec_lo, s7
	s_cbranch_execz .LBB6_9055
; %bb.9042:                             ;   in Loop: Header=BB6_6801 Depth=2
	v_and_b32_e32 v52, 0x7fffffff, v7
	v_and_b32_e32 v6, 0x80, v6
                                        ; implicit-def: $vgpr24
	s_mov_b32 s7, exec_lo
	s_delay_alu instid0(VALU_DEP_2)
	v_cmpx_gt_u64_e32 0x43e00001, v[52:53]
	s_xor_b32 s40, exec_lo, s7
	s_cbranch_execz .LBB6_9052
; %bb.9043:                             ;   in Loop: Header=BB6_6801 Depth=2
	v_mov_b32_e32 v24, 0
	s_mov_b32 s41, exec_lo
	v_cmpx_ne_u32_e32 0, v7
	s_cbranch_execz .LBB6_9051
; %bb.9044:                             ;   in Loop: Header=BB6_6801 Depth=2
	v_and_b32_e32 v9, 0x7fffff, v7
	v_bfe_u32 v7, v7, 23, 8
	s_delay_alu instid0(VALU_DEP_2) | instskip(NEXT) | instid1(VALU_DEP_2)
	v_or_b32_e32 v18, 0x800000, v9
	v_cmp_gt_u32_e64 s7, 0x7a, v7
	v_sub_nc_u32_e32 v8, 0x79, v7
	v_cmp_eq_u32_e32 vcc_lo, 0, v7
	s_delay_alu instid0(VALU_DEP_2) | instskip(NEXT) | instid1(VALU_DEP_1)
	v_dual_cndmask_b32 v8, 0, v8, s7 :: v_dual_cndmask_b32 v52, v18, v9, vcc_lo
	v_cndmask_b32_e64 v8, v8, 0x78, vcc_lo
	s_delay_alu instid0(VALU_DEP_1) | instskip(NEXT) | instid1(VALU_DEP_1)
	v_add_nc_u32_e32 v9, 20, v8
	v_lshlrev_b64_e64 v[18:19], v9, -1
	v_add_nc_u32_e32 v9, 19, v8
	s_delay_alu instid0(VALU_DEP_1) | instskip(NEXT) | instid1(VALU_DEP_3)
	v_lshlrev_b64_e64 v[22:23], v9, 1
	v_bfi_b32 v19, v19, 0, 0
	s_delay_alu instid0(VALU_DEP_4) | instskip(NEXT) | instid1(VALU_DEP_1)
	v_bfi_b32 v18, v18, 0, v52
	v_cmp_eq_u64_e64 s7, v[18:19], v[22:23]
	v_lshrrev_b64 v[18:19], v8, v[52:53]
	s_delay_alu instid0(VALU_DEP_1)
	v_mov_b64_e32 v[22:23], v[18:19]
	s_and_saveexec_b32 s42, s7
; %bb.9045:                             ;   in Loop: Header=BB6_6801 Depth=2
	v_bfe_u32 v52, v18, 20, 1
	s_delay_alu instid0(VALU_DEP_1) | instskip(NEXT) | instid1(VALU_DEP_1)
	v_add_nc_u64_e32 v[22:23], v[18:19], v[52:53]
	v_add_nc_u64_e32 v[22:23], -1, v[22:23]
; %bb.9046:                             ;   in Loop: Header=BB6_6801 Depth=2
	s_or_b32 exec_lo, exec_lo, s42
	v_add_nc_u32_e32 v7, 0xffffff81, v7
	v_lshrrev_b32_e32 v9, 23, v18
	s_mov_b32 s7, exec_lo
	s_delay_alu instid0(VALU_DEP_2) | instskip(NEXT) | instid1(VALU_DEP_1)
	v_cndmask_b32_e64 v7, v7, 0xffffff82, vcc_lo
	v_add3_u32 v9, v8, v7, v9
	v_and_b32_e32 v7, 0xfffff, v22
	s_delay_alu instid0(VALU_DEP_1) | instskip(NEXT) | instid1(VALU_DEP_1)
	v_dual_add_nc_u32 v8, 6, v9 :: v_dual_add_nc_u32 v52, v7, v18
                                        ; implicit-def: $vgpr18_vgpr19
                                        ; implicit-def: $vgpr7
	v_cmpx_ne_u32_e32 0, v8
	s_xor_b32 s7, exec_lo, s7
; %bb.9047:                             ;   in Loop: Header=BB6_6801 Depth=2
	s_delay_alu instid0(VALU_DEP_2) | instskip(SKIP_1) | instid1(VALU_DEP_1)
	v_cmp_lt_u64_e32 vcc_lo, 0xffffff, v[52:53]
	v_add_nc_u32_e32 v7, 7, v9
	v_cndmask_b32_e32 v7, v8, v7, vcc_lo
	v_cndmask_b32_e64 v8, 0, 1, vcc_lo
	s_delay_alu instid0(VALU_DEP_1)
	v_lshrrev_b64 v[18:19], v8, v[52:53]
; %bb.9048:                             ;   in Loop: Header=BB6_6801 Depth=2
	s_and_not1_saveexec_b32 s7, s7
; %bb.9049:                             ;   in Loop: Header=BB6_6801 Depth=2
	v_mov_b64_e32 v[18:19], v[52:53]
	v_bfe_u32 v7, v52, 23, 1
; %bb.9050:                             ;   in Loop: Header=BB6_6801 Depth=2
	s_or_b32 exec_lo, exec_lo, s7
	s_delay_alu instid0(VALU_DEP_2) | instskip(NEXT) | instid1(VALU_DEP_2)
	v_lshrrev_b64 v[8:9], 20, v[18:19]
	v_cmp_gt_i32_e32 vcc_lo, 16, v7
	v_min_i32_e32 v18, 15, v7
	v_cmp_eq_u32_e64 s7, 0, v7
	s_delay_alu instid0(VALU_DEP_2) | instskip(SKIP_1) | instid1(VALU_DEP_2)
	v_dual_cndmask_b32 v9, 0, v9 :: v_dual_lshlrev_b32 v18, 3, v18
	v_cndmask_b32_e32 v8, 7, v8, vcc_lo
	v_and_b32_e32 v18, 0xf8, v18
	s_delay_alu instid0(VALU_DEP_2) | instskip(NEXT) | instid1(VALU_DEP_2)
	v_cmp_eq_u64_e32 vcc_lo, 0, v[8:9]
	v_and_or_b32 v7, v8, 7, v18
	s_and_b32 s7, s7, vcc_lo
	s_delay_alu instid0(VALU_DEP_1) | instid1(SALU_CYCLE_1)
	v_cndmask_b32_e64 v7, v7, 0, s7
	s_delay_alu instid0(VALU_DEP_1)
	v_or_b32_e32 v24, v7, v6
.LBB6_9051:                             ;   in Loop: Header=BB6_6801 Depth=2
	s_or_b32 exec_lo, exec_lo, s41
                                        ; implicit-def: $vgpr6
.LBB6_9052:                             ;   in Loop: Header=BB6_6801 Depth=2
	s_and_not1_saveexec_b32 s7, s40
; %bb.9053:                             ;   in Loop: Header=BB6_6801 Depth=2
	v_or_b32_e32 v24, 0x7e, v6
; %bb.9054:                             ;   in Loop: Header=BB6_6801 Depth=2
	s_or_b32 exec_lo, exec_lo, s7
                                        ; implicit-def: $vgpr6
.LBB6_9055:                             ;   in Loop: Header=BB6_6801 Depth=2
	s_and_not1_saveexec_b32 s7, s29
; %bb.9056:                             ;   in Loop: Header=BB6_6801 Depth=2
	v_or_b32_e32 v24, 0x7f, v6
; %bb.9057:                             ;   in Loop: Header=BB6_6801 Depth=2
	s_or_b32 exec_lo, exec_lo, s7
	v_lshl_or_b32 v6, v122, 8, v111
	v_dual_lshlrev_b32 v7, 16, v36 :: v_dual_lshlrev_b32 v8, 24, v126
	s_mov_b32 s7, exec_lo
	s_delay_alu instid0(VALU_DEP_1)
	v_or3_b32 v52, v7, v8, v6
	v_dual_mov_b32 v7, 0 :: v_dual_mov_b32 v8, 0
	v_cmpx_ne_u32_e32 0, v111
	s_cbranch_execz .LBB6_9063
; %bb.9058:                             ;   in Loop: Header=BB6_6801 Depth=2
	v_bfrev_b32_e32 v8, 1
	s_mov_b32 s29, exec_lo
	v_cmpx_ne_u32_e32 0x80, v111
	s_cbranch_execz .LBB6_9062
; %bb.9059:                             ;   in Loop: Header=BB6_6801 Depth=2
	v_and_b32_e32 v9, 0x7f, v111
	v_mov_b32_e32 v8, 0x7f800001
	s_mov_b32 s40, exec_lo
	s_delay_alu instid0(VALU_DEP_2)
	v_cmpx_ne_u32_e32 0x7f, v9
	s_cbranch_execz .LBB6_9061
; %bb.9060:                             ;   in Loop: Header=BB6_6801 Depth=2
	v_dual_lshrrev_b32 v18, 3, v9 :: v_dual_bitop2_b32 v8, 7, v111 bitop3:0x40
	v_cmp_gt_u32_e32 vcc_lo, 8, v9
	s_delay_alu instid0(VALU_DEP_2) | instskip(NEXT) | instid1(VALU_DEP_1)
	v_clz_i32_u32_e32 v8, v8
	v_min_u32_e32 v8, 32, v8
	s_delay_alu instid0(VALU_DEP_1) | instskip(SKIP_1) | instid1(VALU_DEP_1)
	v_subrev_nc_u32_e32 v9, 28, v8
	v_sub_nc_u32_e32 v8, 29, v8
	v_dual_cndmask_b32 v18, v18, v8, vcc_lo :: v_dual_cndmask_b32 v8, 0, v9, vcc_lo
	s_delay_alu instid0(VALU_DEP_1) | instskip(NEXT) | instid1(VALU_DEP_2)
	v_lshl_add_u32 v18, v18, 23, 0x3c000000
	v_lshlrev_b64_e32 v[8:9], v8, v[52:53]
	v_lshlrev_b32_e32 v9, 24, v52
	s_delay_alu instid0(VALU_DEP_1) | instskip(NEXT) | instid1(VALU_DEP_3)
	v_and_b32_e32 v9, 0x80000000, v9
	v_lshlrev_b32_e32 v8, 20, v8
	s_delay_alu instid0(VALU_DEP_1) | instskip(NEXT) | instid1(VALU_DEP_1)
	v_and_b32_e32 v8, 0x700000, v8
	v_or3_b32 v8, v8, v9, v18
.LBB6_9061:                             ;   in Loop: Header=BB6_6801 Depth=2
	s_or_b32 exec_lo, exec_lo, s40
.LBB6_9062:                             ;   in Loop: Header=BB6_6801 Depth=2
	s_delay_alu instid0(SALU_CYCLE_1)
	s_or_b32 exec_lo, exec_lo, s29
.LBB6_9063:                             ;   in Loop: Header=BB6_6801 Depth=2
	s_delay_alu instid0(SALU_CYCLE_1) | instskip(SKIP_2) | instid1(VALU_DEP_1)
	s_or_b32 exec_lo, exec_lo, s7
	v_and_b32_e32 v9, 0xff, v20
	s_mov_b32 s7, exec_lo
	v_cmpx_ne_u16_e32 0, v9
	s_cbranch_execz .LBB6_9069
; %bb.9064:                             ;   in Loop: Header=BB6_6801 Depth=2
	v_bfrev_b32_e32 v7, 1
	s_mov_b32 s29, exec_lo
	v_cmpx_ne_u16_e32 0x80, v9
	s_cbranch_execz .LBB6_9068
; %bb.9065:                             ;   in Loop: Header=BB6_6801 Depth=2
	v_and_b32_e32 v9, 0x7f, v20
	v_mov_b32_e32 v7, 0x7f800001
	s_mov_b32 s40, exec_lo
	s_delay_alu instid0(VALU_DEP_2)
	v_cmpx_ne_u32_e32 0x7f, v9
	s_cbranch_execz .LBB6_9067
; %bb.9066:                             ;   in Loop: Header=BB6_6801 Depth=2
	v_dual_lshrrev_b32 v18, 3, v9 :: v_dual_bitop2_b32 v7, 7, v20 bitop3:0x40
	v_cmp_gt_u32_e32 vcc_lo, 8, v9
	s_delay_alu instid0(VALU_DEP_2) | instskip(NEXT) | instid1(VALU_DEP_1)
	v_clz_i32_u32_e32 v7, v7
	v_min_u32_e32 v7, 32, v7
	s_delay_alu instid0(VALU_DEP_1) | instskip(NEXT) | instid1(VALU_DEP_1)
	v_subrev_nc_u32_e32 v9, 28, v7
	v_dual_sub_nc_u32 v7, 29, v7 :: v_dual_cndmask_b32 v9, 0, v9, vcc_lo
	s_delay_alu instid0(VALU_DEP_1) | instskip(NEXT) | instid1(VALU_DEP_2)
	v_cndmask_b32_e32 v7, v18, v7, vcc_lo
	v_lshlrev_b64_e32 v[18:19], v9, v[20:21]
	s_delay_alu instid0(VALU_DEP_1) | instskip(NEXT) | instid1(VALU_DEP_3)
	v_dual_lshlrev_b32 v9, 20, v18 :: v_dual_lshlrev_b32 v18, 24, v20
	v_lshl_add_u32 v7, v7, 23, 0x3c000000
	s_delay_alu instid0(VALU_DEP_2) | instskip(NEXT) | instid1(VALU_DEP_3)
	v_and_b32_e32 v9, 0x700000, v9
	v_and_b32_e32 v18, 0x80000000, v18
	s_delay_alu instid0(VALU_DEP_1)
	v_or3_b32 v7, v9, v18, v7
.LBB6_9067:                             ;   in Loop: Header=BB6_6801 Depth=2
	s_or_b32 exec_lo, exec_lo, s40
.LBB6_9068:                             ;   in Loop: Header=BB6_6801 Depth=2
	s_delay_alu instid0(SALU_CYCLE_1)
	s_or_b32 exec_lo, exec_lo, s29
.LBB6_9069:                             ;   in Loop: Header=BB6_6801 Depth=2
	s_delay_alu instid0(SALU_CYCLE_1) | instskip(NEXT) | instid1(VALU_DEP_1)
	s_or_b32 exec_lo, exec_lo, s7
	v_dual_add_f32 v8, v8, v7 :: v_dual_mov_b32 v19, v53
                                        ; implicit-def: $vgpr25
	s_mov_b32 s7, exec_lo
	s_delay_alu instid0(VALU_DEP_1) | instskip(SKIP_1) | instid1(VALU_DEP_2)
	v_and_b32_e32 v18, 0x7f800000, v8
	v_lshrrev_b32_e32 v7, 24, v8
	v_cmpx_ne_u64_e32 0x7f800000, v[18:19]
	s_xor_b32 s29, exec_lo, s7
	s_cbranch_execz .LBB6_9083
; %bb.9070:                             ;   in Loop: Header=BB6_6801 Depth=2
	v_and_b32_e32 v18, 0x7fffffff, v8
	v_mov_b32_e32 v19, v53
	v_and_b32_e32 v7, 0x80, v7
                                        ; implicit-def: $vgpr25
	s_mov_b32 s7, exec_lo
	s_delay_alu instid0(VALU_DEP_2)
	v_cmpx_gt_u64_e32 0x43e00001, v[18:19]
	s_xor_b32 s40, exec_lo, s7
	s_cbranch_execz .LBB6_9080
; %bb.9071:                             ;   in Loop: Header=BB6_6801 Depth=2
	v_mov_b32_e32 v25, 0
	s_mov_b32 s41, exec_lo
	v_cmpx_ne_u32_e32 0, v8
	s_cbranch_execz .LBB6_9079
; %bb.9072:                             ;   in Loop: Header=BB6_6801 Depth=2
	v_and_b32_e32 v18, 0x7fffff, v8
	v_bfe_u32 v8, v8, 23, 8
	s_delay_alu instid0(VALU_DEP_2) | instskip(NEXT) | instid1(VALU_DEP_2)
	v_or_b32_e32 v19, 0x800000, v18
	v_cmp_eq_u32_e32 vcc_lo, 0, v8
	v_cmp_gt_u32_e64 s7, 0x7a, v8
	s_delay_alu instid0(VALU_DEP_3) | instskip(NEXT) | instid1(VALU_DEP_1)
	v_dual_cndmask_b32 v18, v19, v18 :: v_dual_sub_nc_u32 v9, 0x79, v8
	v_dual_mov_b32 v19, v53 :: v_dual_cndmask_b32 v9, 0, v9, s7
	s_delay_alu instid0(VALU_DEP_1) | instskip(NEXT) | instid1(VALU_DEP_1)
	v_cndmask_b32_e64 v9, v9, 0x78, vcc_lo
	v_dual_add_nc_u32 v22, 20, v9 :: v_dual_add_nc_u32 v25, 19, v9
	s_delay_alu instid0(VALU_DEP_1) | instskip(NEXT) | instid1(VALU_DEP_2)
	v_lshlrev_b64_e64 v[22:23], v22, -1
	v_lshlrev_b64_e64 v[38:39], v25, 1
	s_delay_alu instid0(VALU_DEP_2) | instskip(SKIP_1) | instid1(VALU_DEP_4)
	v_bfi_b32 v22, v22, 0, v18
	v_lshrrev_b64 v[18:19], v9, v[18:19]
	v_bfi_b32 v23, v23, 0, 0
	s_delay_alu instid0(VALU_DEP_1) | instskip(NEXT) | instid1(VALU_DEP_3)
	v_cmp_eq_u64_e64 s7, v[22:23], v[38:39]
	v_mov_b64_e32 v[22:23], v[18:19]
	s_and_saveexec_b32 s42, s7
; %bb.9073:                             ;   in Loop: Header=BB6_6801 Depth=2
	v_bfe_u32 v22, v18, 20, 1
	v_mov_b32_e32 v23, v53
	s_delay_alu instid0(VALU_DEP_1) | instskip(NEXT) | instid1(VALU_DEP_1)
	v_add_nc_u64_e32 v[22:23], v[18:19], v[22:23]
	v_add_nc_u64_e32 v[22:23], -1, v[22:23]
; %bb.9074:                             ;   in Loop: Header=BB6_6801 Depth=2
	s_or_b32 exec_lo, exec_lo, s42
	v_add_nc_u32_e32 v8, 0xffffff81, v8
	v_lshrrev_b32_e32 v19, 23, v18
	s_mov_b32 s7, exec_lo
	s_delay_alu instid0(VALU_DEP_2) | instskip(NEXT) | instid1(VALU_DEP_1)
	v_cndmask_b32_e64 v8, v8, 0xffffff82, vcc_lo
	v_add3_u32 v23, v9, v8, v19
	v_and_b32_e32 v8, 0xfffff, v22
	s_delay_alu instid0(VALU_DEP_2) | instskip(NEXT) | instid1(VALU_DEP_2)
	v_dual_mov_b32 v19, v53 :: v_dual_add_nc_u32 v9, 6, v23
	v_add_nc_u32_e32 v18, v8, v18
                                        ; implicit-def: $vgpr8
	s_delay_alu instid0(VALU_DEP_2)
	v_cmpx_ne_u32_e32 0, v9
	s_xor_b32 s7, exec_lo, s7
; %bb.9075:                             ;   in Loop: Header=BB6_6801 Depth=2
	s_delay_alu instid0(VALU_DEP_2) | instskip(SKIP_1) | instid1(VALU_DEP_1)
	v_cmp_lt_u64_e32 vcc_lo, 0xffffff, v[18:19]
	v_add_nc_u32_e32 v8, 7, v23
	v_cndmask_b32_e32 v8, v9, v8, vcc_lo
	v_cndmask_b32_e64 v9, 0, 1, vcc_lo
	s_delay_alu instid0(VALU_DEP_1)
	v_lshrrev_b64 v[18:19], v9, v[18:19]
; %bb.9076:                             ;   in Loop: Header=BB6_6801 Depth=2
	s_and_not1_saveexec_b32 s7, s7
; %bb.9077:                             ;   in Loop: Header=BB6_6801 Depth=2
	s_delay_alu instid0(VALU_DEP_1)
	v_bfe_u32 v8, v18, 23, 1
; %bb.9078:                             ;   in Loop: Header=BB6_6801 Depth=2
	s_or_b32 exec_lo, exec_lo, s7
	s_delay_alu instid0(VALU_DEP_2) | instskip(NEXT) | instid1(VALU_DEP_2)
	v_lshrrev_b64 v[18:19], 20, v[18:19]
	v_cmp_gt_i32_e32 vcc_lo, 16, v8
	v_min_i32_e32 v9, 15, v8
	v_cmp_eq_u32_e64 s7, 0, v8
	s_delay_alu instid0(VALU_DEP_2) | instskip(SKIP_1) | instid1(VALU_DEP_2)
	v_dual_cndmask_b32 v19, 0, v19, vcc_lo :: v_dual_lshlrev_b32 v9, 3, v9
	v_cndmask_b32_e32 v18, 7, v18, vcc_lo
	v_and_b32_e32 v9, 0xf8, v9
	s_delay_alu instid0(VALU_DEP_2) | instskip(NEXT) | instid1(VALU_DEP_2)
	v_cmp_eq_u64_e32 vcc_lo, 0, v[18:19]
	v_and_or_b32 v8, v18, 7, v9
	s_and_b32 s7, s7, vcc_lo
	s_delay_alu instid0(VALU_DEP_1) | instid1(SALU_CYCLE_1)
	v_cndmask_b32_e64 v8, v8, 0, s7
	s_delay_alu instid0(VALU_DEP_1)
	v_or_b32_e32 v25, v8, v7
.LBB6_9079:                             ;   in Loop: Header=BB6_6801 Depth=2
	s_or_b32 exec_lo, exec_lo, s41
                                        ; implicit-def: $vgpr7
.LBB6_9080:                             ;   in Loop: Header=BB6_6801 Depth=2
	s_and_not1_saveexec_b32 s7, s40
; %bb.9081:                             ;   in Loop: Header=BB6_6801 Depth=2
	v_or_b32_e32 v25, 0x7e, v7
; %bb.9082:                             ;   in Loop: Header=BB6_6801 Depth=2
	s_or_b32 exec_lo, exec_lo, s7
                                        ; implicit-def: $vgpr7
.LBB6_9083:                             ;   in Loop: Header=BB6_6801 Depth=2
	s_and_not1_saveexec_b32 s7, s29
; %bb.9084:                             ;   in Loop: Header=BB6_6801 Depth=2
	v_or_b32_e32 v25, 0x7f, v7
; %bb.9085:                             ;   in Loop: Header=BB6_6801 Depth=2
	s_or_b32 exec_lo, exec_lo, s7
	v_lshrrev_b16 v9, 8, v6
	v_dual_mov_b32 v7, 0 :: v_dual_mov_b32 v8, 0
	s_mov_b32 s7, exec_lo
	s_delay_alu instid0(VALU_DEP_2)
	v_cmpx_ne_u16_e32 0, v9
	s_cbranch_execz .LBB6_9093
; %bb.9086:                             ;   in Loop: Header=BB6_6801 Depth=2
	v_bfrev_b32_e32 v8, 1
	s_mov_b32 s29, exec_lo
	v_cmpx_ne_u16_e32 0x80, v9
	s_cbranch_execz .LBB6_9092
; %bb.9087:                             ;   in Loop: Header=BB6_6801 Depth=2
	v_and_b32_e32 v18, 0xffff, v9
	v_mov_b32_e32 v8, 0x7f800001
	s_mov_b32 s40, exec_lo
	s_delay_alu instid0(VALU_DEP_2) | instskip(NEXT) | instid1(VALU_DEP_1)
	v_and_b32_e32 v9, 0x7f, v18
	v_cmpx_ne_u32_e32 0x7f, v9
	s_cbranch_execz .LBB6_9091
; %bb.9088:                             ;   in Loop: Header=BB6_6801 Depth=2
	v_dual_mov_b32 v19, v53 :: v_dual_bitop2_b32 v18, 7, v18 bitop3:0x40
	v_lshrrev_b32_e32 v8, 3, v9
	s_mov_b32 s41, exec_lo
	v_cmpx_gt_u32_e32 8, v9
; %bb.9089:                             ;   in Loop: Header=BB6_6801 Depth=2
	s_delay_alu instid0(VALU_DEP_3) | instskip(NEXT) | instid1(VALU_DEP_1)
	v_clz_i32_u32_e32 v8, v18
	v_min_u32_e32 v8, 32, v8
	s_delay_alu instid0(VALU_DEP_1) | instskip(NEXT) | instid1(VALU_DEP_1)
	v_subrev_nc_u32_e32 v9, 28, v8
	v_lshlrev_b64_e32 v[18:19], v9, v[18:19]
	s_delay_alu instid0(VALU_DEP_1)
	v_dual_sub_nc_u32 v8, 29, v8 :: v_dual_bitop2_b32 v18, 7, v18 bitop3:0x40
; %bb.9090:                             ;   in Loop: Header=BB6_6801 Depth=2
	s_or_b32 exec_lo, exec_lo, s41
	v_lshlrev_b32_e32 v6, 16, v6
	s_delay_alu instid0(VALU_DEP_2) | instskip(NEXT) | instid1(VALU_DEP_3)
	v_lshlrev_b32_e32 v9, 20, v18
	v_lshl_add_u32 v8, v8, 23, 0x3c000000
	s_delay_alu instid0(VALU_DEP_3) | instskip(NEXT) | instid1(VALU_DEP_1)
	v_and_b32_e32 v6, 0x80000000, v6
	v_or3_b32 v8, v9, v6, v8
.LBB6_9091:                             ;   in Loop: Header=BB6_6801 Depth=2
	s_or_b32 exec_lo, exec_lo, s40
.LBB6_9092:                             ;   in Loop: Header=BB6_6801 Depth=2
	s_delay_alu instid0(SALU_CYCLE_1)
	s_or_b32 exec_lo, exec_lo, s29
.LBB6_9093:                             ;   in Loop: Header=BB6_6801 Depth=2
	s_delay_alu instid0(SALU_CYCLE_1) | instskip(SKIP_2) | instid1(VALU_DEP_1)
	s_or_b32 exec_lo, exec_lo, s7
	v_lshrrev_b16 v6, 8, v20
	s_mov_b32 s7, exec_lo
	v_cmpx_ne_u16_e32 0, v6
	s_cbranch_execz .LBB6_9101
; %bb.9094:                             ;   in Loop: Header=BB6_6801 Depth=2
	v_bfrev_b32_e32 v7, 1
	s_mov_b32 s29, exec_lo
	v_cmpx_ne_u16_e32 0x80, v6
	s_cbranch_execz .LBB6_9100
; %bb.9095:                             ;   in Loop: Header=BB6_6801 Depth=2
	v_and_b32_e32 v6, 0xffff, v6
	v_mov_b32_e32 v7, 0x7f800001
	s_mov_b32 s40, exec_lo
	s_delay_alu instid0(VALU_DEP_2) | instskip(NEXT) | instid1(VALU_DEP_1)
	v_and_b32_e32 v9, 0x7f, v6
	v_cmpx_ne_u32_e32 0x7f, v9
	s_cbranch_execz .LBB6_9099
; %bb.9096:                             ;   in Loop: Header=BB6_6801 Depth=2
	v_dual_mov_b32 v19, v53 :: v_dual_bitop2_b32 v18, 7, v6 bitop3:0x40
	v_lshrrev_b32_e32 v6, 3, v9
	s_mov_b32 s41, exec_lo
	v_cmpx_gt_u32_e32 8, v9
; %bb.9097:                             ;   in Loop: Header=BB6_6801 Depth=2
	s_delay_alu instid0(VALU_DEP_3) | instskip(NEXT) | instid1(VALU_DEP_1)
	v_clz_i32_u32_e32 v6, v18
	v_min_u32_e32 v6, 32, v6
	s_delay_alu instid0(VALU_DEP_1) | instskip(SKIP_1) | instid1(VALU_DEP_2)
	v_subrev_nc_u32_e32 v7, 28, v6
	v_sub_nc_u32_e32 v6, 29, v6
	v_lshlrev_b64_e32 v[18:19], v7, v[18:19]
	s_delay_alu instid0(VALU_DEP_1)
	v_and_b32_e32 v18, 7, v18
; %bb.9098:                             ;   in Loop: Header=BB6_6801 Depth=2
	s_or_b32 exec_lo, exec_lo, s41
	s_delay_alu instid0(VALU_DEP_1) | instskip(SKIP_1) | instid1(VALU_DEP_2)
	v_dual_lshlrev_b32 v7, 16, v20 :: v_dual_lshlrev_b32 v9, 20, v18
	v_lshl_add_u32 v6, v6, 23, 0x3c000000
	v_and_b32_e32 v7, 0x80000000, v7
	s_delay_alu instid0(VALU_DEP_1)
	v_or3_b32 v7, v9, v7, v6
.LBB6_9099:                             ;   in Loop: Header=BB6_6801 Depth=2
	s_or_b32 exec_lo, exec_lo, s40
.LBB6_9100:                             ;   in Loop: Header=BB6_6801 Depth=2
	s_delay_alu instid0(SALU_CYCLE_1)
	s_or_b32 exec_lo, exec_lo, s29
.LBB6_9101:                             ;   in Loop: Header=BB6_6801 Depth=2
	s_delay_alu instid0(SALU_CYCLE_1) | instskip(NEXT) | instid1(VALU_DEP_1)
	s_or_b32 exec_lo, exec_lo, s7
	v_dual_add_f32 v7, v8, v7 :: v_dual_mov_b32 v9, v53
                                        ; implicit-def: $vgpr36
	s_mov_b32 s7, exec_lo
	s_delay_alu instid0(VALU_DEP_1) | instskip(SKIP_1) | instid1(VALU_DEP_2)
	v_and_b32_e32 v8, 0x7f800000, v7
	v_lshrrev_b32_e32 v6, 24, v7
	v_cmpx_ne_u64_e32 0x7f800000, v[8:9]
	s_xor_b32 s29, exec_lo, s7
	s_cbranch_execz .LBB6_9115
; %bb.9102:                             ;   in Loop: Header=BB6_6801 Depth=2
	v_and_b32_e32 v8, 0x7fffffff, v7
	v_mov_b32_e32 v9, v53
	v_and_b32_e32 v6, 0x80, v6
                                        ; implicit-def: $vgpr36
	s_mov_b32 s7, exec_lo
	s_delay_alu instid0(VALU_DEP_2)
	v_cmpx_gt_u64_e32 0x43e00001, v[8:9]
	s_xor_b32 s40, exec_lo, s7
	s_cbranch_execz .LBB6_9112
; %bb.9103:                             ;   in Loop: Header=BB6_6801 Depth=2
	v_mov_b32_e32 v36, 0
	s_mov_b32 s41, exec_lo
	v_cmpx_ne_u32_e32 0, v7
	s_cbranch_execz .LBB6_9111
; %bb.9104:                             ;   in Loop: Header=BB6_6801 Depth=2
	v_and_b32_e32 v9, 0x7fffff, v7
	v_bfe_u32 v7, v7, 23, 8
	v_mov_b32_e32 v19, v53
	s_delay_alu instid0(VALU_DEP_3) | instskip(NEXT) | instid1(VALU_DEP_3)
	v_or_b32_e32 v18, 0x800000, v9
	v_cmp_gt_u32_e64 s7, 0x7a, v7
	v_sub_nc_u32_e32 v8, 0x79, v7
	v_cmp_eq_u32_e32 vcc_lo, 0, v7
	s_delay_alu instid0(VALU_DEP_2) | instskip(NEXT) | instid1(VALU_DEP_1)
	v_dual_cndmask_b32 v8, 0, v8, s7 :: v_dual_cndmask_b32 v18, v18, v9, vcc_lo
	v_cndmask_b32_e64 v8, v8, 0x78, vcc_lo
	s_delay_alu instid0(VALU_DEP_1) | instskip(NEXT) | instid1(VALU_DEP_1)
	v_add_nc_u32_e32 v9, 20, v8
	v_lshlrev_b64_e64 v[22:23], v9, -1
	v_add_nc_u32_e32 v9, 19, v8
	s_delay_alu instid0(VALU_DEP_1) | instskip(NEXT) | instid1(VALU_DEP_3)
	v_lshlrev_b64_e64 v[38:39], v9, 1
	v_bfi_b32 v22, v22, 0, v18
	v_lshrrev_b64 v[18:19], v8, v[18:19]
	v_bfi_b32 v23, v23, 0, 0
	s_delay_alu instid0(VALU_DEP_1) | instskip(NEXT) | instid1(VALU_DEP_3)
	v_cmp_eq_u64_e64 s7, v[22:23], v[38:39]
	v_mov_b64_e32 v[22:23], v[18:19]
	s_and_saveexec_b32 s42, s7
; %bb.9105:                             ;   in Loop: Header=BB6_6801 Depth=2
	v_bfe_u32 v22, v18, 20, 1
	v_mov_b32_e32 v23, v53
	s_delay_alu instid0(VALU_DEP_1) | instskip(NEXT) | instid1(VALU_DEP_1)
	v_add_nc_u64_e32 v[22:23], v[18:19], v[22:23]
	v_add_nc_u64_e32 v[22:23], -1, v[22:23]
; %bb.9106:                             ;   in Loop: Header=BB6_6801 Depth=2
	s_or_b32 exec_lo, exec_lo, s42
	v_add_nc_u32_e32 v7, 0xffffff81, v7
	v_lshrrev_b32_e32 v9, 23, v18
	s_mov_b32 s7, exec_lo
	v_mov_b32_e32 v19, v53
	s_delay_alu instid0(VALU_DEP_3) | instskip(NEXT) | instid1(VALU_DEP_1)
	v_cndmask_b32_e64 v7, v7, 0xffffff82, vcc_lo
	v_add3_u32 v9, v8, v7, v9
	v_and_b32_e32 v7, 0xfffff, v22
	s_delay_alu instid0(VALU_DEP_1) | instskip(NEXT) | instid1(VALU_DEP_1)
	v_dual_add_nc_u32 v8, 6, v9 :: v_dual_add_nc_u32 v18, v7, v18
                                        ; implicit-def: $vgpr7
	v_cmpx_ne_u32_e32 0, v8
	s_xor_b32 s7, exec_lo, s7
; %bb.9107:                             ;   in Loop: Header=BB6_6801 Depth=2
	s_delay_alu instid0(VALU_DEP_2) | instskip(SKIP_1) | instid1(VALU_DEP_1)
	v_cmp_lt_u64_e32 vcc_lo, 0xffffff, v[18:19]
	v_add_nc_u32_e32 v7, 7, v9
	v_cndmask_b32_e32 v7, v8, v7, vcc_lo
	v_cndmask_b32_e64 v8, 0, 1, vcc_lo
	s_delay_alu instid0(VALU_DEP_1)
	v_lshrrev_b64 v[18:19], v8, v[18:19]
; %bb.9108:                             ;   in Loop: Header=BB6_6801 Depth=2
	s_and_not1_saveexec_b32 s7, s7
; %bb.9109:                             ;   in Loop: Header=BB6_6801 Depth=2
	s_delay_alu instid0(VALU_DEP_1)
	v_bfe_u32 v7, v18, 23, 1
; %bb.9110:                             ;   in Loop: Header=BB6_6801 Depth=2
	s_or_b32 exec_lo, exec_lo, s7
	s_delay_alu instid0(VALU_DEP_2) | instskip(NEXT) | instid1(VALU_DEP_2)
	v_lshrrev_b64 v[8:9], 20, v[18:19]
	v_cmp_gt_i32_e32 vcc_lo, 16, v7
	v_min_i32_e32 v18, 15, v7
	v_cmp_eq_u32_e64 s7, 0, v7
	s_delay_alu instid0(VALU_DEP_2) | instskip(SKIP_1) | instid1(VALU_DEP_2)
	v_dual_cndmask_b32 v9, 0, v9 :: v_dual_lshlrev_b32 v18, 3, v18
	v_cndmask_b32_e32 v8, 7, v8, vcc_lo
	v_and_b32_e32 v18, 0xf8, v18
	s_delay_alu instid0(VALU_DEP_2) | instskip(NEXT) | instid1(VALU_DEP_2)
	v_cmp_eq_u64_e32 vcc_lo, 0, v[8:9]
	v_and_or_b32 v7, v8, 7, v18
	s_and_b32 s7, s7, vcc_lo
	s_delay_alu instid0(VALU_DEP_1) | instid1(SALU_CYCLE_1)
	v_cndmask_b32_e64 v7, v7, 0, s7
	s_delay_alu instid0(VALU_DEP_1)
	v_or_b32_e32 v36, v7, v6
.LBB6_9111:                             ;   in Loop: Header=BB6_6801 Depth=2
	s_or_b32 exec_lo, exec_lo, s41
                                        ; implicit-def: $vgpr6
.LBB6_9112:                             ;   in Loop: Header=BB6_6801 Depth=2
	s_and_not1_saveexec_b32 s7, s40
; %bb.9113:                             ;   in Loop: Header=BB6_6801 Depth=2
	v_or_b32_e32 v36, 0x7e, v6
; %bb.9114:                             ;   in Loop: Header=BB6_6801 Depth=2
	s_or_b32 exec_lo, exec_lo, s7
                                        ; implicit-def: $vgpr6
.LBB6_9115:                             ;   in Loop: Header=BB6_6801 Depth=2
	s_and_not1_saveexec_b32 s7, s29
; %bb.9116:                             ;   in Loop: Header=BB6_6801 Depth=2
	v_or_b32_e32 v36, 0x7f, v6
; %bb.9117:                             ;   in Loop: Header=BB6_6801 Depth=2
	s_or_b32 exec_lo, exec_lo, s7
	v_dual_lshrrev_b32 v8, 16, v52 :: v_dual_mov_b32 v6, 0
	v_mov_b32_e32 v7, 0
	s_mov_b32 s7, exec_lo
	s_delay_alu instid0(VALU_DEP_2) | instskip(NEXT) | instid1(VALU_DEP_1)
	v_and_b32_e32 v9, 0xff, v8
	v_cmpx_ne_u16_e32 0, v9
	s_cbranch_execz .LBB6_9125
; %bb.9118:                             ;   in Loop: Header=BB6_6801 Depth=2
	v_bfrev_b32_e32 v7, 1
	s_mov_b32 s29, exec_lo
	v_cmpx_ne_u16_e32 0x80, v9
	s_cbranch_execz .LBB6_9124
; %bb.9119:                             ;   in Loop: Header=BB6_6801 Depth=2
	v_bfe_u32 v9, v52, 16, 7
	v_mov_b32_e32 v7, 0x7f800001
	s_mov_b32 s40, exec_lo
	s_delay_alu instid0(VALU_DEP_2)
	v_cmpx_ne_u32_e32 0x7f, v9
	s_cbranch_execz .LBB6_9123
; %bb.9120:                             ;   in Loop: Header=BB6_6801 Depth=2
	v_dual_mov_b32 v19, v53 :: v_dual_bitop2_b32 v18, 7, v8 bitop3:0x40
	v_lshrrev_b32_e32 v7, 3, v9
	s_mov_b32 s41, exec_lo
	v_cmpx_gt_u32_e32 8, v9
; %bb.9121:                             ;   in Loop: Header=BB6_6801 Depth=2
	s_delay_alu instid0(VALU_DEP_3) | instskip(NEXT) | instid1(VALU_DEP_1)
	v_clz_i32_u32_e32 v7, v18
	v_min_u32_e32 v7, 32, v7
	s_delay_alu instid0(VALU_DEP_1) | instskip(NEXT) | instid1(VALU_DEP_1)
	v_subrev_nc_u32_e32 v9, 28, v7
	v_lshlrev_b64_e32 v[18:19], v9, v[18:19]
	s_delay_alu instid0(VALU_DEP_1)
	v_dual_sub_nc_u32 v7, 29, v7 :: v_dual_bitop2_b32 v18, 7, v18 bitop3:0x40
; %bb.9122:                             ;   in Loop: Header=BB6_6801 Depth=2
	s_or_b32 exec_lo, exec_lo, s41
	s_delay_alu instid0(VALU_DEP_1) | instskip(NEXT) | instid1(VALU_DEP_2)
	v_dual_lshlrev_b32 v8, 24, v8 :: v_dual_lshlrev_b32 v9, 20, v18
	v_lshl_add_u32 v7, v7, 23, 0x3c000000
	s_delay_alu instid0(VALU_DEP_2) | instskip(NEXT) | instid1(VALU_DEP_1)
	v_and_b32_e32 v8, 0x80000000, v8
	v_or3_b32 v7, v9, v8, v7
.LBB6_9123:                             ;   in Loop: Header=BB6_6801 Depth=2
	s_or_b32 exec_lo, exec_lo, s40
.LBB6_9124:                             ;   in Loop: Header=BB6_6801 Depth=2
	s_delay_alu instid0(SALU_CYCLE_1)
	s_or_b32 exec_lo, exec_lo, s29
.LBB6_9125:                             ;   in Loop: Header=BB6_6801 Depth=2
	s_delay_alu instid0(SALU_CYCLE_1) | instskip(SKIP_2) | instid1(VALU_DEP_1)
	s_or_b32 exec_lo, exec_lo, s7
	v_lshrrev_b32_e32 v8, 16, v20
	s_mov_b32 s7, exec_lo
	v_and_b32_e32 v9, 0xff, v8
	s_delay_alu instid0(VALU_DEP_1)
	v_cmpx_ne_u16_e32 0, v9
	s_cbranch_execz .LBB6_9133
; %bb.9126:                             ;   in Loop: Header=BB6_6801 Depth=2
	v_bfrev_b32_e32 v6, 1
	s_mov_b32 s29, exec_lo
	v_cmpx_ne_u16_e32 0x80, v9
	s_cbranch_execz .LBB6_9132
; %bb.9127:                             ;   in Loop: Header=BB6_6801 Depth=2
	v_bfe_u32 v9, v20, 16, 7
	v_mov_b32_e32 v6, 0x7f800001
	s_mov_b32 s40, exec_lo
	s_delay_alu instid0(VALU_DEP_2)
	v_cmpx_ne_u32_e32 0x7f, v9
	s_cbranch_execz .LBB6_9131
; %bb.9128:                             ;   in Loop: Header=BB6_6801 Depth=2
	v_dual_mov_b32 v19, v53 :: v_dual_bitop2_b32 v18, 7, v8 bitop3:0x40
	v_lshrrev_b32_e32 v6, 3, v9
	s_mov_b32 s41, exec_lo
	v_cmpx_gt_u32_e32 8, v9
; %bb.9129:                             ;   in Loop: Header=BB6_6801 Depth=2
	s_delay_alu instid0(VALU_DEP_3) | instskip(NEXT) | instid1(VALU_DEP_1)
	v_clz_i32_u32_e32 v6, v18
	v_min_u32_e32 v6, 32, v6
	s_delay_alu instid0(VALU_DEP_1) | instskip(NEXT) | instid1(VALU_DEP_1)
	v_subrev_nc_u32_e32 v8, 28, v6
	v_lshlrev_b64_e32 v[8:9], v8, v[18:19]
	s_delay_alu instid0(VALU_DEP_1)
	v_dual_sub_nc_u32 v6, 29, v6 :: v_dual_bitop2_b32 v18, 7, v8 bitop3:0x40
; %bb.9130:                             ;   in Loop: Header=BB6_6801 Depth=2
	s_or_b32 exec_lo, exec_lo, s41
	s_delay_alu instid0(VALU_DEP_1) | instskip(NEXT) | instid1(VALU_DEP_2)
	v_dual_lshlrev_b32 v8, 8, v20 :: v_dual_lshlrev_b32 v9, 20, v18
	v_lshl_add_u32 v6, v6, 23, 0x3c000000
	s_delay_alu instid0(VALU_DEP_2) | instskip(NEXT) | instid1(VALU_DEP_1)
	v_and_b32_e32 v8, 0x80000000, v8
	v_or3_b32 v6, v9, v8, v6
.LBB6_9131:                             ;   in Loop: Header=BB6_6801 Depth=2
	s_or_b32 exec_lo, exec_lo, s40
.LBB6_9132:                             ;   in Loop: Header=BB6_6801 Depth=2
	s_delay_alu instid0(SALU_CYCLE_1)
	s_or_b32 exec_lo, exec_lo, s29
.LBB6_9133:                             ;   in Loop: Header=BB6_6801 Depth=2
	s_delay_alu instid0(SALU_CYCLE_1) | instskip(NEXT) | instid1(VALU_DEP_1)
	s_or_b32 exec_lo, exec_lo, s7
	v_dual_add_f32 v7, v7, v6 :: v_dual_mov_b32 v9, v53
                                        ; implicit-def: $vgpr38
	s_mov_b32 s7, exec_lo
	s_delay_alu instid0(VALU_DEP_1) | instskip(SKIP_1) | instid1(VALU_DEP_2)
	v_and_b32_e32 v8, 0x7f800000, v7
	v_lshrrev_b32_e32 v6, 24, v7
	v_cmpx_ne_u64_e32 0x7f800000, v[8:9]
	s_xor_b32 s29, exec_lo, s7
	s_cbranch_execz .LBB6_9147
; %bb.9134:                             ;   in Loop: Header=BB6_6801 Depth=2
	v_and_b32_e32 v8, 0x7fffffff, v7
	v_mov_b32_e32 v9, v53
	v_and_b32_e32 v6, 0x80, v6
                                        ; implicit-def: $vgpr38
	s_mov_b32 s7, exec_lo
	s_delay_alu instid0(VALU_DEP_2)
	v_cmpx_gt_u64_e32 0x43e00001, v[8:9]
	s_xor_b32 s40, exec_lo, s7
	s_cbranch_execz .LBB6_9144
; %bb.9135:                             ;   in Loop: Header=BB6_6801 Depth=2
	v_mov_b32_e32 v38, 0
	s_mov_b32 s41, exec_lo
	v_cmpx_ne_u32_e32 0, v7
	s_cbranch_execz .LBB6_9143
; %bb.9136:                             ;   in Loop: Header=BB6_6801 Depth=2
	v_and_b32_e32 v9, 0x7fffff, v7
	v_bfe_u32 v7, v7, 23, 8
	v_mov_b32_e32 v19, v53
	s_delay_alu instid0(VALU_DEP_3) | instskip(NEXT) | instid1(VALU_DEP_3)
	v_or_b32_e32 v18, 0x800000, v9
	v_cmp_gt_u32_e64 s7, 0x7a, v7
	v_sub_nc_u32_e32 v8, 0x79, v7
	v_cmp_eq_u32_e32 vcc_lo, 0, v7
	s_delay_alu instid0(VALU_DEP_2) | instskip(NEXT) | instid1(VALU_DEP_1)
	v_dual_cndmask_b32 v8, 0, v8, s7 :: v_dual_cndmask_b32 v18, v18, v9, vcc_lo
	v_cndmask_b32_e64 v8, v8, 0x78, vcc_lo
	s_delay_alu instid0(VALU_DEP_1) | instskip(NEXT) | instid1(VALU_DEP_1)
	v_add_nc_u32_e32 v9, 20, v8
	v_lshlrev_b64_e64 v[22:23], v9, -1
	v_add_nc_u32_e32 v9, 19, v8
	s_delay_alu instid0(VALU_DEP_1) | instskip(NEXT) | instid1(VALU_DEP_3)
	v_lshlrev_b64_e64 v[38:39], v9, 1
	v_bfi_b32 v22, v22, 0, v18
	v_lshrrev_b64 v[18:19], v8, v[18:19]
	v_bfi_b32 v23, v23, 0, 0
	s_delay_alu instid0(VALU_DEP_1) | instskip(NEXT) | instid1(VALU_DEP_3)
	v_cmp_eq_u64_e64 s7, v[22:23], v[38:39]
	v_mov_b64_e32 v[22:23], v[18:19]
	s_and_saveexec_b32 s42, s7
; %bb.9137:                             ;   in Loop: Header=BB6_6801 Depth=2
	v_bfe_u32 v22, v18, 20, 1
	v_mov_b32_e32 v23, v53
	s_delay_alu instid0(VALU_DEP_1) | instskip(NEXT) | instid1(VALU_DEP_1)
	v_add_nc_u64_e32 v[22:23], v[18:19], v[22:23]
	v_add_nc_u64_e32 v[22:23], -1, v[22:23]
; %bb.9138:                             ;   in Loop: Header=BB6_6801 Depth=2
	s_or_b32 exec_lo, exec_lo, s42
	v_add_nc_u32_e32 v7, 0xffffff81, v7
	v_lshrrev_b32_e32 v9, 23, v18
	s_mov_b32 s7, exec_lo
	v_mov_b32_e32 v19, v53
	s_delay_alu instid0(VALU_DEP_3) | instskip(NEXT) | instid1(VALU_DEP_1)
	v_cndmask_b32_e64 v7, v7, 0xffffff82, vcc_lo
	v_add3_u32 v9, v8, v7, v9
	v_and_b32_e32 v7, 0xfffff, v22
	s_delay_alu instid0(VALU_DEP_1) | instskip(NEXT) | instid1(VALU_DEP_1)
	v_dual_add_nc_u32 v8, 6, v9 :: v_dual_add_nc_u32 v18, v7, v18
                                        ; implicit-def: $vgpr7
	v_cmpx_ne_u32_e32 0, v8
	s_xor_b32 s7, exec_lo, s7
; %bb.9139:                             ;   in Loop: Header=BB6_6801 Depth=2
	s_delay_alu instid0(VALU_DEP_2) | instskip(SKIP_1) | instid1(VALU_DEP_1)
	v_cmp_lt_u64_e32 vcc_lo, 0xffffff, v[18:19]
	v_add_nc_u32_e32 v7, 7, v9
	v_cndmask_b32_e32 v7, v8, v7, vcc_lo
	v_cndmask_b32_e64 v8, 0, 1, vcc_lo
	s_delay_alu instid0(VALU_DEP_1)
	v_lshrrev_b64 v[18:19], v8, v[18:19]
; %bb.9140:                             ;   in Loop: Header=BB6_6801 Depth=2
	s_and_not1_saveexec_b32 s7, s7
; %bb.9141:                             ;   in Loop: Header=BB6_6801 Depth=2
	s_delay_alu instid0(VALU_DEP_1)
	v_bfe_u32 v7, v18, 23, 1
; %bb.9142:                             ;   in Loop: Header=BB6_6801 Depth=2
	s_or_b32 exec_lo, exec_lo, s7
	s_delay_alu instid0(VALU_DEP_2) | instskip(NEXT) | instid1(VALU_DEP_2)
	v_lshrrev_b64 v[8:9], 20, v[18:19]
	v_cmp_gt_i32_e32 vcc_lo, 16, v7
	v_min_i32_e32 v18, 15, v7
	v_cmp_eq_u32_e64 s7, 0, v7
	s_delay_alu instid0(VALU_DEP_2) | instskip(SKIP_1) | instid1(VALU_DEP_2)
	v_dual_cndmask_b32 v9, 0, v9 :: v_dual_lshlrev_b32 v18, 3, v18
	v_cndmask_b32_e32 v8, 7, v8, vcc_lo
	v_and_b32_e32 v18, 0xf8, v18
	s_delay_alu instid0(VALU_DEP_2) | instskip(NEXT) | instid1(VALU_DEP_2)
	v_cmp_eq_u64_e32 vcc_lo, 0, v[8:9]
	v_and_or_b32 v7, v8, 7, v18
	s_and_b32 s7, s7, vcc_lo
	s_delay_alu instid0(VALU_DEP_1) | instid1(SALU_CYCLE_1)
	v_cndmask_b32_e64 v7, v7, 0, s7
	s_delay_alu instid0(VALU_DEP_1)
	v_or_b32_e32 v38, v7, v6
.LBB6_9143:                             ;   in Loop: Header=BB6_6801 Depth=2
	s_or_b32 exec_lo, exec_lo, s41
                                        ; implicit-def: $vgpr6
.LBB6_9144:                             ;   in Loop: Header=BB6_6801 Depth=2
	s_and_not1_saveexec_b32 s7, s40
; %bb.9145:                             ;   in Loop: Header=BB6_6801 Depth=2
	v_or_b32_e32 v38, 0x7e, v6
; %bb.9146:                             ;   in Loop: Header=BB6_6801 Depth=2
	s_or_b32 exec_lo, exec_lo, s7
                                        ; implicit-def: $vgpr6
.LBB6_9147:                             ;   in Loop: Header=BB6_6801 Depth=2
	s_and_not1_saveexec_b32 s7, s29
; %bb.9148:                             ;   in Loop: Header=BB6_6801 Depth=2
	v_or_b32_e32 v38, 0x7f, v6
; %bb.9149:                             ;   in Loop: Header=BB6_6801 Depth=2
	s_or_b32 exec_lo, exec_lo, s7
	v_dual_mov_b32 v6, 0 :: v_dual_mov_b32 v7, 0
	s_mov_b32 s7, exec_lo
	v_cmpx_lt_u32_e32 0xffffff, v52
	s_cbranch_execz .LBB6_9157
; %bb.9150:                             ;   in Loop: Header=BB6_6801 Depth=2
	v_lshrrev_b32_e32 v8, 24, v52
	v_bfrev_b32_e32 v7, 1
	s_mov_b32 s29, exec_lo
	s_delay_alu instid0(VALU_DEP_2)
	v_cmpx_ne_u32_e32 0x80, v8
	s_cbranch_execz .LBB6_9156
; %bb.9151:                             ;   in Loop: Header=BB6_6801 Depth=2
	v_bfe_u32 v9, v52, 24, 7
	v_mov_b32_e32 v7, 0x7f800001
	s_mov_b32 s40, exec_lo
	s_delay_alu instid0(VALU_DEP_2)
	v_cmpx_ne_u32_e32 0x7f, v9
	s_cbranch_execz .LBB6_9155
; %bb.9152:                             ;   in Loop: Header=BB6_6801 Depth=2
	v_dual_lshrrev_b32 v7, 3, v9 :: v_dual_bitop2_b32 v52, 7, v8 bitop3:0x40
	s_mov_b32 s41, exec_lo
	s_delay_alu instid0(VALU_DEP_1)
	v_mov_b64_e32 v[18:19], v[52:53]
	v_cmpx_gt_u32_e32 8, v9
; %bb.9153:                             ;   in Loop: Header=BB6_6801 Depth=2
	v_clz_i32_u32_e32 v7, v52
	s_delay_alu instid0(VALU_DEP_1) | instskip(NEXT) | instid1(VALU_DEP_1)
	v_min_u32_e32 v7, 32, v7
	v_subrev_nc_u32_e32 v9, 28, v7
	s_delay_alu instid0(VALU_DEP_1) | instskip(NEXT) | instid1(VALU_DEP_1)
	v_lshlrev_b64_e32 v[18:19], v9, v[52:53]
	v_dual_sub_nc_u32 v7, 29, v7 :: v_dual_bitop2_b32 v18, 7, v18 bitop3:0x40
; %bb.9154:                             ;   in Loop: Header=BB6_6801 Depth=2
	s_or_b32 exec_lo, exec_lo, s41
	s_delay_alu instid0(VALU_DEP_1) | instskip(NEXT) | instid1(VALU_DEP_2)
	v_dual_lshlrev_b32 v8, 24, v8 :: v_dual_lshlrev_b32 v9, 20, v18
	v_lshl_add_u32 v7, v7, 23, 0x3c000000
	s_delay_alu instid0(VALU_DEP_2) | instskip(NEXT) | instid1(VALU_DEP_1)
	v_and_b32_e32 v8, 0x80000000, v8
	v_or3_b32 v7, v9, v8, v7
.LBB6_9155:                             ;   in Loop: Header=BB6_6801 Depth=2
	s_or_b32 exec_lo, exec_lo, s40
.LBB6_9156:                             ;   in Loop: Header=BB6_6801 Depth=2
	s_delay_alu instid0(SALU_CYCLE_1)
	s_or_b32 exec_lo, exec_lo, s29
.LBB6_9157:                             ;   in Loop: Header=BB6_6801 Depth=2
	s_delay_alu instid0(SALU_CYCLE_1) | instskip(NEXT) | instid1(SALU_CYCLE_1)
	s_or_b32 exec_lo, exec_lo, s7
	s_mov_b32 s7, exec_lo
	v_cmpx_lt_u32_e32 0xffffff, v20
	s_cbranch_execz .LBB6_9165
; %bb.9158:                             ;   in Loop: Header=BB6_6801 Depth=2
	v_lshrrev_b32_e32 v8, 24, v20
	v_bfrev_b32_e32 v6, 1
	s_mov_b32 s29, exec_lo
	s_delay_alu instid0(VALU_DEP_2)
	v_cmpx_ne_u32_e32 0x80, v8
	s_cbranch_execz .LBB6_9164
; %bb.9159:                             ;   in Loop: Header=BB6_6801 Depth=2
	v_bfe_u32 v9, v20, 24, 7
	v_mov_b32_e32 v6, 0x7f800001
	s_mov_b32 s40, exec_lo
	s_delay_alu instid0(VALU_DEP_2)
	v_cmpx_ne_u32_e32 0x7f, v9
	s_cbranch_execz .LBB6_9163
; %bb.9160:                             ;   in Loop: Header=BB6_6801 Depth=2
	v_dual_lshrrev_b32 v6, 3, v9 :: v_dual_bitop2_b32 v52, 7, v8 bitop3:0x40
	s_mov_b32 s41, exec_lo
	s_delay_alu instid0(VALU_DEP_1)
	v_mov_b64_e32 v[18:19], v[52:53]
	v_cmpx_gt_u32_e32 8, v9
; %bb.9161:                             ;   in Loop: Header=BB6_6801 Depth=2
	v_clz_i32_u32_e32 v6, v52
	s_delay_alu instid0(VALU_DEP_1) | instskip(NEXT) | instid1(VALU_DEP_1)
	v_min_u32_e32 v6, 32, v6
	v_subrev_nc_u32_e32 v9, 28, v6
	v_sub_nc_u32_e32 v6, 29, v6
	s_delay_alu instid0(VALU_DEP_2) | instskip(NEXT) | instid1(VALU_DEP_1)
	v_lshlrev_b64_e32 v[18:19], v9, v[52:53]
	v_and_b32_e32 v18, 7, v18
; %bb.9162:                             ;   in Loop: Header=BB6_6801 Depth=2
	s_or_b32 exec_lo, exec_lo, s41
	s_delay_alu instid0(VALU_DEP_1) | instskip(SKIP_1) | instid1(VALU_DEP_2)
	v_dual_lshlrev_b32 v8, 24, v8 :: v_dual_lshlrev_b32 v9, 20, v18
	v_lshl_add_u32 v6, v6, 23, 0x3c000000
	v_and_b32_e32 v8, 0x80000000, v8
	s_delay_alu instid0(VALU_DEP_1)
	v_or3_b32 v6, v9, v8, v6
.LBB6_9163:                             ;   in Loop: Header=BB6_6801 Depth=2
	s_or_b32 exec_lo, exec_lo, s40
.LBB6_9164:                             ;   in Loop: Header=BB6_6801 Depth=2
	s_delay_alu instid0(SALU_CYCLE_1)
	s_or_b32 exec_lo, exec_lo, s29
.LBB6_9165:                             ;   in Loop: Header=BB6_6801 Depth=2
	s_delay_alu instid0(SALU_CYCLE_1) | instskip(NEXT) | instid1(VALU_DEP_1)
	s_or_b32 exec_lo, exec_lo, s7
	v_add_f32_e32 v7, v7, v6
                                        ; implicit-def: $vgpr39
	s_mov_b32 s7, exec_lo
	s_delay_alu instid0(VALU_DEP_1) | instskip(SKIP_1) | instid1(VALU_DEP_2)
	v_and_b32_e32 v52, 0x7f800000, v7
	v_lshrrev_b32_e32 v6, 24, v7
	v_cmpx_ne_u64_e32 0x7f800000, v[52:53]
	s_xor_b32 s29, exec_lo, s7
	s_cbranch_execz .LBB6_9179
; %bb.9166:                             ;   in Loop: Header=BB6_6801 Depth=2
	v_and_b32_e32 v52, 0x7fffffff, v7
	v_and_b32_e32 v6, 0x80, v6
                                        ; implicit-def: $vgpr39
	s_mov_b32 s7, exec_lo
	s_delay_alu instid0(VALU_DEP_2)
	v_cmpx_gt_u64_e32 0x43e00001, v[52:53]
	s_xor_b32 s40, exec_lo, s7
	s_cbranch_execz .LBB6_9176
; %bb.9167:                             ;   in Loop: Header=BB6_6801 Depth=2
	v_mov_b32_e32 v39, 0
	s_mov_b32 s41, exec_lo
	v_cmpx_ne_u32_e32 0, v7
	s_cbranch_execz .LBB6_9175
; %bb.9168:                             ;   in Loop: Header=BB6_6801 Depth=2
	v_and_b32_e32 v9, 0x7fffff, v7
	v_bfe_u32 v7, v7, 23, 8
	s_delay_alu instid0(VALU_DEP_2) | instskip(NEXT) | instid1(VALU_DEP_2)
	v_or_b32_e32 v18, 0x800000, v9
	v_cmp_gt_u32_e64 s7, 0x7a, v7
	v_sub_nc_u32_e32 v8, 0x79, v7
	v_cmp_eq_u32_e32 vcc_lo, 0, v7
	s_delay_alu instid0(VALU_DEP_2) | instskip(NEXT) | instid1(VALU_DEP_1)
	v_dual_cndmask_b32 v8, 0, v8, s7 :: v_dual_cndmask_b32 v52, v18, v9, vcc_lo
	v_cndmask_b32_e64 v8, v8, 0x78, vcc_lo
	s_delay_alu instid0(VALU_DEP_1) | instskip(NEXT) | instid1(VALU_DEP_1)
	v_add_nc_u32_e32 v9, 20, v8
	v_lshlrev_b64_e64 v[18:19], v9, -1
	v_add_nc_u32_e32 v9, 19, v8
	s_delay_alu instid0(VALU_DEP_1) | instskip(NEXT) | instid1(VALU_DEP_3)
	v_lshlrev_b64_e64 v[22:23], v9, 1
	v_bfi_b32 v19, v19, 0, 0
	s_delay_alu instid0(VALU_DEP_4) | instskip(NEXT) | instid1(VALU_DEP_1)
	v_bfi_b32 v18, v18, 0, v52
	v_cmp_eq_u64_e64 s7, v[18:19], v[22:23]
	v_lshrrev_b64 v[18:19], v8, v[52:53]
	s_delay_alu instid0(VALU_DEP_1)
	v_mov_b64_e32 v[22:23], v[18:19]
	s_and_saveexec_b32 s42, s7
; %bb.9169:                             ;   in Loop: Header=BB6_6801 Depth=2
	v_bfe_u32 v52, v18, 20, 1
	s_delay_alu instid0(VALU_DEP_1) | instskip(NEXT) | instid1(VALU_DEP_1)
	v_add_nc_u64_e32 v[22:23], v[18:19], v[52:53]
	v_add_nc_u64_e32 v[22:23], -1, v[22:23]
; %bb.9170:                             ;   in Loop: Header=BB6_6801 Depth=2
	s_or_b32 exec_lo, exec_lo, s42
	v_add_nc_u32_e32 v7, 0xffffff81, v7
	v_lshrrev_b32_e32 v9, 23, v18
	s_mov_b32 s7, exec_lo
	s_delay_alu instid0(VALU_DEP_2) | instskip(NEXT) | instid1(VALU_DEP_1)
	v_cndmask_b32_e64 v7, v7, 0xffffff82, vcc_lo
	v_add3_u32 v9, v8, v7, v9
	v_and_b32_e32 v7, 0xfffff, v22
	s_delay_alu instid0(VALU_DEP_1) | instskip(NEXT) | instid1(VALU_DEP_1)
	v_dual_add_nc_u32 v8, 6, v9 :: v_dual_add_nc_u32 v52, v7, v18
                                        ; implicit-def: $vgpr18_vgpr19
                                        ; implicit-def: $vgpr7
	v_cmpx_ne_u32_e32 0, v8
	s_xor_b32 s7, exec_lo, s7
; %bb.9171:                             ;   in Loop: Header=BB6_6801 Depth=2
	s_delay_alu instid0(VALU_DEP_2) | instskip(SKIP_1) | instid1(VALU_DEP_1)
	v_cmp_lt_u64_e32 vcc_lo, 0xffffff, v[52:53]
	v_add_nc_u32_e32 v7, 7, v9
	v_cndmask_b32_e32 v7, v8, v7, vcc_lo
	v_cndmask_b32_e64 v8, 0, 1, vcc_lo
	s_delay_alu instid0(VALU_DEP_1)
	v_lshrrev_b64 v[18:19], v8, v[52:53]
; %bb.9172:                             ;   in Loop: Header=BB6_6801 Depth=2
	s_and_not1_saveexec_b32 s7, s7
; %bb.9173:                             ;   in Loop: Header=BB6_6801 Depth=2
	v_mov_b64_e32 v[18:19], v[52:53]
	v_bfe_u32 v7, v52, 23, 1
; %bb.9174:                             ;   in Loop: Header=BB6_6801 Depth=2
	s_or_b32 exec_lo, exec_lo, s7
	s_delay_alu instid0(VALU_DEP_2) | instskip(NEXT) | instid1(VALU_DEP_2)
	v_lshrrev_b64 v[8:9], 20, v[18:19]
	v_cmp_gt_i32_e32 vcc_lo, 16, v7
	v_min_i32_e32 v18, 15, v7
	v_cmp_eq_u32_e64 s7, 0, v7
	s_delay_alu instid0(VALU_DEP_2) | instskip(SKIP_1) | instid1(VALU_DEP_2)
	v_dual_cndmask_b32 v9, 0, v9 :: v_dual_lshlrev_b32 v18, 3, v18
	v_cndmask_b32_e32 v8, 7, v8, vcc_lo
	v_and_b32_e32 v18, 0xf8, v18
	s_delay_alu instid0(VALU_DEP_2) | instskip(NEXT) | instid1(VALU_DEP_2)
	v_cmp_eq_u64_e32 vcc_lo, 0, v[8:9]
	v_and_or_b32 v7, v8, 7, v18
	s_and_b32 s7, s7, vcc_lo
	s_delay_alu instid0(VALU_DEP_1) | instid1(SALU_CYCLE_1)
	v_cndmask_b32_e64 v7, v7, 0, s7
	s_delay_alu instid0(VALU_DEP_1)
	v_or_b32_e32 v39, v7, v6
.LBB6_9175:                             ;   in Loop: Header=BB6_6801 Depth=2
	s_or_b32 exec_lo, exec_lo, s41
                                        ; implicit-def: $vgpr6
.LBB6_9176:                             ;   in Loop: Header=BB6_6801 Depth=2
	s_and_not1_saveexec_b32 s7, s40
; %bb.9177:                             ;   in Loop: Header=BB6_6801 Depth=2
	v_or_b32_e32 v39, 0x7e, v6
; %bb.9178:                             ;   in Loop: Header=BB6_6801 Depth=2
	s_or_b32 exec_lo, exec_lo, s7
                                        ; implicit-def: $vgpr6
.LBB6_9179:                             ;   in Loop: Header=BB6_6801 Depth=2
	s_and_not1_saveexec_b32 s7, s29
; %bb.9180:                             ;   in Loop: Header=BB6_6801 Depth=2
	v_or_b32_e32 v39, 0x7f, v6
; %bb.9181:                             ;   in Loop: Header=BB6_6801 Depth=2
	s_or_b32 exec_lo, exec_lo, s7
	v_dual_lshlrev_b32 v6, 24, v123 :: v_dual_lshlrev_b32 v8, 16, v120
	v_lshl_or_b32 v7, v108, 8, v106
	s_mov_b32 s7, exec_lo
	s_delay_alu instid0(VALU_DEP_1)
	v_or3_b32 v52, v8, v6, v7
	v_dual_mov_b32 v6, 0 :: v_dual_mov_b32 v8, 0
	v_cmpx_ne_u32_e32 0, v106
	s_cbranch_execz .LBB6_9187
; %bb.9182:                             ;   in Loop: Header=BB6_6801 Depth=2
	v_bfrev_b32_e32 v8, 1
	s_mov_b32 s29, exec_lo
	v_cmpx_ne_u32_e32 0x80, v106
	s_cbranch_execz .LBB6_9186
; %bb.9183:                             ;   in Loop: Header=BB6_6801 Depth=2
	v_and_b32_e32 v9, 0x7f, v106
	v_mov_b32_e32 v8, 0x7f800001
	s_mov_b32 s40, exec_lo
	s_delay_alu instid0(VALU_DEP_2)
	v_cmpx_ne_u32_e32 0x7f, v9
	s_cbranch_execz .LBB6_9185
; %bb.9184:                             ;   in Loop: Header=BB6_6801 Depth=2
	v_dual_lshrrev_b32 v18, 3, v9 :: v_dual_bitop2_b32 v8, 7, v106 bitop3:0x40
	v_cmp_gt_u32_e32 vcc_lo, 8, v9
	s_delay_alu instid0(VALU_DEP_2) | instskip(NEXT) | instid1(VALU_DEP_1)
	v_clz_i32_u32_e32 v8, v8
	v_min_u32_e32 v8, 32, v8
	s_delay_alu instid0(VALU_DEP_1) | instskip(SKIP_1) | instid1(VALU_DEP_1)
	v_subrev_nc_u32_e32 v9, 28, v8
	v_sub_nc_u32_e32 v8, 29, v8
	v_dual_cndmask_b32 v18, v18, v8, vcc_lo :: v_dual_cndmask_b32 v8, 0, v9, vcc_lo
	s_delay_alu instid0(VALU_DEP_1) | instskip(NEXT) | instid1(VALU_DEP_2)
	v_lshl_add_u32 v18, v18, 23, 0x3c000000
	v_lshlrev_b64_e32 v[8:9], v8, v[52:53]
	v_lshlrev_b32_e32 v9, 24, v52
	s_delay_alu instid0(VALU_DEP_1) | instskip(NEXT) | instid1(VALU_DEP_3)
	v_and_b32_e32 v9, 0x80000000, v9
	v_lshlrev_b32_e32 v8, 20, v8
	s_delay_alu instid0(VALU_DEP_1) | instskip(NEXT) | instid1(VALU_DEP_1)
	v_and_b32_e32 v8, 0x700000, v8
	v_or3_b32 v8, v8, v9, v18
.LBB6_9185:                             ;   in Loop: Header=BB6_6801 Depth=2
	s_or_b32 exec_lo, exec_lo, s40
.LBB6_9186:                             ;   in Loop: Header=BB6_6801 Depth=2
	s_delay_alu instid0(SALU_CYCLE_1)
	s_or_b32 exec_lo, exec_lo, s29
.LBB6_9187:                             ;   in Loop: Header=BB6_6801 Depth=2
	s_delay_alu instid0(SALU_CYCLE_1) | instskip(SKIP_2) | instid1(VALU_DEP_1)
	s_or_b32 exec_lo, exec_lo, s7
	v_and_b32_e32 v9, 0xff, v21
	s_mov_b32 s7, exec_lo
	v_cmpx_ne_u16_e32 0, v9
	s_cbranch_execz .LBB6_9193
; %bb.9188:                             ;   in Loop: Header=BB6_6801 Depth=2
	v_bfrev_b32_e32 v6, 1
	s_mov_b32 s29, exec_lo
	v_cmpx_ne_u16_e32 0x80, v9
	s_cbranch_execz .LBB6_9192
; %bb.9189:                             ;   in Loop: Header=BB6_6801 Depth=2
	v_and_b32_e32 v9, 0x7f, v21
	v_mov_b32_e32 v6, 0x7f800001
	s_mov_b32 s40, exec_lo
	s_delay_alu instid0(VALU_DEP_2)
	v_cmpx_ne_u32_e32 0x7f, v9
	s_cbranch_execz .LBB6_9191
; %bb.9190:                             ;   in Loop: Header=BB6_6801 Depth=2
	v_dual_mov_b32 v18, v21 :: v_dual_bitop2_b32 v6, 7, v21 bitop3:0x40
	v_cmp_gt_u32_e32 vcc_lo, 8, v9
	s_delay_alu instid0(VALU_DEP_2) | instskip(NEXT) | instid1(VALU_DEP_1)
	v_clz_i32_u32_e32 v6, v6
	v_min_u32_e32 v6, 32, v6
	s_delay_alu instid0(VALU_DEP_1) | instskip(SKIP_1) | instid1(VALU_DEP_2)
	v_dual_lshrrev_b32 v22, 3, v9 :: v_dual_sub_nc_u32 v23, 29, v6
	v_subrev_nc_u32_e32 v6, 28, v6
	v_dual_mov_b32 v19, v53 :: v_dual_cndmask_b32 v9, v22, v23, vcc_lo
	s_delay_alu instid0(VALU_DEP_2) | instskip(NEXT) | instid1(VALU_DEP_2)
	v_cndmask_b32_e32 v6, 0, v6, vcc_lo
	v_lshl_add_u32 v9, v9, 23, 0x3c000000
	s_delay_alu instid0(VALU_DEP_2) | instskip(SKIP_1) | instid1(VALU_DEP_1)
	v_lshlrev_b64_e32 v[22:23], v6, v[18:19]
	v_lshlrev_b32_e32 v6, 24, v18
	v_and_b32_e32 v6, 0x80000000, v6
	s_delay_alu instid0(VALU_DEP_3) | instskip(NEXT) | instid1(VALU_DEP_1)
	v_lshlrev_b32_e32 v18, 20, v22
	v_and_b32_e32 v18, 0x700000, v18
	s_delay_alu instid0(VALU_DEP_1)
	v_or3_b32 v6, v18, v6, v9
.LBB6_9191:                             ;   in Loop: Header=BB6_6801 Depth=2
	s_or_b32 exec_lo, exec_lo, s40
.LBB6_9192:                             ;   in Loop: Header=BB6_6801 Depth=2
	s_delay_alu instid0(SALU_CYCLE_1)
	s_or_b32 exec_lo, exec_lo, s29
.LBB6_9193:                             ;   in Loop: Header=BB6_6801 Depth=2
	s_delay_alu instid0(SALU_CYCLE_1) | instskip(NEXT) | instid1(VALU_DEP_1)
	s_or_b32 exec_lo, exec_lo, s7
	v_dual_add_f32 v9, v8, v6 :: v_dual_mov_b32 v19, v53
                                        ; implicit-def: $vgpr6
	s_mov_b32 s7, exec_lo
	s_delay_alu instid0(VALU_DEP_1) | instskip(SKIP_1) | instid1(VALU_DEP_2)
	v_and_b32_e32 v18, 0x7f800000, v9
	v_lshrrev_b32_e32 v8, 24, v9
	v_cmpx_ne_u64_e32 0x7f800000, v[18:19]
	s_xor_b32 s29, exec_lo, s7
	s_cbranch_execz .LBB6_9207
; %bb.9194:                             ;   in Loop: Header=BB6_6801 Depth=2
	v_and_b32_e32 v18, 0x7fffffff, v9
	v_mov_b32_e32 v19, v53
	v_and_b32_e32 v8, 0x80, v8
                                        ; implicit-def: $vgpr6
	s_mov_b32 s7, exec_lo
	s_delay_alu instid0(VALU_DEP_2)
	v_cmpx_gt_u64_e32 0x43e00001, v[18:19]
	s_xor_b32 s40, exec_lo, s7
	s_cbranch_execz .LBB6_9204
; %bb.9195:                             ;   in Loop: Header=BB6_6801 Depth=2
	v_mov_b32_e32 v6, 0
	s_mov_b32 s41, exec_lo
	v_cmpx_ne_u32_e32 0, v9
	s_cbranch_execz .LBB6_9203
; %bb.9196:                             ;   in Loop: Header=BB6_6801 Depth=2
	v_bfe_u32 v6, v9, 23, 8
	v_and_b32_e32 v18, 0x7fffff, v9
	s_delay_alu instid0(VALU_DEP_2) | instskip(SKIP_2) | instid1(VALU_DEP_4)
	v_cmp_gt_u32_e64 s7, 0x7a, v6
	v_sub_nc_u32_e32 v9, 0x79, v6
	v_cmp_eq_u32_e32 vcc_lo, 0, v6
	v_or_b32_e32 v19, 0x800000, v18
	s_delay_alu instid0(VALU_DEP_1) | instskip(NEXT) | instid1(VALU_DEP_1)
	v_dual_cndmask_b32 v9, 0, v9, s7 :: v_dual_cndmask_b32 v18, v19, v18, vcc_lo
	v_cndmask_b32_e64 v9, v9, 0x78, vcc_lo
	s_delay_alu instid0(VALU_DEP_1) | instskip(SKIP_1) | instid1(VALU_DEP_2)
	v_dual_mov_b32 v19, v53 :: v_dual_add_nc_u32 v22, 20, v9
	v_add_nc_u32_e32 v30, 19, v9
	v_lshlrev_b64_e64 v[22:23], v22, -1
	s_delay_alu instid0(VALU_DEP_2) | instskip(NEXT) | instid1(VALU_DEP_2)
	v_lshlrev_b64_e64 v[50:51], v30, 1
	v_bfi_b32 v22, v22, 0, v18
	v_lshrrev_b64 v[18:19], v9, v[18:19]
	s_delay_alu instid0(VALU_DEP_4) | instskip(NEXT) | instid1(VALU_DEP_1)
	v_bfi_b32 v23, v23, 0, 0
	v_cmp_eq_u64_e64 s7, v[22:23], v[50:51]
	s_delay_alu instid0(VALU_DEP_3)
	v_mov_b64_e32 v[22:23], v[18:19]
	s_and_saveexec_b32 s42, s7
; %bb.9197:                             ;   in Loop: Header=BB6_6801 Depth=2
	v_bfe_u32 v22, v18, 20, 1
	v_mov_b32_e32 v23, v53
	s_delay_alu instid0(VALU_DEP_1) | instskip(NEXT) | instid1(VALU_DEP_1)
	v_add_nc_u64_e32 v[22:23], v[18:19], v[22:23]
	v_add_nc_u64_e32 v[22:23], -1, v[22:23]
; %bb.9198:                             ;   in Loop: Header=BB6_6801 Depth=2
	s_or_b32 exec_lo, exec_lo, s42
	v_add_nc_u32_e32 v6, 0xffffff81, v6
	v_lshrrev_b32_e32 v19, 23, v18
	s_mov_b32 s7, exec_lo
	s_delay_alu instid0(VALU_DEP_2) | instskip(NEXT) | instid1(VALU_DEP_1)
	v_cndmask_b32_e64 v6, v6, 0xffffff82, vcc_lo
	v_add3_u32 v23, v9, v6, v19
	v_and_b32_e32 v6, 0xfffff, v22
	s_delay_alu instid0(VALU_DEP_2) | instskip(NEXT) | instid1(VALU_DEP_2)
	v_dual_mov_b32 v19, v53 :: v_dual_add_nc_u32 v9, 6, v23
	v_add_nc_u32_e32 v18, v6, v18
                                        ; implicit-def: $vgpr6
	s_delay_alu instid0(VALU_DEP_2)
	v_cmpx_ne_u32_e32 0, v9
	s_xor_b32 s7, exec_lo, s7
; %bb.9199:                             ;   in Loop: Header=BB6_6801 Depth=2
	s_delay_alu instid0(VALU_DEP_2) | instskip(SKIP_1) | instid1(VALU_DEP_1)
	v_cmp_lt_u64_e32 vcc_lo, 0xffffff, v[18:19]
	v_add_nc_u32_e32 v6, 7, v23
	v_cndmask_b32_e32 v6, v9, v6, vcc_lo
	v_cndmask_b32_e64 v9, 0, 1, vcc_lo
	s_delay_alu instid0(VALU_DEP_1)
	v_lshrrev_b64 v[18:19], v9, v[18:19]
; %bb.9200:                             ;   in Loop: Header=BB6_6801 Depth=2
	s_and_not1_saveexec_b32 s7, s7
; %bb.9201:                             ;   in Loop: Header=BB6_6801 Depth=2
	s_delay_alu instid0(VALU_DEP_1)
	v_bfe_u32 v6, v18, 23, 1
; %bb.9202:                             ;   in Loop: Header=BB6_6801 Depth=2
	s_or_b32 exec_lo, exec_lo, s7
	s_delay_alu instid0(VALU_DEP_2) | instskip(NEXT) | instid1(VALU_DEP_2)
	v_lshrrev_b64 v[18:19], 20, v[18:19]
	v_cmp_gt_i32_e32 vcc_lo, 16, v6
	v_min_i32_e32 v9, 15, v6
	v_cmp_eq_u32_e64 s7, 0, v6
	s_delay_alu instid0(VALU_DEP_2) | instskip(SKIP_1) | instid1(VALU_DEP_2)
	v_dual_cndmask_b32 v19, 0, v19, vcc_lo :: v_dual_lshlrev_b32 v9, 3, v9
	v_cndmask_b32_e32 v18, 7, v18, vcc_lo
	v_and_b32_e32 v9, 0xf8, v9
	s_delay_alu instid0(VALU_DEP_2) | instskip(NEXT) | instid1(VALU_DEP_2)
	v_cmp_eq_u64_e32 vcc_lo, 0, v[18:19]
	v_and_or_b32 v6, v18, 7, v9
	s_and_b32 s7, s7, vcc_lo
	s_delay_alu instid0(VALU_DEP_1) | instid1(SALU_CYCLE_1)
	v_cndmask_b32_e64 v6, v6, 0, s7
	s_delay_alu instid0(VALU_DEP_1)
	v_or_b32_e32 v6, v6, v8
.LBB6_9203:                             ;   in Loop: Header=BB6_6801 Depth=2
	s_or_b32 exec_lo, exec_lo, s41
                                        ; implicit-def: $vgpr8
.LBB6_9204:                             ;   in Loop: Header=BB6_6801 Depth=2
	s_and_not1_saveexec_b32 s7, s40
; %bb.9205:                             ;   in Loop: Header=BB6_6801 Depth=2
	v_or_b32_e32 v6, 0x7e, v8
; %bb.9206:                             ;   in Loop: Header=BB6_6801 Depth=2
	s_or_b32 exec_lo, exec_lo, s7
                                        ; implicit-def: $vgpr8
.LBB6_9207:                             ;   in Loop: Header=BB6_6801 Depth=2
	s_and_not1_saveexec_b32 s7, s29
; %bb.9208:                             ;   in Loop: Header=BB6_6801 Depth=2
	v_or_b32_e32 v6, 0x7f, v8
; %bb.9209:                             ;   in Loop: Header=BB6_6801 Depth=2
	s_or_b32 exec_lo, exec_lo, s7
	v_lshrrev_b16 v18, 8, v7
	v_dual_mov_b32 v8, 0 :: v_dual_mov_b32 v9, 0
	s_mov_b32 s7, exec_lo
	s_delay_alu instid0(VALU_DEP_2)
	v_cmpx_ne_u16_e32 0, v18
	s_cbranch_execz .LBB6_9217
; %bb.9210:                             ;   in Loop: Header=BB6_6801 Depth=2
	v_bfrev_b32_e32 v9, 1
	s_mov_b32 s29, exec_lo
	v_cmpx_ne_u16_e32 0x80, v18
	s_cbranch_execz .LBB6_9216
; %bb.9211:                             ;   in Loop: Header=BB6_6801 Depth=2
	v_and_b32_e32 v18, 0xffff, v18
	v_mov_b32_e32 v9, 0x7f800001
	s_mov_b32 s40, exec_lo
	s_delay_alu instid0(VALU_DEP_2) | instskip(NEXT) | instid1(VALU_DEP_1)
	v_and_b32_e32 v22, 0x7f, v18
	v_cmpx_ne_u32_e32 0x7f, v22
	s_cbranch_execz .LBB6_9215
; %bb.9212:                             ;   in Loop: Header=BB6_6801 Depth=2
	v_dual_mov_b32 v19, v53 :: v_dual_bitop2_b32 v18, 7, v18 bitop3:0x40
	v_lshrrev_b32_e32 v9, 3, v22
	s_mov_b32 s41, exec_lo
	v_cmpx_gt_u32_e32 8, v22
; %bb.9213:                             ;   in Loop: Header=BB6_6801 Depth=2
	s_delay_alu instid0(VALU_DEP_3) | instskip(NEXT) | instid1(VALU_DEP_1)
	v_clz_i32_u32_e32 v9, v18
	v_min_u32_e32 v9, 32, v9
	s_delay_alu instid0(VALU_DEP_1) | instskip(NEXT) | instid1(VALU_DEP_1)
	v_subrev_nc_u32_e32 v22, 28, v9
	v_lshlrev_b64_e32 v[18:19], v22, v[18:19]
	s_delay_alu instid0(VALU_DEP_1)
	v_dual_sub_nc_u32 v9, 29, v9 :: v_dual_bitop2_b32 v18, 7, v18 bitop3:0x40
; %bb.9214:                             ;   in Loop: Header=BB6_6801 Depth=2
	s_or_b32 exec_lo, exec_lo, s41
	s_delay_alu instid0(VALU_DEP_1) | instskip(NEXT) | instid1(VALU_DEP_2)
	v_dual_lshlrev_b32 v7, 16, v7 :: v_dual_lshlrev_b32 v18, 20, v18
	v_lshl_add_u32 v9, v9, 23, 0x3c000000
	s_delay_alu instid0(VALU_DEP_2) | instskip(NEXT) | instid1(VALU_DEP_1)
	v_and_b32_e32 v7, 0x80000000, v7
	v_or3_b32 v9, v18, v7, v9
.LBB6_9215:                             ;   in Loop: Header=BB6_6801 Depth=2
	s_or_b32 exec_lo, exec_lo, s40
.LBB6_9216:                             ;   in Loop: Header=BB6_6801 Depth=2
	s_delay_alu instid0(SALU_CYCLE_1)
	s_or_b32 exec_lo, exec_lo, s29
.LBB6_9217:                             ;   in Loop: Header=BB6_6801 Depth=2
	s_delay_alu instid0(SALU_CYCLE_1) | instskip(SKIP_2) | instid1(VALU_DEP_1)
	s_or_b32 exec_lo, exec_lo, s7
	v_lshrrev_b16 v7, 8, v21
	s_mov_b32 s7, exec_lo
	v_cmpx_ne_u16_e32 0, v7
	s_cbranch_execz .LBB6_9225
; %bb.9218:                             ;   in Loop: Header=BB6_6801 Depth=2
	v_bfrev_b32_e32 v8, 1
	s_mov_b32 s29, exec_lo
	v_cmpx_ne_u16_e32 0x80, v7
	s_cbranch_execz .LBB6_9224
; %bb.9219:                             ;   in Loop: Header=BB6_6801 Depth=2
	v_and_b32_e32 v7, 0xffff, v7
	v_mov_b32_e32 v8, 0x7f800001
	s_mov_b32 s40, exec_lo
	s_delay_alu instid0(VALU_DEP_2) | instskip(NEXT) | instid1(VALU_DEP_1)
	v_and_b32_e32 v22, 0x7f, v7
	v_cmpx_ne_u32_e32 0x7f, v22
	s_cbranch_execz .LBB6_9223
; %bb.9220:                             ;   in Loop: Header=BB6_6801 Depth=2
	v_dual_mov_b32 v19, v53 :: v_dual_bitop2_b32 v18, 7, v7 bitop3:0x40
	v_lshrrev_b32_e32 v7, 3, v22
	s_mov_b32 s41, exec_lo
	v_cmpx_gt_u32_e32 8, v22
; %bb.9221:                             ;   in Loop: Header=BB6_6801 Depth=2
	s_delay_alu instid0(VALU_DEP_3) | instskip(NEXT) | instid1(VALU_DEP_1)
	v_clz_i32_u32_e32 v7, v18
	v_min_u32_e32 v7, 32, v7
	s_delay_alu instid0(VALU_DEP_1) | instskip(NEXT) | instid1(VALU_DEP_1)
	v_subrev_nc_u32_e32 v8, 28, v7
	v_lshlrev_b64_e32 v[18:19], v8, v[18:19]
	s_delay_alu instid0(VALU_DEP_1)
	v_dual_sub_nc_u32 v7, 29, v7 :: v_dual_bitop2_b32 v18, 7, v18 bitop3:0x40
; %bb.9222:                             ;   in Loop: Header=BB6_6801 Depth=2
	s_or_b32 exec_lo, exec_lo, s41
	s_delay_alu instid0(VALU_DEP_1) | instskip(NEXT) | instid1(VALU_DEP_2)
	v_dual_lshlrev_b32 v8, 16, v21 :: v_dual_lshlrev_b32 v18, 20, v18
	v_lshl_add_u32 v7, v7, 23, 0x3c000000
	s_delay_alu instid0(VALU_DEP_2) | instskip(NEXT) | instid1(VALU_DEP_1)
	v_and_b32_e32 v8, 0x80000000, v8
	v_or3_b32 v8, v18, v8, v7
.LBB6_9223:                             ;   in Loop: Header=BB6_6801 Depth=2
	s_or_b32 exec_lo, exec_lo, s40
.LBB6_9224:                             ;   in Loop: Header=BB6_6801 Depth=2
	s_delay_alu instid0(SALU_CYCLE_1)
	s_or_b32 exec_lo, exec_lo, s29
.LBB6_9225:                             ;   in Loop: Header=BB6_6801 Depth=2
	s_delay_alu instid0(SALU_CYCLE_1) | instskip(NEXT) | instid1(VALU_DEP_1)
	s_or_b32 exec_lo, exec_lo, s7
	v_add_f32_e32 v9, v9, v8
	v_mov_b32_e32 v19, v53
                                        ; implicit-def: $vgpr7
	s_mov_b32 s7, exec_lo
	s_delay_alu instid0(VALU_DEP_2) | instskip(SKIP_1) | instid1(VALU_DEP_2)
	v_and_b32_e32 v18, 0x7f800000, v9
	v_lshrrev_b32_e32 v8, 24, v9
	v_cmpx_ne_u64_e32 0x7f800000, v[18:19]
	s_xor_b32 s29, exec_lo, s7
	s_cbranch_execz .LBB6_9239
; %bb.9226:                             ;   in Loop: Header=BB6_6801 Depth=2
	v_and_b32_e32 v18, 0x7fffffff, v9
	v_mov_b32_e32 v19, v53
	v_and_b32_e32 v8, 0x80, v8
                                        ; implicit-def: $vgpr7
	s_mov_b32 s7, exec_lo
	s_delay_alu instid0(VALU_DEP_2)
	v_cmpx_gt_u64_e32 0x43e00001, v[18:19]
	s_xor_b32 s40, exec_lo, s7
	s_cbranch_execz .LBB6_9236
; %bb.9227:                             ;   in Loop: Header=BB6_6801 Depth=2
	v_mov_b32_e32 v7, 0
	s_mov_b32 s41, exec_lo
	v_cmpx_ne_u32_e32 0, v9
	s_cbranch_execz .LBB6_9235
; %bb.9228:                             ;   in Loop: Header=BB6_6801 Depth=2
	v_and_b32_e32 v18, 0x7fffff, v9
	v_bfe_u32 v7, v9, 23, 8
	s_delay_alu instid0(VALU_DEP_2) | instskip(NEXT) | instid1(VALU_DEP_2)
	v_or_b32_e32 v19, 0x800000, v18
	v_cmp_eq_u32_e32 vcc_lo, 0, v7
	v_cmp_gt_u32_e64 s7, 0x7a, v7
	s_delay_alu instid0(VALU_DEP_3) | instskip(NEXT) | instid1(VALU_DEP_1)
	v_dual_cndmask_b32 v18, v19, v18 :: v_dual_sub_nc_u32 v9, 0x79, v7
	v_dual_mov_b32 v19, v53 :: v_dual_cndmask_b32 v9, 0, v9, s7
	s_delay_alu instid0(VALU_DEP_1) | instskip(NEXT) | instid1(VALU_DEP_1)
	v_cndmask_b32_e64 v9, v9, 0x78, vcc_lo
	v_dual_add_nc_u32 v22, 20, v9 :: v_dual_add_nc_u32 v30, 19, v9
	s_delay_alu instid0(VALU_DEP_1) | instskip(NEXT) | instid1(VALU_DEP_2)
	v_lshlrev_b64_e64 v[22:23], v22, -1
	v_lshlrev_b64_e64 v[50:51], v30, 1
	s_delay_alu instid0(VALU_DEP_2) | instskip(SKIP_1) | instid1(VALU_DEP_4)
	v_bfi_b32 v22, v22, 0, v18
	v_lshrrev_b64 v[18:19], v9, v[18:19]
	v_bfi_b32 v23, v23, 0, 0
	s_delay_alu instid0(VALU_DEP_1) | instskip(NEXT) | instid1(VALU_DEP_3)
	v_cmp_eq_u64_e64 s7, v[22:23], v[50:51]
	v_mov_b64_e32 v[22:23], v[18:19]
	s_and_saveexec_b32 s42, s7
; %bb.9229:                             ;   in Loop: Header=BB6_6801 Depth=2
	v_bfe_u32 v22, v18, 20, 1
	v_mov_b32_e32 v23, v53
	s_delay_alu instid0(VALU_DEP_1) | instskip(NEXT) | instid1(VALU_DEP_1)
	v_add_nc_u64_e32 v[22:23], v[18:19], v[22:23]
	v_add_nc_u64_e32 v[22:23], -1, v[22:23]
; %bb.9230:                             ;   in Loop: Header=BB6_6801 Depth=2
	s_or_b32 exec_lo, exec_lo, s42
	v_add_nc_u32_e32 v7, 0xffffff81, v7
	v_lshrrev_b32_e32 v19, 23, v18
	s_mov_b32 s7, exec_lo
	s_delay_alu instid0(VALU_DEP_2) | instskip(NEXT) | instid1(VALU_DEP_1)
	v_cndmask_b32_e64 v7, v7, 0xffffff82, vcc_lo
	v_add3_u32 v23, v9, v7, v19
	v_and_b32_e32 v7, 0xfffff, v22
	s_delay_alu instid0(VALU_DEP_2) | instskip(NEXT) | instid1(VALU_DEP_2)
	v_dual_mov_b32 v19, v53 :: v_dual_add_nc_u32 v9, 6, v23
	v_add_nc_u32_e32 v18, v7, v18
                                        ; implicit-def: $vgpr7
	s_delay_alu instid0(VALU_DEP_2)
	v_cmpx_ne_u32_e32 0, v9
	s_xor_b32 s7, exec_lo, s7
; %bb.9231:                             ;   in Loop: Header=BB6_6801 Depth=2
	s_delay_alu instid0(VALU_DEP_2) | instskip(SKIP_1) | instid1(VALU_DEP_1)
	v_cmp_lt_u64_e32 vcc_lo, 0xffffff, v[18:19]
	v_add_nc_u32_e32 v7, 7, v23
	v_cndmask_b32_e32 v7, v9, v7, vcc_lo
	v_cndmask_b32_e64 v9, 0, 1, vcc_lo
	s_delay_alu instid0(VALU_DEP_1)
	v_lshrrev_b64 v[18:19], v9, v[18:19]
; %bb.9232:                             ;   in Loop: Header=BB6_6801 Depth=2
	s_and_not1_saveexec_b32 s7, s7
; %bb.9233:                             ;   in Loop: Header=BB6_6801 Depth=2
	s_delay_alu instid0(VALU_DEP_1)
	v_bfe_u32 v7, v18, 23, 1
; %bb.9234:                             ;   in Loop: Header=BB6_6801 Depth=2
	s_or_b32 exec_lo, exec_lo, s7
	s_delay_alu instid0(VALU_DEP_2) | instskip(NEXT) | instid1(VALU_DEP_2)
	v_lshrrev_b64 v[18:19], 20, v[18:19]
	v_cmp_gt_i32_e32 vcc_lo, 16, v7
	v_min_i32_e32 v9, 15, v7
	v_cmp_eq_u32_e64 s7, 0, v7
	s_delay_alu instid0(VALU_DEP_2) | instskip(SKIP_1) | instid1(VALU_DEP_2)
	v_dual_cndmask_b32 v18, 7, v18 :: v_dual_lshlrev_b32 v9, 3, v9
	v_cndmask_b32_e32 v19, 0, v19, vcc_lo
	v_and_b32_e32 v9, 0xf8, v9
	s_delay_alu instid0(VALU_DEP_2) | instskip(NEXT) | instid1(VALU_DEP_2)
	v_cmp_eq_u64_e32 vcc_lo, 0, v[18:19]
	v_and_or_b32 v7, v18, 7, v9
	s_and_b32 s7, s7, vcc_lo
	s_delay_alu instid0(VALU_DEP_1) | instid1(SALU_CYCLE_1)
	v_cndmask_b32_e64 v7, v7, 0, s7
	s_delay_alu instid0(VALU_DEP_1)
	v_or_b32_e32 v7, v7, v8
.LBB6_9235:                             ;   in Loop: Header=BB6_6801 Depth=2
	s_or_b32 exec_lo, exec_lo, s41
                                        ; implicit-def: $vgpr8
.LBB6_9236:                             ;   in Loop: Header=BB6_6801 Depth=2
	s_and_not1_saveexec_b32 s7, s40
; %bb.9237:                             ;   in Loop: Header=BB6_6801 Depth=2
	v_or_b32_e32 v7, 0x7e, v8
; %bb.9238:                             ;   in Loop: Header=BB6_6801 Depth=2
	s_or_b32 exec_lo, exec_lo, s7
                                        ; implicit-def: $vgpr8
.LBB6_9239:                             ;   in Loop: Header=BB6_6801 Depth=2
	s_and_not1_saveexec_b32 s7, s29
; %bb.9240:                             ;   in Loop: Header=BB6_6801 Depth=2
	v_or_b32_e32 v7, 0x7f, v8
; %bb.9241:                             ;   in Loop: Header=BB6_6801 Depth=2
	s_or_b32 exec_lo, exec_lo, s7
	v_dual_lshrrev_b32 v22, 16, v52 :: v_dual_mov_b32 v8, 0
	v_mov_b32_e32 v9, 0
	s_mov_b32 s7, exec_lo
	s_delay_alu instid0(VALU_DEP_2) | instskip(NEXT) | instid1(VALU_DEP_1)
	v_and_b32_e32 v18, 0xff, v22
	v_cmpx_ne_u16_e32 0, v18
	s_cbranch_execz .LBB6_9249
; %bb.9242:                             ;   in Loop: Header=BB6_6801 Depth=2
	v_bfrev_b32_e32 v9, 1
	s_mov_b32 s29, exec_lo
	v_cmpx_ne_u16_e32 0x80, v18
	s_cbranch_execz .LBB6_9248
; %bb.9243:                             ;   in Loop: Header=BB6_6801 Depth=2
	v_bfe_u32 v23, v52, 16, 7
	v_mov_b32_e32 v9, 0x7f800001
	s_mov_b32 s40, exec_lo
	s_delay_alu instid0(VALU_DEP_2)
	v_cmpx_ne_u32_e32 0x7f, v23
	s_cbranch_execz .LBB6_9247
; %bb.9244:                             ;   in Loop: Header=BB6_6801 Depth=2
	v_dual_mov_b32 v19, v53 :: v_dual_bitop2_b32 v18, 7, v22 bitop3:0x40
	v_lshrrev_b32_e32 v9, 3, v23
	s_mov_b32 s41, exec_lo
	v_cmpx_gt_u32_e32 8, v23
; %bb.9245:                             ;   in Loop: Header=BB6_6801 Depth=2
	s_delay_alu instid0(VALU_DEP_3) | instskip(NEXT) | instid1(VALU_DEP_1)
	v_clz_i32_u32_e32 v9, v18
	v_min_u32_e32 v9, 32, v9
	s_delay_alu instid0(VALU_DEP_1) | instskip(NEXT) | instid1(VALU_DEP_1)
	v_subrev_nc_u32_e32 v23, 28, v9
	v_lshlrev_b64_e32 v[18:19], v23, v[18:19]
	s_delay_alu instid0(VALU_DEP_1)
	v_dual_sub_nc_u32 v9, 29, v9 :: v_dual_bitop2_b32 v18, 7, v18 bitop3:0x40
; %bb.9246:                             ;   in Loop: Header=BB6_6801 Depth=2
	s_or_b32 exec_lo, exec_lo, s41
	v_lshlrev_b32_e32 v19, 24, v22
	s_delay_alu instid0(VALU_DEP_2) | instskip(NEXT) | instid1(VALU_DEP_3)
	v_lshlrev_b32_e32 v18, 20, v18
	v_lshl_add_u32 v9, v9, 23, 0x3c000000
	s_delay_alu instid0(VALU_DEP_3) | instskip(NEXT) | instid1(VALU_DEP_1)
	v_and_b32_e32 v19, 0x80000000, v19
	v_or3_b32 v9, v18, v19, v9
.LBB6_9247:                             ;   in Loop: Header=BB6_6801 Depth=2
	s_or_b32 exec_lo, exec_lo, s40
.LBB6_9248:                             ;   in Loop: Header=BB6_6801 Depth=2
	s_delay_alu instid0(SALU_CYCLE_1)
	s_or_b32 exec_lo, exec_lo, s29
.LBB6_9249:                             ;   in Loop: Header=BB6_6801 Depth=2
	s_delay_alu instid0(SALU_CYCLE_1) | instskip(SKIP_2) | instid1(VALU_DEP_1)
	s_or_b32 exec_lo, exec_lo, s7
	v_lshrrev_b32_e32 v18, 16, v21
	s_mov_b32 s7, exec_lo
	v_and_b32_e32 v19, 0xff, v18
	s_delay_alu instid0(VALU_DEP_1)
	v_cmpx_ne_u16_e32 0, v19
	s_cbranch_execz .LBB6_9257
; %bb.9250:                             ;   in Loop: Header=BB6_6801 Depth=2
	v_bfrev_b32_e32 v8, 1
	s_mov_b32 s29, exec_lo
	v_cmpx_ne_u16_e32 0x80, v19
	s_cbranch_execz .LBB6_9256
; %bb.9251:                             ;   in Loop: Header=BB6_6801 Depth=2
	v_bfe_u32 v22, v21, 16, 7
	v_mov_b32_e32 v8, 0x7f800001
	s_mov_b32 s40, exec_lo
	s_delay_alu instid0(VALU_DEP_2)
	v_cmpx_ne_u32_e32 0x7f, v22
	s_cbranch_execz .LBB6_9255
; %bb.9252:                             ;   in Loop: Header=BB6_6801 Depth=2
	v_dual_mov_b32 v19, v53 :: v_dual_bitop2_b32 v18, 7, v18 bitop3:0x40
	v_lshrrev_b32_e32 v8, 3, v22
	s_mov_b32 s41, exec_lo
	v_cmpx_gt_u32_e32 8, v22
; %bb.9253:                             ;   in Loop: Header=BB6_6801 Depth=2
	s_delay_alu instid0(VALU_DEP_3) | instskip(NEXT) | instid1(VALU_DEP_1)
	v_clz_i32_u32_e32 v8, v18
	v_min_u32_e32 v8, 32, v8
	s_delay_alu instid0(VALU_DEP_1) | instskip(NEXT) | instid1(VALU_DEP_1)
	v_subrev_nc_u32_e32 v22, 28, v8
	v_lshlrev_b64_e32 v[18:19], v22, v[18:19]
	s_delay_alu instid0(VALU_DEP_1)
	v_dual_sub_nc_u32 v8, 29, v8 :: v_dual_bitop2_b32 v18, 7, v18 bitop3:0x40
; %bb.9254:                             ;   in Loop: Header=BB6_6801 Depth=2
	s_or_b32 exec_lo, exec_lo, s41
	s_delay_alu instid0(VALU_DEP_1) | instskip(NEXT) | instid1(VALU_DEP_2)
	v_dual_lshlrev_b32 v19, 8, v21 :: v_dual_lshlrev_b32 v18, 20, v18
	v_lshl_add_u32 v8, v8, 23, 0x3c000000
	s_delay_alu instid0(VALU_DEP_2) | instskip(NEXT) | instid1(VALU_DEP_1)
	v_and_b32_e32 v19, 0x80000000, v19
	v_or3_b32 v8, v18, v19, v8
.LBB6_9255:                             ;   in Loop: Header=BB6_6801 Depth=2
	s_or_b32 exec_lo, exec_lo, s40
.LBB6_9256:                             ;   in Loop: Header=BB6_6801 Depth=2
	s_delay_alu instid0(SALU_CYCLE_1)
	s_or_b32 exec_lo, exec_lo, s29
.LBB6_9257:                             ;   in Loop: Header=BB6_6801 Depth=2
	s_delay_alu instid0(SALU_CYCLE_1) | instskip(NEXT) | instid1(VALU_DEP_1)
	s_or_b32 exec_lo, exec_lo, s7
	v_add_f32_e32 v18, v9, v8
	v_mov_b32_e32 v9, v53
	s_delay_alu instid0(VALU_DEP_2) | instskip(NEXT) | instid1(VALU_DEP_1)
	v_and_b32_e32 v8, 0x7f800000, v18
	v_cmp_ne_u64_e32 vcc_lo, 0x7f800000, v[8:9]
	v_lshrrev_b32_e32 v9, 24, v18
                                        ; implicit-def: $vgpr8
	s_and_saveexec_b32 s7, vcc_lo
	s_delay_alu instid0(SALU_CYCLE_1)
	s_xor_b32 s29, exec_lo, s7
	s_cbranch_execz .LBB6_9271
; %bb.9258:                             ;   in Loop: Header=BB6_6801 Depth=2
	v_and_b32_e32 v22, 0x7fffffff, v18
	v_mov_b32_e32 v23, v53
	v_and_b32_e32 v9, 0x80, v9
                                        ; implicit-def: $vgpr8
	s_mov_b32 s7, exec_lo
	s_delay_alu instid0(VALU_DEP_2)
	v_cmpx_gt_u64_e32 0x43e00001, v[22:23]
	s_xor_b32 s40, exec_lo, s7
	s_cbranch_execz .LBB6_9268
; %bb.9259:                             ;   in Loop: Header=BB6_6801 Depth=2
	v_mov_b32_e32 v8, 0
	s_mov_b32 s41, exec_lo
	v_cmpx_ne_u32_e32 0, v18
	s_cbranch_execz .LBB6_9267
; %bb.9260:                             ;   in Loop: Header=BB6_6801 Depth=2
	v_bfe_u32 v8, v18, 23, 8
	v_and_b32_e32 v19, 0x7fffff, v18
	s_delay_alu instid0(VALU_DEP_2) | instskip(SKIP_2) | instid1(VALU_DEP_4)
	v_cmp_gt_u32_e64 s7, 0x7a, v8
	v_sub_nc_u32_e32 v18, 0x79, v8
	v_cmp_eq_u32_e32 vcc_lo, 0, v8
	v_or_b32_e32 v22, 0x800000, v19
	s_delay_alu instid0(VALU_DEP_3) | instskip(NEXT) | instid1(VALU_DEP_1)
	v_cndmask_b32_e64 v18, 0, v18, s7
	v_cndmask_b32_e64 v30, v18, 0x78, vcc_lo
	s_delay_alu instid0(VALU_DEP_3) | instskip(NEXT) | instid1(VALU_DEP_2)
	v_dual_cndmask_b32 v18, v22, v19 :: v_dual_mov_b32 v19, v53
	v_dual_add_nc_u32 v22, 20, v30 :: v_dual_add_nc_u32 v50, 19, v30
	s_delay_alu instid0(VALU_DEP_1) | instskip(NEXT) | instid1(VALU_DEP_2)
	v_lshlrev_b64_e64 v[22:23], v22, -1
	v_lshlrev_b64_e64 v[50:51], v50, 1
	s_delay_alu instid0(VALU_DEP_2) | instskip(SKIP_1) | instid1(VALU_DEP_4)
	v_bfi_b32 v22, v22, 0, v18
	v_lshrrev_b64 v[18:19], v30, v[18:19]
	v_bfi_b32 v23, v23, 0, 0
	s_delay_alu instid0(VALU_DEP_1) | instskip(NEXT) | instid1(VALU_DEP_3)
	v_cmp_eq_u64_e64 s7, v[22:23], v[50:51]
	v_mov_b64_e32 v[22:23], v[18:19]
	s_and_saveexec_b32 s42, s7
; %bb.9261:                             ;   in Loop: Header=BB6_6801 Depth=2
	v_bfe_u32 v22, v18, 20, 1
	v_mov_b32_e32 v23, v53
	s_delay_alu instid0(VALU_DEP_1) | instskip(NEXT) | instid1(VALU_DEP_1)
	v_add_nc_u64_e32 v[22:23], v[18:19], v[22:23]
	v_add_nc_u64_e32 v[22:23], -1, v[22:23]
; %bb.9262:                             ;   in Loop: Header=BB6_6801 Depth=2
	s_or_b32 exec_lo, exec_lo, s42
	v_add_nc_u32_e32 v8, 0xffffff81, v8
	v_lshrrev_b32_e32 v19, 23, v18
	s_mov_b32 s7, exec_lo
	s_delay_alu instid0(VALU_DEP_2) | instskip(NEXT) | instid1(VALU_DEP_1)
	v_cndmask_b32_e64 v8, v8, 0xffffff82, vcc_lo
	v_add3_u32 v23, v30, v8, v19
	v_and_b32_e32 v8, 0xfffff, v22
	s_delay_alu instid0(VALU_DEP_2) | instskip(NEXT) | instid1(VALU_DEP_2)
	v_dual_mov_b32 v19, v53 :: v_dual_add_nc_u32 v22, 6, v23
	v_add_nc_u32_e32 v18, v8, v18
                                        ; implicit-def: $vgpr8
	s_delay_alu instid0(VALU_DEP_2)
	v_cmpx_ne_u32_e32 0, v22
	s_xor_b32 s7, exec_lo, s7
; %bb.9263:                             ;   in Loop: Header=BB6_6801 Depth=2
	s_delay_alu instid0(VALU_DEP_2) | instskip(SKIP_1) | instid1(VALU_DEP_1)
	v_cmp_lt_u64_e32 vcc_lo, 0xffffff, v[18:19]
	v_add_nc_u32_e32 v8, 7, v23
	v_cndmask_b32_e32 v8, v22, v8, vcc_lo
	v_cndmask_b32_e64 v22, 0, 1, vcc_lo
	s_delay_alu instid0(VALU_DEP_1)
	v_lshrrev_b64 v[18:19], v22, v[18:19]
; %bb.9264:                             ;   in Loop: Header=BB6_6801 Depth=2
	s_and_not1_saveexec_b32 s7, s7
; %bb.9265:                             ;   in Loop: Header=BB6_6801 Depth=2
	s_delay_alu instid0(VALU_DEP_1)
	v_bfe_u32 v8, v18, 23, 1
; %bb.9266:                             ;   in Loop: Header=BB6_6801 Depth=2
	s_or_b32 exec_lo, exec_lo, s7
	s_delay_alu instid0(VALU_DEP_2) | instskip(NEXT) | instid1(VALU_DEP_2)
	v_lshrrev_b64 v[18:19], 20, v[18:19]
	v_cmp_gt_i32_e32 vcc_lo, 16, v8
	v_min_i32_e32 v22, 15, v8
	v_cmp_eq_u32_e64 s7, 0, v8
	s_delay_alu instid0(VALU_DEP_2) | instskip(SKIP_1) | instid1(VALU_DEP_2)
	v_dual_cndmask_b32 v19, 0, v19 :: v_dual_lshlrev_b32 v22, 3, v22
	v_cndmask_b32_e32 v18, 7, v18, vcc_lo
	v_and_b32_e32 v22, 0xf8, v22
	s_delay_alu instid0(VALU_DEP_2) | instskip(NEXT) | instid1(VALU_DEP_2)
	v_cmp_eq_u64_e32 vcc_lo, 0, v[18:19]
	v_and_or_b32 v8, v18, 7, v22
	s_and_b32 s7, s7, vcc_lo
	s_delay_alu instid0(VALU_DEP_1) | instid1(SALU_CYCLE_1)
	v_cndmask_b32_e64 v8, v8, 0, s7
	s_delay_alu instid0(VALU_DEP_1)
	v_or_b32_e32 v8, v8, v9
.LBB6_9267:                             ;   in Loop: Header=BB6_6801 Depth=2
	s_or_b32 exec_lo, exec_lo, s41
                                        ; implicit-def: $vgpr9
.LBB6_9268:                             ;   in Loop: Header=BB6_6801 Depth=2
	s_and_not1_saveexec_b32 s7, s40
; %bb.9269:                             ;   in Loop: Header=BB6_6801 Depth=2
	v_or_b32_e32 v8, 0x7e, v9
; %bb.9270:                             ;   in Loop: Header=BB6_6801 Depth=2
	s_or_b32 exec_lo, exec_lo, s7
                                        ; implicit-def: $vgpr9
.LBB6_9271:                             ;   in Loop: Header=BB6_6801 Depth=2
	s_and_not1_saveexec_b32 s7, s29
; %bb.9272:                             ;   in Loop: Header=BB6_6801 Depth=2
	v_or_b32_e32 v8, 0x7f, v9
; %bb.9273:                             ;   in Loop: Header=BB6_6801 Depth=2
	s_or_b32 exec_lo, exec_lo, s7
	v_dual_mov_b32 v9, 0 :: v_dual_mov_b32 v22, 0
	s_mov_b32 s7, exec_lo
	v_cmpx_lt_u32_e32 0xffffff, v52
	s_cbranch_execz .LBB6_9281
; %bb.9274:                             ;   in Loop: Header=BB6_6801 Depth=2
	v_lshrrev_b32_e32 v23, 24, v52
	v_bfrev_b32_e32 v22, 1
	s_mov_b32 s29, exec_lo
	s_delay_alu instid0(VALU_DEP_2)
	v_cmpx_ne_u32_e32 0x80, v23
	s_cbranch_execz .LBB6_9280
; %bb.9275:                             ;   in Loop: Header=BB6_6801 Depth=2
	v_bfe_u32 v18, v52, 24, 7
	v_mov_b32_e32 v22, 0x7f800001
	s_mov_b32 s40, exec_lo
	s_delay_alu instid0(VALU_DEP_2)
	v_cmpx_ne_u32_e32 0x7f, v18
	s_cbranch_execz .LBB6_9279
; %bb.9276:                             ;   in Loop: Header=BB6_6801 Depth=2
	v_dual_lshrrev_b32 v22, 3, v18 :: v_dual_bitop2_b32 v52, 7, v23 bitop3:0x40
	v_cmp_gt_u32_e32 vcc_lo, 8, v18
	s_delay_alu instid0(VALU_DEP_2)
	v_mov_b64_e32 v[18:19], v[52:53]
	s_and_saveexec_b32 s41, vcc_lo
; %bb.9277:                             ;   in Loop: Header=BB6_6801 Depth=2
	v_clz_i32_u32_e32 v18, v52
	s_delay_alu instid0(VALU_DEP_1) | instskip(NEXT) | instid1(VALU_DEP_1)
	v_min_u32_e32 v22, 32, v18
	v_subrev_nc_u32_e32 v18, 28, v22
	v_sub_nc_u32_e32 v22, 29, v22
	s_delay_alu instid0(VALU_DEP_2) | instskip(NEXT) | instid1(VALU_DEP_1)
	v_lshlrev_b64_e32 v[18:19], v18, v[52:53]
	v_and_b32_e32 v18, 7, v18
; %bb.9278:                             ;   in Loop: Header=BB6_6801 Depth=2
	s_or_b32 exec_lo, exec_lo, s41
	s_delay_alu instid0(VALU_DEP_1) | instskip(SKIP_1) | instid1(VALU_DEP_2)
	v_dual_lshlrev_b32 v19, 24, v23 :: v_dual_lshlrev_b32 v18, 20, v18
	v_lshl_add_u32 v22, v22, 23, 0x3c000000
	v_and_b32_e32 v19, 0x80000000, v19
	s_delay_alu instid0(VALU_DEP_1)
	v_or3_b32 v22, v18, v19, v22
.LBB6_9279:                             ;   in Loop: Header=BB6_6801 Depth=2
	s_or_b32 exec_lo, exec_lo, s40
.LBB6_9280:                             ;   in Loop: Header=BB6_6801 Depth=2
	s_delay_alu instid0(SALU_CYCLE_1)
	s_or_b32 exec_lo, exec_lo, s29
.LBB6_9281:                             ;   in Loop: Header=BB6_6801 Depth=2
	s_delay_alu instid0(SALU_CYCLE_1) | instskip(NEXT) | instid1(SALU_CYCLE_1)
	s_or_b32 exec_lo, exec_lo, s7
	s_mov_b32 s7, exec_lo
	v_cmpx_lt_u64_e64 s[12:13], v[20:21]
	s_cbranch_execz .LBB6_9289
; %bb.9282:                             ;   in Loop: Header=BB6_6801 Depth=2
	v_lshrrev_b32_e32 v20, 24, v21
	v_bfrev_b32_e32 v9, 1
	s_mov_b32 s29, exec_lo
	s_delay_alu instid0(VALU_DEP_2)
	v_cmpx_ne_u32_e32 0x80, v20
	s_cbranch_execz .LBB6_9288
; %bb.9283:                             ;   in Loop: Header=BB6_6801 Depth=2
	v_bfe_u32 v18, v21, 24, 7
	v_mov_b32_e32 v9, 0x7f800001
	s_mov_b32 s40, exec_lo
	s_delay_alu instid0(VALU_DEP_2)
	v_cmpx_ne_u32_e32 0x7f, v18
	s_cbranch_execz .LBB6_9287
; %bb.9284:                             ;   in Loop: Header=BB6_6801 Depth=2
	v_dual_lshrrev_b32 v9, 3, v18 :: v_dual_bitop2_b32 v52, 7, v20 bitop3:0x40
	v_cmp_gt_u32_e32 vcc_lo, 8, v18
	s_delay_alu instid0(VALU_DEP_2)
	v_mov_b64_e32 v[18:19], v[52:53]
	s_and_saveexec_b32 s41, vcc_lo
; %bb.9285:                             ;   in Loop: Header=BB6_6801 Depth=2
	v_clz_i32_u32_e32 v9, v52
	s_delay_alu instid0(VALU_DEP_1) | instskip(NEXT) | instid1(VALU_DEP_1)
	v_min_u32_e32 v9, 32, v9
	v_subrev_nc_u32_e32 v18, 28, v9
	s_delay_alu instid0(VALU_DEP_1) | instskip(NEXT) | instid1(VALU_DEP_1)
	v_lshlrev_b64_e32 v[18:19], v18, v[52:53]
	v_dual_sub_nc_u32 v9, 29, v9 :: v_dual_bitop2_b32 v18, 7, v18 bitop3:0x40
; %bb.9286:                             ;   in Loop: Header=BB6_6801 Depth=2
	s_or_b32 exec_lo, exec_lo, s41
	s_delay_alu instid0(VALU_DEP_1) | instskip(NEXT) | instid1(VALU_DEP_2)
	v_dual_lshlrev_b32 v19, 24, v20 :: v_dual_lshlrev_b32 v18, 20, v18
	v_lshl_add_u32 v9, v9, 23, 0x3c000000
	s_delay_alu instid0(VALU_DEP_2) | instskip(NEXT) | instid1(VALU_DEP_1)
	v_and_b32_e32 v19, 0x80000000, v19
	v_or3_b32 v9, v18, v19, v9
.LBB6_9287:                             ;   in Loop: Header=BB6_6801 Depth=2
	s_or_b32 exec_lo, exec_lo, s40
.LBB6_9288:                             ;   in Loop: Header=BB6_6801 Depth=2
	s_delay_alu instid0(SALU_CYCLE_1)
	s_or_b32 exec_lo, exec_lo, s29
.LBB6_9289:                             ;   in Loop: Header=BB6_6801 Depth=2
	s_delay_alu instid0(SALU_CYCLE_1) | instskip(NEXT) | instid1(VALU_DEP_1)
	s_or_b32 exec_lo, exec_lo, s7
	v_add_f32_e32 v18, v22, v9
                                        ; implicit-def: $vgpr9
	s_mov_b32 s7, exec_lo
	s_delay_alu instid0(VALU_DEP_1) | instskip(SKIP_1) | instid1(VALU_DEP_2)
	v_and_b32_e32 v52, 0x7f800000, v18
	v_lshrrev_b32_e32 v19, 24, v18
	v_cmpx_ne_u64_e32 0x7f800000, v[52:53]
	s_xor_b32 s29, exec_lo, s7
	s_cbranch_execz .LBB6_9303
; %bb.9290:                             ;   in Loop: Header=BB6_6801 Depth=2
	v_and_b32_e32 v52, 0x7fffffff, v18
	v_and_b32_e32 v22, 0x80, v19
                                        ; implicit-def: $vgpr9
	s_mov_b32 s7, exec_lo
	s_delay_alu instid0(VALU_DEP_2)
	v_cmpx_gt_u64_e32 0x43e00001, v[52:53]
	s_xor_b32 s40, exec_lo, s7
	s_cbranch_execz .LBB6_9300
; %bb.9291:                             ;   in Loop: Header=BB6_6801 Depth=2
	v_mov_b32_e32 v9, 0
	s_mov_b32 s41, exec_lo
	v_cmpx_ne_u32_e32 0, v18
	s_cbranch_execz .LBB6_9299
; %bb.9292:                             ;   in Loop: Header=BB6_6801 Depth=2
	v_bfe_u32 v9, v18, 23, 8
	v_and_b32_e32 v19, 0x7fffff, v18
	s_delay_alu instid0(VALU_DEP_2) | instskip(SKIP_2) | instid1(VALU_DEP_4)
	v_cmp_gt_u32_e64 s7, 0x7a, v9
	v_sub_nc_u32_e32 v18, 0x79, v9
	v_cmp_eq_u32_e32 vcc_lo, 0, v9
	v_or_b32_e32 v20, 0x800000, v19
	s_delay_alu instid0(VALU_DEP_1) | instskip(NEXT) | instid1(VALU_DEP_1)
	v_dual_cndmask_b32 v18, 0, v18, s7 :: v_dual_cndmask_b32 v52, v20, v19, vcc_lo
	v_cndmask_b32_e64 v23, v18, 0x78, vcc_lo
	s_delay_alu instid0(VALU_DEP_1) | instskip(NEXT) | instid1(VALU_DEP_1)
	v_dual_add_nc_u32 v18, 20, v23 :: v_dual_add_nc_u32 v20, 19, v23
	v_lshlrev_b64_e64 v[18:19], v18, -1
	s_delay_alu instid0(VALU_DEP_2) | instskip(NEXT) | instid1(VALU_DEP_2)
	v_lshlrev_b64_e64 v[20:21], v20, 1
	v_bfi_b32 v19, v19, 0, 0
	s_delay_alu instid0(VALU_DEP_3) | instskip(NEXT) | instid1(VALU_DEP_1)
	v_bfi_b32 v18, v18, 0, v52
	v_cmp_eq_u64_e64 s7, v[18:19], v[20:21]
	v_lshrrev_b64 v[18:19], v23, v[52:53]
	s_delay_alu instid0(VALU_DEP_1)
	v_mov_b64_e32 v[20:21], v[18:19]
	s_and_saveexec_b32 s42, s7
; %bb.9293:                             ;   in Loop: Header=BB6_6801 Depth=2
	v_bfe_u32 v52, v18, 20, 1
	s_delay_alu instid0(VALU_DEP_1) | instskip(NEXT) | instid1(VALU_DEP_1)
	v_add_nc_u64_e32 v[20:21], v[18:19], v[52:53]
	v_add_nc_u64_e32 v[20:21], -1, v[20:21]
; %bb.9294:                             ;   in Loop: Header=BB6_6801 Depth=2
	s_or_b32 exec_lo, exec_lo, s42
	v_add_nc_u32_e32 v9, 0xffffff81, v9
	v_lshrrev_b32_e32 v19, 23, v18
	s_mov_b32 s7, exec_lo
	s_delay_alu instid0(VALU_DEP_2) | instskip(NEXT) | instid1(VALU_DEP_1)
	v_cndmask_b32_e64 v9, v9, 0xffffff82, vcc_lo
	v_add3_u32 v21, v23, v9, v19
	v_and_b32_e32 v9, 0xfffff, v20
	s_delay_alu instid0(VALU_DEP_1) | instskip(NEXT) | instid1(VALU_DEP_1)
	v_dual_add_nc_u32 v20, 6, v21 :: v_dual_add_nc_u32 v52, v9, v18
                                        ; implicit-def: $vgpr18_vgpr19
                                        ; implicit-def: $vgpr9
	v_cmpx_ne_u32_e32 0, v20
	s_xor_b32 s7, exec_lo, s7
; %bb.9295:                             ;   in Loop: Header=BB6_6801 Depth=2
	s_delay_alu instid0(VALU_DEP_2) | instskip(SKIP_2) | instid1(VALU_DEP_2)
	v_cmp_lt_u64_e32 vcc_lo, 0xffffff, v[52:53]
	v_add_nc_u32_e32 v9, 7, v21
	v_cndmask_b32_e64 v18, 0, 1, vcc_lo
	v_cndmask_b32_e32 v9, v20, v9, vcc_lo
	s_delay_alu instid0(VALU_DEP_2)
	v_lshrrev_b64 v[18:19], v18, v[52:53]
; %bb.9296:                             ;   in Loop: Header=BB6_6801 Depth=2
	s_and_not1_saveexec_b32 s7, s7
; %bb.9297:                             ;   in Loop: Header=BB6_6801 Depth=2
	v_mov_b64_e32 v[18:19], v[52:53]
	v_bfe_u32 v9, v52, 23, 1
; %bb.9298:                             ;   in Loop: Header=BB6_6801 Depth=2
	s_or_b32 exec_lo, exec_lo, s7
	s_delay_alu instid0(VALU_DEP_2) | instskip(NEXT) | instid1(VALU_DEP_2)
	v_lshrrev_b64 v[18:19], 20, v[18:19]
	v_cmp_gt_i32_e32 vcc_lo, 16, v9
	v_min_i32_e32 v20, 15, v9
	v_cmp_eq_u32_e64 s7, 0, v9
	s_delay_alu instid0(VALU_DEP_2) | instskip(SKIP_1) | instid1(VALU_DEP_2)
	v_dual_cndmask_b32 v19, 0, v19 :: v_dual_lshlrev_b32 v20, 3, v20
	v_cndmask_b32_e32 v18, 7, v18, vcc_lo
	v_and_b32_e32 v20, 0xf8, v20
	s_delay_alu instid0(VALU_DEP_2) | instskip(NEXT) | instid1(VALU_DEP_2)
	v_cmp_eq_u64_e32 vcc_lo, 0, v[18:19]
	v_and_or_b32 v9, v18, 7, v20
	s_and_b32 s7, s7, vcc_lo
	s_delay_alu instid0(VALU_DEP_1) | instid1(SALU_CYCLE_1)
	v_cndmask_b32_e64 v9, v9, 0, s7
	s_delay_alu instid0(VALU_DEP_1)
	v_or_b32_e32 v9, v9, v22
.LBB6_9299:                             ;   in Loop: Header=BB6_6801 Depth=2
	s_or_b32 exec_lo, exec_lo, s41
                                        ; implicit-def: $vgpr22
.LBB6_9300:                             ;   in Loop: Header=BB6_6801 Depth=2
	s_and_not1_saveexec_b32 s7, s40
; %bb.9301:                             ;   in Loop: Header=BB6_6801 Depth=2
	v_or_b32_e32 v9, 0x7e, v22
; %bb.9302:                             ;   in Loop: Header=BB6_6801 Depth=2
	s_or_b32 exec_lo, exec_lo, s7
                                        ; implicit-def: $vgpr19
.LBB6_9303:                             ;   in Loop: Header=BB6_6801 Depth=2
	s_and_not1_saveexec_b32 s7, s29
; %bb.9304:                             ;   in Loop: Header=BB6_6801 Depth=2
	v_or_b32_e32 v9, 0x7f, v19
; %bb.9305:                             ;   in Loop: Header=BB6_6801 Depth=2
	s_or_b32 exec_lo, exec_lo, s7
	v_lshl_or_b32 v23, v95, 8, v34
	v_dual_lshlrev_b32 v18, 16, v107 :: v_dual_lshlrev_b32 v19, 24, v109
	s_mov_b32 s7, exec_lo
	s_delay_alu instid0(VALU_DEP_1)
	v_or3_b32 v52, v18, v19, v23
	v_dual_mov_b32 v18, 0 :: v_dual_mov_b32 v19, 0
	v_cmpx_ne_u32_e32 0, v34
	s_cbranch_execz .LBB6_9311
; %bb.9306:                             ;   in Loop: Header=BB6_6801 Depth=2
	v_bfrev_b32_e32 v19, 1
	s_mov_b32 s29, exec_lo
	v_cmpx_ne_u32_e32 0x80, v34
	s_cbranch_execz .LBB6_9310
; %bb.9307:                             ;   in Loop: Header=BB6_6801 Depth=2
	v_and_b32_e32 v20, 0x7f, v34
	v_mov_b32_e32 v19, 0x7f800001
	s_mov_b32 s40, exec_lo
	s_delay_alu instid0(VALU_DEP_2)
	v_cmpx_ne_u32_e32 0x7f, v20
	s_cbranch_execz .LBB6_9309
; %bb.9308:                             ;   in Loop: Header=BB6_6801 Depth=2
	v_dual_lshrrev_b32 v21, 3, v20 :: v_dual_bitop2_b32 v19, 7, v34 bitop3:0x40
	v_cmp_gt_u32_e32 vcc_lo, 8, v20
	s_delay_alu instid0(VALU_DEP_2) | instskip(NEXT) | instid1(VALU_DEP_1)
	v_clz_i32_u32_e32 v19, v19
	v_min_u32_e32 v19, 32, v19
	s_delay_alu instid0(VALU_DEP_1) | instskip(NEXT) | instid1(VALU_DEP_1)
	v_subrev_nc_u32_e32 v20, 28, v19
	v_dual_cndmask_b32 v20, 0, v20 :: v_dual_sub_nc_u32 v19, 29, v19
	s_delay_alu instid0(VALU_DEP_1) | instskip(NEXT) | instid1(VALU_DEP_2)
	v_cndmask_b32_e32 v19, v21, v19, vcc_lo
	v_lshlrev_b64_e32 v[20:21], v20, v[52:53]
	v_lshlrev_b32_e32 v21, 24, v52
	s_delay_alu instid0(VALU_DEP_1) | instskip(NEXT) | instid1(VALU_DEP_3)
	v_and_b32_e32 v21, 0x80000000, v21
	v_lshlrev_b32_e32 v20, 20, v20
	v_lshl_add_u32 v19, v19, 23, 0x3c000000
	s_delay_alu instid0(VALU_DEP_2) | instskip(NEXT) | instid1(VALU_DEP_1)
	v_and_b32_e32 v20, 0x700000, v20
	v_or3_b32 v19, v20, v21, v19
.LBB6_9309:                             ;   in Loop: Header=BB6_6801 Depth=2
	s_or_b32 exec_lo, exec_lo, s40
.LBB6_9310:                             ;   in Loop: Header=BB6_6801 Depth=2
	s_delay_alu instid0(SALU_CYCLE_1)
	s_or_b32 exec_lo, exec_lo, s29
.LBB6_9311:                             ;   in Loop: Header=BB6_6801 Depth=2
	s_delay_alu instid0(SALU_CYCLE_1) | instskip(SKIP_3) | instid1(VALU_DEP_1)
	s_or_b32 exec_lo, exec_lo, s7
	s_wait_loadcnt 0x1
	v_and_b32_e32 v20, 0xff, v14
	s_mov_b32 s7, exec_lo
	v_cmpx_ne_u16_e32 0, v20
	s_cbranch_execz .LBB6_9317
; %bb.9312:                             ;   in Loop: Header=BB6_6801 Depth=2
	v_bfrev_b32_e32 v18, 1
	s_mov_b32 s29, exec_lo
	v_cmpx_ne_u16_e32 0x80, v20
	s_cbranch_execz .LBB6_9316
; %bb.9313:                             ;   in Loop: Header=BB6_6801 Depth=2
	v_and_b32_e32 v20, 0x7f, v14
	v_mov_b32_e32 v18, 0x7f800001
	s_mov_b32 s40, exec_lo
	s_delay_alu instid0(VALU_DEP_2)
	v_cmpx_ne_u32_e32 0x7f, v20
	s_cbranch_execz .LBB6_9315
; %bb.9314:                             ;   in Loop: Header=BB6_6801 Depth=2
	v_dual_lshrrev_b32 v21, 3, v20 :: v_dual_bitop2_b32 v18, 7, v14 bitop3:0x40
	v_cmp_gt_u32_e32 vcc_lo, 8, v20
	s_delay_alu instid0(VALU_DEP_2) | instskip(NEXT) | instid1(VALU_DEP_1)
	v_clz_i32_u32_e32 v18, v18
	v_min_u32_e32 v18, 32, v18
	s_delay_alu instid0(VALU_DEP_1) | instskip(NEXT) | instid1(VALU_DEP_1)
	v_subrev_nc_u32_e32 v20, 28, v18
	v_dual_sub_nc_u32 v18, 29, v18 :: v_dual_cndmask_b32 v20, 0, v20, vcc_lo
	s_delay_alu instid0(VALU_DEP_1) | instskip(NEXT) | instid1(VALU_DEP_2)
	v_cndmask_b32_e32 v18, v21, v18, vcc_lo
	v_lshlrev_b64_e32 v[20:21], v20, v[14:15]
	v_lshlrev_b32_e32 v21, 24, v14
	s_delay_alu instid0(VALU_DEP_1) | instskip(NEXT) | instid1(VALU_DEP_3)
	v_and_b32_e32 v21, 0x80000000, v21
	v_lshlrev_b32_e32 v20, 20, v20
	v_lshl_add_u32 v18, v18, 23, 0x3c000000
	s_delay_alu instid0(VALU_DEP_2) | instskip(NEXT) | instid1(VALU_DEP_1)
	v_and_b32_e32 v20, 0x700000, v20
	v_or3_b32 v18, v20, v21, v18
.LBB6_9315:                             ;   in Loop: Header=BB6_6801 Depth=2
	s_or_b32 exec_lo, exec_lo, s40
.LBB6_9316:                             ;   in Loop: Header=BB6_6801 Depth=2
	s_delay_alu instid0(SALU_CYCLE_1)
	s_or_b32 exec_lo, exec_lo, s29
.LBB6_9317:                             ;   in Loop: Header=BB6_6801 Depth=2
	s_delay_alu instid0(SALU_CYCLE_1) | instskip(NEXT) | instid1(VALU_DEP_1)
	s_or_b32 exec_lo, exec_lo, s7
	v_dual_add_f32 v18, v19, v18 :: v_dual_mov_b32 v21, v53
                                        ; implicit-def: $vgpr22
	s_mov_b32 s7, exec_lo
	s_delay_alu instid0(VALU_DEP_1) | instskip(SKIP_1) | instid1(VALU_DEP_2)
	v_and_b32_e32 v20, 0x7f800000, v18
	v_lshrrev_b32_e32 v19, 24, v18
	v_cmpx_ne_u64_e32 0x7f800000, v[20:21]
	s_xor_b32 s29, exec_lo, s7
	s_cbranch_execz .LBB6_9331
; %bb.9318:                             ;   in Loop: Header=BB6_6801 Depth=2
	v_and_b32_e32 v20, 0x7fffffff, v18
	v_mov_b32_e32 v21, v53
	v_and_b32_e32 v30, 0x80, v19
                                        ; implicit-def: $vgpr22
	s_mov_b32 s7, exec_lo
	s_delay_alu instid0(VALU_DEP_2)
	v_cmpx_gt_u64_e32 0x43e00001, v[20:21]
	s_xor_b32 s40, exec_lo, s7
	s_cbranch_execz .LBB6_9328
; %bb.9319:                             ;   in Loop: Header=BB6_6801 Depth=2
	v_mov_b32_e32 v22, 0
	s_mov_b32 s41, exec_lo
	v_cmpx_ne_u32_e32 0, v18
	s_cbranch_execz .LBB6_9327
; %bb.9320:                             ;   in Loop: Header=BB6_6801 Depth=2
	v_bfe_u32 v22, v18, 23, 8
	v_and_b32_e32 v19, 0x7fffff, v18
	s_delay_alu instid0(VALU_DEP_2) | instskip(SKIP_2) | instid1(VALU_DEP_4)
	v_cmp_gt_u32_e64 s7, 0x7a, v22
	v_sub_nc_u32_e32 v18, 0x79, v22
	v_cmp_eq_u32_e32 vcc_lo, 0, v22
	v_or_b32_e32 v20, 0x800000, v19
	s_delay_alu instid0(VALU_DEP_3) | instskip(NEXT) | instid1(VALU_DEP_1)
	v_cndmask_b32_e64 v18, 0, v18, s7
	v_cndmask_b32_e64 v34, v18, 0x78, vcc_lo
	s_delay_alu instid0(VALU_DEP_3) | instskip(NEXT) | instid1(VALU_DEP_2)
	v_dual_cndmask_b32 v18, v20, v19 :: v_dual_mov_b32 v19, v53
	v_dual_add_nc_u32 v20, 20, v34 :: v_dual_add_nc_u32 v50, 19, v34
	s_delay_alu instid0(VALU_DEP_1) | instskip(NEXT) | instid1(VALU_DEP_2)
	v_lshlrev_b64_e64 v[20:21], v20, -1
	v_lshlrev_b64_e64 v[50:51], v50, 1
	s_delay_alu instid0(VALU_DEP_2) | instskip(SKIP_1) | instid1(VALU_DEP_4)
	v_bfi_b32 v20, v20, 0, v18
	v_lshrrev_b64 v[18:19], v34, v[18:19]
	v_bfi_b32 v21, v21, 0, 0
	s_delay_alu instid0(VALU_DEP_1) | instskip(NEXT) | instid1(VALU_DEP_3)
	v_cmp_eq_u64_e64 s7, v[20:21], v[50:51]
	v_mov_b64_e32 v[20:21], v[18:19]
	s_and_saveexec_b32 s42, s7
; %bb.9321:                             ;   in Loop: Header=BB6_6801 Depth=2
	v_bfe_u32 v20, v18, 20, 1
	v_mov_b32_e32 v21, v53
	s_delay_alu instid0(VALU_DEP_1) | instskip(NEXT) | instid1(VALU_DEP_1)
	v_add_nc_u64_e32 v[20:21], v[18:19], v[20:21]
	v_add_nc_u64_e32 v[20:21], -1, v[20:21]
; %bb.9322:                             ;   in Loop: Header=BB6_6801 Depth=2
	s_or_b32 exec_lo, exec_lo, s42
	v_add_nc_u32_e32 v19, 0xffffff81, v22
	v_lshrrev_b32_e32 v21, 23, v18
	s_mov_b32 s7, exec_lo
	s_delay_alu instid0(VALU_DEP_2) | instskip(NEXT) | instid1(VALU_DEP_1)
	v_cndmask_b32_e64 v19, v19, 0xffffff82, vcc_lo
	v_add3_u32 v22, v34, v19, v21
	v_and_b32_e32 v19, 0xfffff, v20
                                        ; implicit-def: $vgpr20
	s_delay_alu instid0(VALU_DEP_2) | instskip(NEXT) | instid1(VALU_DEP_2)
	v_add_nc_u32_e32 v21, 6, v22
	v_dual_mov_b32 v19, v53 :: v_dual_add_nc_u32 v18, v19, v18
	s_delay_alu instid0(VALU_DEP_2)
	v_cmpx_ne_u32_e32 0, v21
	s_xor_b32 s7, exec_lo, s7
; %bb.9323:                             ;   in Loop: Header=BB6_6801 Depth=2
	s_delay_alu instid0(VALU_DEP_2) | instskip(SKIP_1) | instid1(VALU_DEP_1)
	v_cmp_lt_u64_e32 vcc_lo, 0xffffff, v[18:19]
	v_add_nc_u32_e32 v20, 7, v22
	v_cndmask_b32_e32 v20, v21, v20, vcc_lo
	v_cndmask_b32_e64 v21, 0, 1, vcc_lo
	s_delay_alu instid0(VALU_DEP_1)
	v_lshrrev_b64 v[18:19], v21, v[18:19]
; %bb.9324:                             ;   in Loop: Header=BB6_6801 Depth=2
	s_and_not1_saveexec_b32 s7, s7
; %bb.9325:                             ;   in Loop: Header=BB6_6801 Depth=2
	s_delay_alu instid0(VALU_DEP_1)
	v_bfe_u32 v20, v18, 23, 1
; %bb.9326:                             ;   in Loop: Header=BB6_6801 Depth=2
	s_or_b32 exec_lo, exec_lo, s7
	s_delay_alu instid0(VALU_DEP_2) | instskip(NEXT) | instid1(VALU_DEP_2)
	v_lshrrev_b64 v[18:19], 20, v[18:19]
	v_cmp_gt_i32_e32 vcc_lo, 16, v20
	v_min_i32_e32 v21, 15, v20
	v_cmp_eq_u32_e64 s7, 0, v20
	s_delay_alu instid0(VALU_DEP_2) | instskip(SKIP_1) | instid1(VALU_DEP_2)
	v_dual_cndmask_b32 v19, 0, v19, vcc_lo :: v_dual_lshlrev_b32 v21, 3, v21
	v_cndmask_b32_e32 v18, 7, v18, vcc_lo
	v_and_b32_e32 v21, 0xf8, v21
	s_delay_alu instid0(VALU_DEP_2) | instskip(NEXT) | instid1(VALU_DEP_2)
	v_cmp_eq_u64_e32 vcc_lo, 0, v[18:19]
	v_and_or_b32 v18, v18, 7, v21
	s_and_b32 s7, s7, vcc_lo
	s_delay_alu instid0(VALU_DEP_1) | instid1(SALU_CYCLE_1)
	v_cndmask_b32_e64 v18, v18, 0, s7
	s_delay_alu instid0(VALU_DEP_1)
	v_or_b32_e32 v22, v18, v30
.LBB6_9327:                             ;   in Loop: Header=BB6_6801 Depth=2
	s_or_b32 exec_lo, exec_lo, s41
                                        ; implicit-def: $vgpr30
.LBB6_9328:                             ;   in Loop: Header=BB6_6801 Depth=2
	s_and_not1_saveexec_b32 s7, s40
; %bb.9329:                             ;   in Loop: Header=BB6_6801 Depth=2
	v_or_b32_e32 v22, 0x7e, v30
; %bb.9330:                             ;   in Loop: Header=BB6_6801 Depth=2
	s_or_b32 exec_lo, exec_lo, s7
                                        ; implicit-def: $vgpr19
.LBB6_9331:                             ;   in Loop: Header=BB6_6801 Depth=2
	s_and_not1_saveexec_b32 s7, s29
; %bb.9332:                             ;   in Loop: Header=BB6_6801 Depth=2
	v_or_b32_e32 v22, 0x7f, v19
; %bb.9333:                             ;   in Loop: Header=BB6_6801 Depth=2
	s_or_b32 exec_lo, exec_lo, s7
	v_lshrrev_b16 v18, 8, v23
	v_dual_mov_b32 v20, 0 :: v_dual_mov_b32 v21, 0
	s_mov_b32 s7, exec_lo
	s_delay_alu instid0(VALU_DEP_2)
	v_cmpx_ne_u16_e32 0, v18
	s_cbranch_execz .LBB6_9341
; %bb.9334:                             ;   in Loop: Header=BB6_6801 Depth=2
	v_bfrev_b32_e32 v21, 1
	s_mov_b32 s29, exec_lo
	v_cmpx_ne_u16_e32 0x80, v18
	s_cbranch_execz .LBB6_9340
; %bb.9335:                             ;   in Loop: Header=BB6_6801 Depth=2
	v_and_b32_e32 v18, 0xffff, v18
	v_mov_b32_e32 v21, 0x7f800001
	s_mov_b32 s40, exec_lo
	s_delay_alu instid0(VALU_DEP_2) | instskip(NEXT) | instid1(VALU_DEP_1)
	v_and_b32_e32 v30, 0x7f, v18
	v_cmpx_ne_u32_e32 0x7f, v30
	s_cbranch_execz .LBB6_9339
; %bb.9336:                             ;   in Loop: Header=BB6_6801 Depth=2
	v_dual_mov_b32 v19, v53 :: v_dual_bitop2_b32 v18, 7, v18 bitop3:0x40
	v_lshrrev_b32_e32 v21, 3, v30
	s_mov_b32 s41, exec_lo
	v_cmpx_gt_u32_e32 8, v30
; %bb.9337:                             ;   in Loop: Header=BB6_6801 Depth=2
	s_delay_alu instid0(VALU_DEP_3) | instskip(NEXT) | instid1(VALU_DEP_1)
	v_clz_i32_u32_e32 v21, v18
	v_min_u32_e32 v21, 32, v21
	s_delay_alu instid0(VALU_DEP_1) | instskip(NEXT) | instid1(VALU_DEP_1)
	v_subrev_nc_u32_e32 v30, 28, v21
	v_lshlrev_b64_e32 v[18:19], v30, v[18:19]
	s_delay_alu instid0(VALU_DEP_1)
	v_dual_sub_nc_u32 v21, 29, v21 :: v_dual_bitop2_b32 v18, 7, v18 bitop3:0x40
; %bb.9338:                             ;   in Loop: Header=BB6_6801 Depth=2
	s_or_b32 exec_lo, exec_lo, s41
	s_delay_alu instid0(VALU_DEP_1) | instskip(NEXT) | instid1(VALU_DEP_2)
	v_dual_lshlrev_b32 v19, 16, v23 :: v_dual_lshlrev_b32 v18, 20, v18
	v_lshl_add_u32 v21, v21, 23, 0x3c000000
	s_delay_alu instid0(VALU_DEP_2) | instskip(NEXT) | instid1(VALU_DEP_1)
	v_and_b32_e32 v19, 0x80000000, v19
	v_or3_b32 v21, v18, v19, v21
.LBB6_9339:                             ;   in Loop: Header=BB6_6801 Depth=2
	s_or_b32 exec_lo, exec_lo, s40
.LBB6_9340:                             ;   in Loop: Header=BB6_6801 Depth=2
	s_delay_alu instid0(SALU_CYCLE_1)
	s_or_b32 exec_lo, exec_lo, s29
.LBB6_9341:                             ;   in Loop: Header=BB6_6801 Depth=2
	s_delay_alu instid0(SALU_CYCLE_1) | instskip(SKIP_2) | instid1(VALU_DEP_1)
	s_or_b32 exec_lo, exec_lo, s7
	v_lshrrev_b16 v18, 8, v14
	s_mov_b32 s7, exec_lo
	v_cmpx_ne_u16_e32 0, v18
	s_cbranch_execz .LBB6_9349
; %bb.9342:                             ;   in Loop: Header=BB6_6801 Depth=2
	v_bfrev_b32_e32 v20, 1
	s_mov_b32 s29, exec_lo
	v_cmpx_ne_u16_e32 0x80, v18
	s_cbranch_execz .LBB6_9348
; %bb.9343:                             ;   in Loop: Header=BB6_6801 Depth=2
	v_and_b32_e32 v18, 0xffff, v18
	v_mov_b32_e32 v20, 0x7f800001
	s_mov_b32 s40, exec_lo
	s_delay_alu instid0(VALU_DEP_2) | instskip(NEXT) | instid1(VALU_DEP_1)
	v_and_b32_e32 v23, 0x7f, v18
	v_cmpx_ne_u32_e32 0x7f, v23
	s_cbranch_execz .LBB6_9347
; %bb.9344:                             ;   in Loop: Header=BB6_6801 Depth=2
	v_dual_mov_b32 v19, v53 :: v_dual_bitop2_b32 v18, 7, v18 bitop3:0x40
	v_lshrrev_b32_e32 v20, 3, v23
	s_mov_b32 s41, exec_lo
	v_cmpx_gt_u32_e32 8, v23
; %bb.9345:                             ;   in Loop: Header=BB6_6801 Depth=2
	s_delay_alu instid0(VALU_DEP_3) | instskip(NEXT) | instid1(VALU_DEP_1)
	v_clz_i32_u32_e32 v20, v18
	v_min_u32_e32 v20, 32, v20
	s_delay_alu instid0(VALU_DEP_1) | instskip(NEXT) | instid1(VALU_DEP_1)
	v_subrev_nc_u32_e32 v23, 28, v20
	v_lshlrev_b64_e32 v[18:19], v23, v[18:19]
	s_delay_alu instid0(VALU_DEP_1)
	v_dual_sub_nc_u32 v20, 29, v20 :: v_dual_bitop2_b32 v18, 7, v18 bitop3:0x40
; %bb.9346:                             ;   in Loop: Header=BB6_6801 Depth=2
	s_or_b32 exec_lo, exec_lo, s41
	v_lshlrev_b32_e32 v19, 16, v14
	s_delay_alu instid0(VALU_DEP_2) | instskip(NEXT) | instid1(VALU_DEP_3)
	v_lshlrev_b32_e32 v18, 20, v18
	v_lshl_add_u32 v20, v20, 23, 0x3c000000
	s_delay_alu instid0(VALU_DEP_3) | instskip(NEXT) | instid1(VALU_DEP_1)
	v_and_b32_e32 v19, 0x80000000, v19
	v_or3_b32 v20, v18, v19, v20
.LBB6_9347:                             ;   in Loop: Header=BB6_6801 Depth=2
	s_or_b32 exec_lo, exec_lo, s40
.LBB6_9348:                             ;   in Loop: Header=BB6_6801 Depth=2
	s_delay_alu instid0(SALU_CYCLE_1)
	s_or_b32 exec_lo, exec_lo, s29
.LBB6_9349:                             ;   in Loop: Header=BB6_6801 Depth=2
	s_delay_alu instid0(SALU_CYCLE_1) | instskip(NEXT) | instid1(VALU_DEP_1)
	s_or_b32 exec_lo, exec_lo, s7
	v_add_f32_e32 v18, v21, v20
	v_mov_b32_e32 v21, v53
                                        ; implicit-def: $vgpr23
	s_mov_b32 s7, exec_lo
	s_delay_alu instid0(VALU_DEP_2) | instskip(SKIP_1) | instid1(VALU_DEP_2)
	v_and_b32_e32 v20, 0x7f800000, v18
	v_lshrrev_b32_e32 v19, 24, v18
	v_cmpx_ne_u64_e32 0x7f800000, v[20:21]
	s_xor_b32 s29, exec_lo, s7
	s_cbranch_execz .LBB6_9363
; %bb.9350:                             ;   in Loop: Header=BB6_6801 Depth=2
	v_and_b32_e32 v20, 0x7fffffff, v18
	v_mov_b32_e32 v21, v53
	v_and_b32_e32 v30, 0x80, v19
                                        ; implicit-def: $vgpr23
	s_mov_b32 s7, exec_lo
	s_delay_alu instid0(VALU_DEP_2)
	v_cmpx_gt_u64_e32 0x43e00001, v[20:21]
	s_xor_b32 s40, exec_lo, s7
	s_cbranch_execz .LBB6_9360
; %bb.9351:                             ;   in Loop: Header=BB6_6801 Depth=2
	v_mov_b32_e32 v23, 0
	s_mov_b32 s41, exec_lo
	v_cmpx_ne_u32_e32 0, v18
	s_cbranch_execz .LBB6_9359
; %bb.9352:                             ;   in Loop: Header=BB6_6801 Depth=2
	v_bfe_u32 v23, v18, 23, 8
	v_and_b32_e32 v19, 0x7fffff, v18
	s_delay_alu instid0(VALU_DEP_2) | instskip(SKIP_2) | instid1(VALU_DEP_4)
	v_cmp_gt_u32_e64 s7, 0x7a, v23
	v_sub_nc_u32_e32 v18, 0x79, v23
	v_cmp_eq_u32_e32 vcc_lo, 0, v23
	v_or_b32_e32 v20, 0x800000, v19
	s_delay_alu instid0(VALU_DEP_3) | instskip(NEXT) | instid1(VALU_DEP_1)
	v_cndmask_b32_e64 v18, 0, v18, s7
	v_cndmask_b32_e64 v34, v18, 0x78, vcc_lo
	s_delay_alu instid0(VALU_DEP_3) | instskip(NEXT) | instid1(VALU_DEP_2)
	v_dual_cndmask_b32 v18, v20, v19 :: v_dual_mov_b32 v19, v53
	v_dual_add_nc_u32 v20, 20, v34 :: v_dual_add_nc_u32 v50, 19, v34
	s_delay_alu instid0(VALU_DEP_1) | instskip(NEXT) | instid1(VALU_DEP_2)
	v_lshlrev_b64_e64 v[20:21], v20, -1
	v_lshlrev_b64_e64 v[50:51], v50, 1
	s_delay_alu instid0(VALU_DEP_2) | instskip(SKIP_1) | instid1(VALU_DEP_4)
	v_bfi_b32 v20, v20, 0, v18
	v_lshrrev_b64 v[18:19], v34, v[18:19]
	v_bfi_b32 v21, v21, 0, 0
	s_delay_alu instid0(VALU_DEP_1) | instskip(NEXT) | instid1(VALU_DEP_3)
	v_cmp_eq_u64_e64 s7, v[20:21], v[50:51]
	v_mov_b64_e32 v[20:21], v[18:19]
	s_and_saveexec_b32 s42, s7
; %bb.9353:                             ;   in Loop: Header=BB6_6801 Depth=2
	v_bfe_u32 v20, v18, 20, 1
	v_mov_b32_e32 v21, v53
	s_delay_alu instid0(VALU_DEP_1) | instskip(NEXT) | instid1(VALU_DEP_1)
	v_add_nc_u64_e32 v[20:21], v[18:19], v[20:21]
	v_add_nc_u64_e32 v[20:21], -1, v[20:21]
; %bb.9354:                             ;   in Loop: Header=BB6_6801 Depth=2
	s_or_b32 exec_lo, exec_lo, s42
	v_add_nc_u32_e32 v19, 0xffffff81, v23
	v_lshrrev_b32_e32 v21, 23, v18
	s_mov_b32 s7, exec_lo
	s_delay_alu instid0(VALU_DEP_2) | instskip(NEXT) | instid1(VALU_DEP_1)
	v_cndmask_b32_e64 v19, v19, 0xffffff82, vcc_lo
	v_add3_u32 v23, v34, v19, v21
	v_and_b32_e32 v19, 0xfffff, v20
                                        ; implicit-def: $vgpr20
	s_delay_alu instid0(VALU_DEP_1) | instskip(SKIP_1) | instid1(VALU_DEP_2)
	v_dual_add_nc_u32 v21, 6, v23 :: v_dual_add_nc_u32 v18, v19, v18
	v_mov_b32_e32 v19, v53
	v_cmpx_ne_u32_e32 0, v21
	s_xor_b32 s7, exec_lo, s7
; %bb.9355:                             ;   in Loop: Header=BB6_6801 Depth=2
	s_delay_alu instid0(VALU_DEP_2) | instskip(SKIP_1) | instid1(VALU_DEP_1)
	v_cmp_lt_u64_e32 vcc_lo, 0xffffff, v[18:19]
	v_add_nc_u32_e32 v20, 7, v23
	v_cndmask_b32_e32 v20, v21, v20, vcc_lo
	v_cndmask_b32_e64 v21, 0, 1, vcc_lo
	s_delay_alu instid0(VALU_DEP_1)
	v_lshrrev_b64 v[18:19], v21, v[18:19]
; %bb.9356:                             ;   in Loop: Header=BB6_6801 Depth=2
	s_and_not1_saveexec_b32 s7, s7
; %bb.9357:                             ;   in Loop: Header=BB6_6801 Depth=2
	s_delay_alu instid0(VALU_DEP_1)
	v_bfe_u32 v20, v18, 23, 1
; %bb.9358:                             ;   in Loop: Header=BB6_6801 Depth=2
	s_or_b32 exec_lo, exec_lo, s7
	s_delay_alu instid0(VALU_DEP_2) | instskip(NEXT) | instid1(VALU_DEP_2)
	v_lshrrev_b64 v[18:19], 20, v[18:19]
	v_cmp_gt_i32_e32 vcc_lo, 16, v20
	v_min_i32_e32 v21, 15, v20
	v_cmp_eq_u32_e64 s7, 0, v20
	s_delay_alu instid0(VALU_DEP_2) | instskip(SKIP_1) | instid1(VALU_DEP_2)
	v_dual_cndmask_b32 v19, 0, v19, vcc_lo :: v_dual_lshlrev_b32 v21, 3, v21
	v_cndmask_b32_e32 v18, 7, v18, vcc_lo
	v_and_b32_e32 v21, 0xf8, v21
	s_delay_alu instid0(VALU_DEP_2) | instskip(NEXT) | instid1(VALU_DEP_2)
	v_cmp_eq_u64_e32 vcc_lo, 0, v[18:19]
	v_and_or_b32 v18, v18, 7, v21
	s_and_b32 s7, s7, vcc_lo
	s_delay_alu instid0(VALU_DEP_1) | instid1(SALU_CYCLE_1)
	v_cndmask_b32_e64 v18, v18, 0, s7
	s_delay_alu instid0(VALU_DEP_1)
	v_or_b32_e32 v23, v18, v30
.LBB6_9359:                             ;   in Loop: Header=BB6_6801 Depth=2
	s_or_b32 exec_lo, exec_lo, s41
                                        ; implicit-def: $vgpr30
.LBB6_9360:                             ;   in Loop: Header=BB6_6801 Depth=2
	s_and_not1_saveexec_b32 s7, s40
; %bb.9361:                             ;   in Loop: Header=BB6_6801 Depth=2
	v_or_b32_e32 v23, 0x7e, v30
; %bb.9362:                             ;   in Loop: Header=BB6_6801 Depth=2
	s_or_b32 exec_lo, exec_lo, s7
                                        ; implicit-def: $vgpr19
.LBB6_9363:                             ;   in Loop: Header=BB6_6801 Depth=2
	s_and_not1_saveexec_b32 s7, s29
; %bb.9364:                             ;   in Loop: Header=BB6_6801 Depth=2
	v_or_b32_e32 v23, 0x7f, v19
; %bb.9365:                             ;   in Loop: Header=BB6_6801 Depth=2
	s_or_b32 exec_lo, exec_lo, s7
	v_dual_lshrrev_b32 v30, 16, v52 :: v_dual_mov_b32 v20, 0
	v_mov_b32_e32 v21, 0
	s_mov_b32 s7, exec_lo
	s_delay_alu instid0(VALU_DEP_2) | instskip(NEXT) | instid1(VALU_DEP_1)
	v_and_b32_e32 v18, 0xff, v30
	v_cmpx_ne_u16_e32 0, v18
	s_cbranch_execz .LBB6_9373
; %bb.9366:                             ;   in Loop: Header=BB6_6801 Depth=2
	v_bfrev_b32_e32 v21, 1
	s_mov_b32 s29, exec_lo
	v_cmpx_ne_u16_e32 0x80, v18
	s_cbranch_execz .LBB6_9372
; %bb.9367:                             ;   in Loop: Header=BB6_6801 Depth=2
	v_bfe_u32 v34, v52, 16, 7
	v_mov_b32_e32 v21, 0x7f800001
	s_mov_b32 s40, exec_lo
	s_delay_alu instid0(VALU_DEP_2)
	v_cmpx_ne_u32_e32 0x7f, v34
	s_cbranch_execz .LBB6_9371
; %bb.9368:                             ;   in Loop: Header=BB6_6801 Depth=2
	v_dual_mov_b32 v19, v53 :: v_dual_bitop2_b32 v18, 7, v30 bitop3:0x40
	v_lshrrev_b32_e32 v21, 3, v34
	s_mov_b32 s41, exec_lo
	v_cmpx_gt_u32_e32 8, v34
; %bb.9369:                             ;   in Loop: Header=BB6_6801 Depth=2
	s_delay_alu instid0(VALU_DEP_3) | instskip(NEXT) | instid1(VALU_DEP_1)
	v_clz_i32_u32_e32 v21, v18
	v_min_u32_e32 v21, 32, v21
	s_delay_alu instid0(VALU_DEP_1) | instskip(NEXT) | instid1(VALU_DEP_1)
	v_subrev_nc_u32_e32 v34, 28, v21
	v_lshlrev_b64_e32 v[18:19], v34, v[18:19]
	s_delay_alu instid0(VALU_DEP_1)
	v_dual_sub_nc_u32 v21, 29, v21 :: v_dual_bitop2_b32 v18, 7, v18 bitop3:0x40
; %bb.9370:                             ;   in Loop: Header=BB6_6801 Depth=2
	s_or_b32 exec_lo, exec_lo, s41
	v_lshlrev_b32_e32 v19, 24, v30
	s_delay_alu instid0(VALU_DEP_2) | instskip(NEXT) | instid1(VALU_DEP_3)
	v_lshlrev_b32_e32 v18, 20, v18
	v_lshl_add_u32 v21, v21, 23, 0x3c000000
	s_delay_alu instid0(VALU_DEP_3) | instskip(NEXT) | instid1(VALU_DEP_1)
	v_and_b32_e32 v19, 0x80000000, v19
	v_or3_b32 v21, v18, v19, v21
.LBB6_9371:                             ;   in Loop: Header=BB6_6801 Depth=2
	s_or_b32 exec_lo, exec_lo, s40
.LBB6_9372:                             ;   in Loop: Header=BB6_6801 Depth=2
	s_delay_alu instid0(SALU_CYCLE_1)
	s_or_b32 exec_lo, exec_lo, s29
.LBB6_9373:                             ;   in Loop: Header=BB6_6801 Depth=2
	s_delay_alu instid0(SALU_CYCLE_1) | instskip(SKIP_2) | instid1(VALU_DEP_1)
	s_or_b32 exec_lo, exec_lo, s7
	v_lshrrev_b32_e32 v18, 16, v14
	s_mov_b32 s7, exec_lo
	v_and_b32_e32 v19, 0xff, v18
	s_delay_alu instid0(VALU_DEP_1)
	v_cmpx_ne_u16_e32 0, v19
	s_cbranch_execz .LBB6_9381
; %bb.9374:                             ;   in Loop: Header=BB6_6801 Depth=2
	v_bfrev_b32_e32 v20, 1
	s_mov_b32 s29, exec_lo
	v_cmpx_ne_u16_e32 0x80, v19
	s_cbranch_execz .LBB6_9380
; %bb.9375:                             ;   in Loop: Header=BB6_6801 Depth=2
	v_bfe_u32 v30, v14, 16, 7
	v_mov_b32_e32 v20, 0x7f800001
	s_mov_b32 s40, exec_lo
	s_delay_alu instid0(VALU_DEP_2)
	v_cmpx_ne_u32_e32 0x7f, v30
	s_cbranch_execz .LBB6_9379
; %bb.9376:                             ;   in Loop: Header=BB6_6801 Depth=2
	v_dual_mov_b32 v19, v53 :: v_dual_bitop2_b32 v18, 7, v18 bitop3:0x40
	v_lshrrev_b32_e32 v20, 3, v30
	s_mov_b32 s41, exec_lo
	v_cmpx_gt_u32_e32 8, v30
; %bb.9377:                             ;   in Loop: Header=BB6_6801 Depth=2
	s_delay_alu instid0(VALU_DEP_3) | instskip(NEXT) | instid1(VALU_DEP_1)
	v_clz_i32_u32_e32 v20, v18
	v_min_u32_e32 v20, 32, v20
	s_delay_alu instid0(VALU_DEP_1) | instskip(NEXT) | instid1(VALU_DEP_1)
	v_subrev_nc_u32_e32 v30, 28, v20
	v_lshlrev_b64_e32 v[18:19], v30, v[18:19]
	s_delay_alu instid0(VALU_DEP_1)
	v_dual_sub_nc_u32 v20, 29, v20 :: v_dual_bitop2_b32 v18, 7, v18 bitop3:0x40
; %bb.9378:                             ;   in Loop: Header=BB6_6801 Depth=2
	s_or_b32 exec_lo, exec_lo, s41
	v_lshlrev_b32_e32 v19, 8, v14
	s_delay_alu instid0(VALU_DEP_2) | instskip(NEXT) | instid1(VALU_DEP_3)
	v_lshlrev_b32_e32 v18, 20, v18
	v_lshl_add_u32 v20, v20, 23, 0x3c000000
	s_delay_alu instid0(VALU_DEP_3) | instskip(NEXT) | instid1(VALU_DEP_1)
	v_and_b32_e32 v19, 0x80000000, v19
	v_or3_b32 v20, v18, v19, v20
.LBB6_9379:                             ;   in Loop: Header=BB6_6801 Depth=2
	s_or_b32 exec_lo, exec_lo, s40
.LBB6_9380:                             ;   in Loop: Header=BB6_6801 Depth=2
	s_delay_alu instid0(SALU_CYCLE_1)
	s_or_b32 exec_lo, exec_lo, s29
.LBB6_9381:                             ;   in Loop: Header=BB6_6801 Depth=2
	s_delay_alu instid0(SALU_CYCLE_1) | instskip(NEXT) | instid1(VALU_DEP_1)
	s_or_b32 exec_lo, exec_lo, s7
	v_add_f32_e32 v18, v21, v20
	v_mov_b32_e32 v21, v53
                                        ; implicit-def: $vgpr34
	s_mov_b32 s7, exec_lo
	s_delay_alu instid0(VALU_DEP_2) | instskip(SKIP_1) | instid1(VALU_DEP_2)
	v_and_b32_e32 v20, 0x7f800000, v18
	v_lshrrev_b32_e32 v19, 24, v18
	v_cmpx_ne_u64_e32 0x7f800000, v[20:21]
	s_xor_b32 s29, exec_lo, s7
	s_cbranch_execz .LBB6_9395
; %bb.9382:                             ;   in Loop: Header=BB6_6801 Depth=2
	v_and_b32_e32 v20, 0x7fffffff, v18
	v_mov_b32_e32 v21, v53
	v_and_b32_e32 v30, 0x80, v19
                                        ; implicit-def: $vgpr34
	s_mov_b32 s7, exec_lo
	s_delay_alu instid0(VALU_DEP_2)
	v_cmpx_gt_u64_e32 0x43e00001, v[20:21]
	s_xor_b32 s40, exec_lo, s7
	s_cbranch_execz .LBB6_9392
; %bb.9383:                             ;   in Loop: Header=BB6_6801 Depth=2
	v_mov_b32_e32 v34, 0
	s_mov_b32 s41, exec_lo
	v_cmpx_ne_u32_e32 0, v18
	s_cbranch_execz .LBB6_9391
; %bb.9384:                             ;   in Loop: Header=BB6_6801 Depth=2
	v_bfe_u32 v34, v18, 23, 8
	v_and_b32_e32 v19, 0x7fffff, v18
	s_delay_alu instid0(VALU_DEP_2) | instskip(SKIP_2) | instid1(VALU_DEP_4)
	v_cmp_gt_u32_e64 s7, 0x7a, v34
	v_sub_nc_u32_e32 v18, 0x79, v34
	v_cmp_eq_u32_e32 vcc_lo, 0, v34
	v_or_b32_e32 v20, 0x800000, v19
	s_delay_alu instid0(VALU_DEP_3) | instskip(NEXT) | instid1(VALU_DEP_1)
	v_cndmask_b32_e64 v18, 0, v18, s7
	v_cndmask_b32_e64 v50, v18, 0x78, vcc_lo
	s_delay_alu instid0(VALU_DEP_3) | instskip(NEXT) | instid1(VALU_DEP_2)
	v_dual_cndmask_b32 v18, v20, v19 :: v_dual_mov_b32 v19, v53
	v_dual_add_nc_u32 v20, 20, v50 :: v_dual_add_nc_u32 v51, 19, v50
	s_delay_alu instid0(VALU_DEP_1) | instskip(NEXT) | instid1(VALU_DEP_2)
	v_lshlrev_b64_e64 v[20:21], v20, -1
	v_lshlrev_b64_e64 v[116:117], v51, 1
	s_delay_alu instid0(VALU_DEP_2) | instskip(SKIP_1) | instid1(VALU_DEP_4)
	v_bfi_b32 v20, v20, 0, v18
	v_lshrrev_b64 v[18:19], v50, v[18:19]
	v_bfi_b32 v21, v21, 0, 0
	s_delay_alu instid0(VALU_DEP_1) | instskip(NEXT) | instid1(VALU_DEP_3)
	v_cmp_eq_u64_e64 s7, v[20:21], v[116:117]
	v_mov_b64_e32 v[20:21], v[18:19]
	s_and_saveexec_b32 s42, s7
; %bb.9385:                             ;   in Loop: Header=BB6_6801 Depth=2
	v_bfe_u32 v20, v18, 20, 1
	v_mov_b32_e32 v21, v53
	s_delay_alu instid0(VALU_DEP_1) | instskip(NEXT) | instid1(VALU_DEP_1)
	v_add_nc_u64_e32 v[20:21], v[18:19], v[20:21]
	v_add_nc_u64_e32 v[20:21], -1, v[20:21]
; %bb.9386:                             ;   in Loop: Header=BB6_6801 Depth=2
	s_or_b32 exec_lo, exec_lo, s42
	v_add_nc_u32_e32 v19, 0xffffff81, v34
	v_lshrrev_b32_e32 v21, 23, v18
	s_mov_b32 s7, exec_lo
	s_delay_alu instid0(VALU_DEP_2) | instskip(NEXT) | instid1(VALU_DEP_1)
	v_cndmask_b32_e64 v19, v19, 0xffffff82, vcc_lo
	v_add3_u32 v34, v50, v19, v21
	v_and_b32_e32 v19, 0xfffff, v20
                                        ; implicit-def: $vgpr20
	s_delay_alu instid0(VALU_DEP_2) | instskip(NEXT) | instid1(VALU_DEP_2)
	v_add_nc_u32_e32 v21, 6, v34
	v_dual_mov_b32 v19, v53 :: v_dual_add_nc_u32 v18, v19, v18
	s_delay_alu instid0(VALU_DEP_2)
	v_cmpx_ne_u32_e32 0, v21
	s_xor_b32 s7, exec_lo, s7
; %bb.9387:                             ;   in Loop: Header=BB6_6801 Depth=2
	s_delay_alu instid0(VALU_DEP_2) | instskip(SKIP_1) | instid1(VALU_DEP_1)
	v_cmp_lt_u64_e32 vcc_lo, 0xffffff, v[18:19]
	v_add_nc_u32_e32 v20, 7, v34
	v_cndmask_b32_e32 v20, v21, v20, vcc_lo
	v_cndmask_b32_e64 v21, 0, 1, vcc_lo
	s_delay_alu instid0(VALU_DEP_1)
	v_lshrrev_b64 v[18:19], v21, v[18:19]
; %bb.9388:                             ;   in Loop: Header=BB6_6801 Depth=2
	s_and_not1_saveexec_b32 s7, s7
; %bb.9389:                             ;   in Loop: Header=BB6_6801 Depth=2
	s_delay_alu instid0(VALU_DEP_1)
	v_bfe_u32 v20, v18, 23, 1
; %bb.9390:                             ;   in Loop: Header=BB6_6801 Depth=2
	s_or_b32 exec_lo, exec_lo, s7
	s_delay_alu instid0(VALU_DEP_2) | instskip(NEXT) | instid1(VALU_DEP_2)
	v_lshrrev_b64 v[18:19], 20, v[18:19]
	v_cmp_gt_i32_e32 vcc_lo, 16, v20
	v_min_i32_e32 v21, 15, v20
	v_cmp_eq_u32_e64 s7, 0, v20
	s_delay_alu instid0(VALU_DEP_2) | instskip(SKIP_1) | instid1(VALU_DEP_2)
	v_dual_cndmask_b32 v19, 0, v19, vcc_lo :: v_dual_lshlrev_b32 v21, 3, v21
	v_cndmask_b32_e32 v18, 7, v18, vcc_lo
	v_and_b32_e32 v21, 0xf8, v21
	s_delay_alu instid0(VALU_DEP_2) | instskip(NEXT) | instid1(VALU_DEP_2)
	v_cmp_eq_u64_e32 vcc_lo, 0, v[18:19]
	v_and_or_b32 v18, v18, 7, v21
	s_and_b32 s7, s7, vcc_lo
	s_delay_alu instid0(VALU_DEP_1) | instid1(SALU_CYCLE_1)
	v_cndmask_b32_e64 v18, v18, 0, s7
	s_delay_alu instid0(VALU_DEP_1)
	v_or_b32_e32 v34, v18, v30
.LBB6_9391:                             ;   in Loop: Header=BB6_6801 Depth=2
	s_or_b32 exec_lo, exec_lo, s41
                                        ; implicit-def: $vgpr30
.LBB6_9392:                             ;   in Loop: Header=BB6_6801 Depth=2
	s_and_not1_saveexec_b32 s7, s40
; %bb.9393:                             ;   in Loop: Header=BB6_6801 Depth=2
	v_or_b32_e32 v34, 0x7e, v30
; %bb.9394:                             ;   in Loop: Header=BB6_6801 Depth=2
	s_or_b32 exec_lo, exec_lo, s7
                                        ; implicit-def: $vgpr19
.LBB6_9395:                             ;   in Loop: Header=BB6_6801 Depth=2
	s_and_not1_saveexec_b32 s7, s29
; %bb.9396:                             ;   in Loop: Header=BB6_6801 Depth=2
	v_or_b32_e32 v34, 0x7f, v19
; %bb.9397:                             ;   in Loop: Header=BB6_6801 Depth=2
	s_or_b32 exec_lo, exec_lo, s7
	v_dual_mov_b32 v20, 0 :: v_dual_mov_b32 v21, 0
	s_mov_b32 s7, exec_lo
	v_cmpx_lt_u32_e32 0xffffff, v52
	s_cbranch_execz .LBB6_9405
; %bb.9398:                             ;   in Loop: Header=BB6_6801 Depth=2
	v_lshrrev_b32_e32 v30, 24, v52
	v_bfrev_b32_e32 v21, 1
	s_mov_b32 s29, exec_lo
	s_delay_alu instid0(VALU_DEP_2)
	v_cmpx_ne_u32_e32 0x80, v30
	s_cbranch_execz .LBB6_9404
; %bb.9399:                             ;   in Loop: Header=BB6_6801 Depth=2
	v_bfe_u32 v18, v52, 24, 7
	v_mov_b32_e32 v21, 0x7f800001
	s_mov_b32 s40, exec_lo
	s_delay_alu instid0(VALU_DEP_2)
	v_cmpx_ne_u32_e32 0x7f, v18
	s_cbranch_execz .LBB6_9403
; %bb.9400:                             ;   in Loop: Header=BB6_6801 Depth=2
	v_and_b32_e32 v52, 7, v30
	v_lshrrev_b32_e32 v21, 3, v18
	v_cmp_gt_u32_e32 vcc_lo, 8, v18
	s_delay_alu instid0(VALU_DEP_3)
	v_mov_b64_e32 v[18:19], v[52:53]
	s_and_saveexec_b32 s41, vcc_lo
; %bb.9401:                             ;   in Loop: Header=BB6_6801 Depth=2
	v_clz_i32_u32_e32 v18, v52
	s_delay_alu instid0(VALU_DEP_1) | instskip(NEXT) | instid1(VALU_DEP_1)
	v_min_u32_e32 v21, 32, v18
	v_subrev_nc_u32_e32 v18, 28, v21
	s_delay_alu instid0(VALU_DEP_1) | instskip(NEXT) | instid1(VALU_DEP_1)
	v_lshlrev_b64_e32 v[18:19], v18, v[52:53]
	v_dual_sub_nc_u32 v21, 29, v21 :: v_dual_bitop2_b32 v18, 7, v18 bitop3:0x40
; %bb.9402:                             ;   in Loop: Header=BB6_6801 Depth=2
	s_or_b32 exec_lo, exec_lo, s41
	v_lshlrev_b32_e32 v19, 24, v30
	s_delay_alu instid0(VALU_DEP_2) | instskip(NEXT) | instid1(VALU_DEP_3)
	v_lshlrev_b32_e32 v18, 20, v18
	v_lshl_add_u32 v21, v21, 23, 0x3c000000
	s_delay_alu instid0(VALU_DEP_3) | instskip(NEXT) | instid1(VALU_DEP_1)
	v_and_b32_e32 v19, 0x80000000, v19
	v_or3_b32 v21, v18, v19, v21
.LBB6_9403:                             ;   in Loop: Header=BB6_6801 Depth=2
	s_or_b32 exec_lo, exec_lo, s40
.LBB6_9404:                             ;   in Loop: Header=BB6_6801 Depth=2
	s_delay_alu instid0(SALU_CYCLE_1)
	s_or_b32 exec_lo, exec_lo, s29
.LBB6_9405:                             ;   in Loop: Header=BB6_6801 Depth=2
	s_delay_alu instid0(SALU_CYCLE_1) | instskip(NEXT) | instid1(SALU_CYCLE_1)
	s_or_b32 exec_lo, exec_lo, s7
	s_mov_b32 s7, exec_lo
	v_cmpx_lt_u32_e32 0xffffff, v14
	s_cbranch_execz .LBB6_9413
; %bb.9406:                             ;   in Loop: Header=BB6_6801 Depth=2
	v_lshrrev_b32_e32 v30, 24, v14
	v_bfrev_b32_e32 v20, 1
	s_mov_b32 s29, exec_lo
	s_delay_alu instid0(VALU_DEP_2)
	v_cmpx_ne_u32_e32 0x80, v30
	s_cbranch_execz .LBB6_9412
; %bb.9407:                             ;   in Loop: Header=BB6_6801 Depth=2
	v_bfe_u32 v18, v14, 24, 7
	v_mov_b32_e32 v20, 0x7f800001
	s_mov_b32 s40, exec_lo
	s_delay_alu instid0(VALU_DEP_2)
	v_cmpx_ne_u32_e32 0x7f, v18
	s_cbranch_execz .LBB6_9411
; %bb.9408:                             ;   in Loop: Header=BB6_6801 Depth=2
	v_and_b32_e32 v52, 7, v30
	v_lshrrev_b32_e32 v20, 3, v18
	v_cmp_gt_u32_e32 vcc_lo, 8, v18
	s_delay_alu instid0(VALU_DEP_3)
	v_mov_b64_e32 v[18:19], v[52:53]
	s_and_saveexec_b32 s41, vcc_lo
; %bb.9409:                             ;   in Loop: Header=BB6_6801 Depth=2
	v_clz_i32_u32_e32 v18, v52
	s_delay_alu instid0(VALU_DEP_1) | instskip(NEXT) | instid1(VALU_DEP_1)
	v_min_u32_e32 v20, 32, v18
	v_subrev_nc_u32_e32 v18, 28, v20
	s_delay_alu instid0(VALU_DEP_1) | instskip(NEXT) | instid1(VALU_DEP_1)
	v_lshlrev_b64_e32 v[18:19], v18, v[52:53]
	v_dual_sub_nc_u32 v20, 29, v20 :: v_dual_bitop2_b32 v18, 7, v18 bitop3:0x40
; %bb.9410:                             ;   in Loop: Header=BB6_6801 Depth=2
	s_or_b32 exec_lo, exec_lo, s41
	v_lshlrev_b32_e32 v19, 24, v30
	s_delay_alu instid0(VALU_DEP_2) | instskip(NEXT) | instid1(VALU_DEP_3)
	v_lshlrev_b32_e32 v18, 20, v18
	v_lshl_add_u32 v20, v20, 23, 0x3c000000
	s_delay_alu instid0(VALU_DEP_3) | instskip(NEXT) | instid1(VALU_DEP_1)
	v_and_b32_e32 v19, 0x80000000, v19
	v_or3_b32 v20, v18, v19, v20
.LBB6_9411:                             ;   in Loop: Header=BB6_6801 Depth=2
	s_or_b32 exec_lo, exec_lo, s40
.LBB6_9412:                             ;   in Loop: Header=BB6_6801 Depth=2
	s_delay_alu instid0(SALU_CYCLE_1)
	s_or_b32 exec_lo, exec_lo, s29
.LBB6_9413:                             ;   in Loop: Header=BB6_6801 Depth=2
	s_delay_alu instid0(SALU_CYCLE_1) | instskip(NEXT) | instid1(VALU_DEP_1)
	s_or_b32 exec_lo, exec_lo, s7
	v_add_f32_e32 v18, v21, v20
                                        ; implicit-def: $vgpr30
	s_mov_b32 s7, exec_lo
	s_delay_alu instid0(VALU_DEP_1) | instskip(SKIP_1) | instid1(VALU_DEP_2)
	v_and_b32_e32 v52, 0x7f800000, v18
	v_lshrrev_b32_e32 v19, 24, v18
	v_cmpx_ne_u64_e32 0x7f800000, v[52:53]
	s_xor_b32 s29, exec_lo, s7
	s_cbranch_execz .LBB6_9427
; %bb.9414:                             ;   in Loop: Header=BB6_6801 Depth=2
	v_and_b32_e32 v52, 0x7fffffff, v18
	v_and_b32_e32 v50, 0x80, v19
                                        ; implicit-def: $vgpr30
	s_mov_b32 s7, exec_lo
	s_delay_alu instid0(VALU_DEP_2)
	v_cmpx_gt_u64_e32 0x43e00001, v[52:53]
	s_xor_b32 s40, exec_lo, s7
	s_cbranch_execz .LBB6_9424
; %bb.9415:                             ;   in Loop: Header=BB6_6801 Depth=2
	v_mov_b32_e32 v30, 0
	s_mov_b32 s41, exec_lo
	v_cmpx_ne_u32_e32 0, v18
	s_cbranch_execz .LBB6_9423
; %bb.9416:                             ;   in Loop: Header=BB6_6801 Depth=2
	v_bfe_u32 v30, v18, 23, 8
	v_and_b32_e32 v19, 0x7fffff, v18
	s_delay_alu instid0(VALU_DEP_2) | instskip(SKIP_2) | instid1(VALU_DEP_4)
	v_cmp_gt_u32_e64 s7, 0x7a, v30
	v_sub_nc_u32_e32 v18, 0x79, v30
	v_cmp_eq_u32_e32 vcc_lo, 0, v30
	v_or_b32_e32 v20, 0x800000, v19
	s_delay_alu instid0(VALU_DEP_1) | instskip(NEXT) | instid1(VALU_DEP_1)
	v_dual_cndmask_b32 v18, 0, v18, s7 :: v_dual_cndmask_b32 v52, v20, v19, vcc_lo
	v_cndmask_b32_e64 v51, v18, 0x78, vcc_lo
	s_delay_alu instid0(VALU_DEP_1) | instskip(NEXT) | instid1(VALU_DEP_1)
	v_dual_add_nc_u32 v18, 20, v51 :: v_dual_add_nc_u32 v20, 19, v51
	v_lshlrev_b64_e64 v[18:19], v18, -1
	s_delay_alu instid0(VALU_DEP_2) | instskip(NEXT) | instid1(VALU_DEP_2)
	v_lshlrev_b64_e64 v[20:21], v20, 1
	v_bfi_b32 v19, v19, 0, 0
	s_delay_alu instid0(VALU_DEP_3) | instskip(NEXT) | instid1(VALU_DEP_1)
	v_bfi_b32 v18, v18, 0, v52
	v_cmp_eq_u64_e64 s7, v[18:19], v[20:21]
	v_lshrrev_b64 v[18:19], v51, v[52:53]
	s_delay_alu instid0(VALU_DEP_1)
	v_mov_b64_e32 v[20:21], v[18:19]
	s_and_saveexec_b32 s42, s7
; %bb.9417:                             ;   in Loop: Header=BB6_6801 Depth=2
	v_bfe_u32 v52, v18, 20, 1
	s_delay_alu instid0(VALU_DEP_1) | instskip(NEXT) | instid1(VALU_DEP_1)
	v_add_nc_u64_e32 v[20:21], v[18:19], v[52:53]
	v_add_nc_u64_e32 v[20:21], -1, v[20:21]
; %bb.9418:                             ;   in Loop: Header=BB6_6801 Depth=2
	s_or_b32 exec_lo, exec_lo, s42
	v_add_nc_u32_e32 v19, 0xffffff81, v30
	v_lshrrev_b32_e32 v21, 23, v18
	s_mov_b32 s7, exec_lo
	s_delay_alu instid0(VALU_DEP_2) | instskip(NEXT) | instid1(VALU_DEP_1)
	v_cndmask_b32_e64 v19, v19, 0xffffff82, vcc_lo
	v_add3_u32 v30, v51, v19, v21
	v_and_b32_e32 v19, 0xfffff, v20
                                        ; implicit-def: $vgpr20
	s_delay_alu instid0(VALU_DEP_2) | instskip(NEXT) | instid1(VALU_DEP_2)
	v_add_nc_u32_e32 v21, 6, v30
	v_add_nc_u32_e32 v52, v19, v18
                                        ; implicit-def: $vgpr18_vgpr19
	s_delay_alu instid0(VALU_DEP_2)
	v_cmpx_ne_u32_e32 0, v21
	s_xor_b32 s7, exec_lo, s7
; %bb.9419:                             ;   in Loop: Header=BB6_6801 Depth=2
	s_delay_alu instid0(VALU_DEP_2) | instskip(SKIP_1) | instid1(VALU_DEP_1)
	v_cmp_lt_u64_e32 vcc_lo, 0xffffff, v[52:53]
	v_add_nc_u32_e32 v18, 7, v30
	v_cndmask_b32_e32 v20, v21, v18, vcc_lo
	v_cndmask_b32_e64 v18, 0, 1, vcc_lo
	s_delay_alu instid0(VALU_DEP_1)
	v_lshrrev_b64 v[18:19], v18, v[52:53]
; %bb.9420:                             ;   in Loop: Header=BB6_6801 Depth=2
	s_and_not1_saveexec_b32 s7, s7
; %bb.9421:                             ;   in Loop: Header=BB6_6801 Depth=2
	v_mov_b64_e32 v[18:19], v[52:53]
	v_bfe_u32 v20, v52, 23, 1
; %bb.9422:                             ;   in Loop: Header=BB6_6801 Depth=2
	s_or_b32 exec_lo, exec_lo, s7
	s_delay_alu instid0(VALU_DEP_2) | instskip(NEXT) | instid1(VALU_DEP_2)
	v_lshrrev_b64 v[18:19], 20, v[18:19]
	v_cmp_gt_i32_e32 vcc_lo, 16, v20
	v_min_i32_e32 v21, 15, v20
	v_cmp_eq_u32_e64 s7, 0, v20
	s_delay_alu instid0(VALU_DEP_2) | instskip(SKIP_1) | instid1(VALU_DEP_2)
	v_dual_cndmask_b32 v19, 0, v19, vcc_lo :: v_dual_lshlrev_b32 v21, 3, v21
	v_cndmask_b32_e32 v18, 7, v18, vcc_lo
	v_and_b32_e32 v21, 0xf8, v21
	s_delay_alu instid0(VALU_DEP_2) | instskip(NEXT) | instid1(VALU_DEP_2)
	v_cmp_eq_u64_e32 vcc_lo, 0, v[18:19]
	v_and_or_b32 v18, v18, 7, v21
	s_and_b32 s7, s7, vcc_lo
	s_delay_alu instid0(VALU_DEP_1) | instid1(SALU_CYCLE_1)
	v_cndmask_b32_e64 v18, v18, 0, s7
	s_delay_alu instid0(VALU_DEP_1)
	v_or_b32_e32 v30, v18, v50
.LBB6_9423:                             ;   in Loop: Header=BB6_6801 Depth=2
	s_or_b32 exec_lo, exec_lo, s41
                                        ; implicit-def: $vgpr50
.LBB6_9424:                             ;   in Loop: Header=BB6_6801 Depth=2
	s_and_not1_saveexec_b32 s7, s40
; %bb.9425:                             ;   in Loop: Header=BB6_6801 Depth=2
	v_or_b32_e32 v30, 0x7e, v50
; %bb.9426:                             ;   in Loop: Header=BB6_6801 Depth=2
	s_or_b32 exec_lo, exec_lo, s7
                                        ; implicit-def: $vgpr19
.LBB6_9427:                             ;   in Loop: Header=BB6_6801 Depth=2
	s_and_not1_saveexec_b32 s7, s29
; %bb.9428:                             ;   in Loop: Header=BB6_6801 Depth=2
	v_or_b32_e32 v30, 0x7f, v19
; %bb.9429:                             ;   in Loop: Header=BB6_6801 Depth=2
	s_or_b32 exec_lo, exec_lo, s7
	v_lshl_or_b32 v50, v92, 8, v89
	v_dual_lshlrev_b32 v18, 16, v35 :: v_dual_lshlrev_b32 v19, 24, v104
	s_mov_b32 s7, exec_lo
	s_delay_alu instid0(VALU_DEP_1)
	v_or3_b32 v52, v18, v19, v50
	v_dual_mov_b32 v18, 0 :: v_dual_mov_b32 v19, 0
	v_cmpx_ne_u32_e32 0, v89
	s_cbranch_execz .LBB6_9435
; %bb.9430:                             ;   in Loop: Header=BB6_6801 Depth=2
	v_bfrev_b32_e32 v19, 1
	s_mov_b32 s29, exec_lo
	v_cmpx_ne_u32_e32 0x80, v89
	s_cbranch_execz .LBB6_9434
; %bb.9431:                             ;   in Loop: Header=BB6_6801 Depth=2
	v_and_b32_e32 v20, 0x7f, v89
	v_mov_b32_e32 v19, 0x7f800001
	s_mov_b32 s40, exec_lo
	s_delay_alu instid0(VALU_DEP_2)
	v_cmpx_ne_u32_e32 0x7f, v20
	s_cbranch_execz .LBB6_9433
; %bb.9432:                             ;   in Loop: Header=BB6_6801 Depth=2
	v_dual_lshrrev_b32 v21, 3, v20 :: v_dual_bitop2_b32 v19, 7, v89 bitop3:0x40
	v_cmp_gt_u32_e32 vcc_lo, 8, v20
	s_delay_alu instid0(VALU_DEP_2) | instskip(NEXT) | instid1(VALU_DEP_1)
	v_clz_i32_u32_e32 v19, v19
	v_min_u32_e32 v19, 32, v19
	s_delay_alu instid0(VALU_DEP_1) | instskip(NEXT) | instid1(VALU_DEP_1)
	v_subrev_nc_u32_e32 v20, 28, v19
	v_dual_cndmask_b32 v20, 0, v20 :: v_dual_sub_nc_u32 v19, 29, v19
	s_delay_alu instid0(VALU_DEP_1) | instskip(NEXT) | instid1(VALU_DEP_2)
	v_cndmask_b32_e32 v19, v21, v19, vcc_lo
	v_lshlrev_b64_e32 v[20:21], v20, v[52:53]
	v_lshlrev_b32_e32 v21, 24, v52
	s_delay_alu instid0(VALU_DEP_1) | instskip(NEXT) | instid1(VALU_DEP_3)
	v_and_b32_e32 v21, 0x80000000, v21
	v_lshlrev_b32_e32 v20, 20, v20
	v_lshl_add_u32 v19, v19, 23, 0x3c000000
	s_delay_alu instid0(VALU_DEP_2) | instskip(NEXT) | instid1(VALU_DEP_1)
	v_and_b32_e32 v20, 0x700000, v20
	v_or3_b32 v19, v20, v21, v19
.LBB6_9433:                             ;   in Loop: Header=BB6_6801 Depth=2
	s_or_b32 exec_lo, exec_lo, s40
.LBB6_9434:                             ;   in Loop: Header=BB6_6801 Depth=2
	s_delay_alu instid0(SALU_CYCLE_1)
	s_or_b32 exec_lo, exec_lo, s29
.LBB6_9435:                             ;   in Loop: Header=BB6_6801 Depth=2
	s_delay_alu instid0(SALU_CYCLE_1) | instskip(SKIP_2) | instid1(VALU_DEP_1)
	s_or_b32 exec_lo, exec_lo, s7
	v_and_b32_e32 v20, 0xff, v15
	s_mov_b32 s7, exec_lo
	v_cmpx_ne_u16_e32 0, v20
	s_cbranch_execz .LBB6_9441
; %bb.9436:                             ;   in Loop: Header=BB6_6801 Depth=2
	v_bfrev_b32_e32 v18, 1
	s_mov_b32 s29, exec_lo
	v_cmpx_ne_u16_e32 0x80, v20
	s_cbranch_execz .LBB6_9440
; %bb.9437:                             ;   in Loop: Header=BB6_6801 Depth=2
	v_and_b32_e32 v20, 0x7f, v15
	v_mov_b32_e32 v18, 0x7f800001
	s_mov_b32 s40, exec_lo
	s_delay_alu instid0(VALU_DEP_2)
	v_cmpx_ne_u32_e32 0x7f, v20
	s_cbranch_execz .LBB6_9439
; %bb.9438:                             ;   in Loop: Header=BB6_6801 Depth=2
	v_dual_lshrrev_b32 v35, 3, v20 :: v_dual_bitop2_b32 v18, 7, v15 bitop3:0x40
	v_cmp_gt_u32_e32 vcc_lo, 8, v20
	v_mov_b32_e32 v20, v15
	s_delay_alu instid0(VALU_DEP_3) | instskip(NEXT) | instid1(VALU_DEP_1)
	v_clz_i32_u32_e32 v18, v18
	v_min_u32_e32 v18, 32, v18
	s_delay_alu instid0(VALU_DEP_1) | instskip(SKIP_1) | instid1(VALU_DEP_2)
	v_sub_nc_u32_e32 v51, 29, v18
	v_subrev_nc_u32_e32 v18, 28, v18
	v_dual_mov_b32 v21, v53 :: v_dual_cndmask_b32 v35, v35, v51, vcc_lo
	s_delay_alu instid0(VALU_DEP_2) | instskip(NEXT) | instid1(VALU_DEP_1)
	v_cndmask_b32_e32 v18, 0, v18, vcc_lo
	v_lshlrev_b64_e32 v[116:117], v18, v[20:21]
	v_lshlrev_b32_e32 v18, 24, v20
	s_delay_alu instid0(VALU_DEP_4) | instskip(NEXT) | instid1(VALU_DEP_2)
	v_lshl_add_u32 v21, v35, 23, 0x3c000000
	v_and_b32_e32 v18, 0x80000000, v18
	s_delay_alu instid0(VALU_DEP_4) | instskip(NEXT) | instid1(VALU_DEP_1)
	v_lshlrev_b32_e32 v20, 20, v116
	v_and_b32_e32 v20, 0x700000, v20
	s_delay_alu instid0(VALU_DEP_1)
	v_or3_b32 v18, v20, v18, v21
.LBB6_9439:                             ;   in Loop: Header=BB6_6801 Depth=2
	s_or_b32 exec_lo, exec_lo, s40
.LBB6_9440:                             ;   in Loop: Header=BB6_6801 Depth=2
	s_delay_alu instid0(SALU_CYCLE_1)
	s_or_b32 exec_lo, exec_lo, s29
.LBB6_9441:                             ;   in Loop: Header=BB6_6801 Depth=2
	s_delay_alu instid0(SALU_CYCLE_1) | instskip(NEXT) | instid1(VALU_DEP_1)
	s_or_b32 exec_lo, exec_lo, s7
	v_dual_add_f32 v18, v19, v18 :: v_dual_mov_b32 v21, v53
                                        ; implicit-def: $vgpr35
	s_mov_b32 s7, exec_lo
	s_delay_alu instid0(VALU_DEP_1) | instskip(SKIP_1) | instid1(VALU_DEP_2)
	v_and_b32_e32 v20, 0x7f800000, v18
	v_lshrrev_b32_e32 v19, 24, v18
	v_cmpx_ne_u64_e32 0x7f800000, v[20:21]
	s_xor_b32 s29, exec_lo, s7
	s_cbranch_execz .LBB6_9455
; %bb.9442:                             ;   in Loop: Header=BB6_6801 Depth=2
	v_and_b32_e32 v20, 0x7fffffff, v18
	v_mov_b32_e32 v21, v53
	v_and_b32_e32 v51, 0x80, v19
                                        ; implicit-def: $vgpr35
	s_mov_b32 s7, exec_lo
	s_delay_alu instid0(VALU_DEP_2)
	v_cmpx_gt_u64_e32 0x43e00001, v[20:21]
	s_xor_b32 s40, exec_lo, s7
	s_cbranch_execz .LBB6_9452
; %bb.9443:                             ;   in Loop: Header=BB6_6801 Depth=2
	v_mov_b32_e32 v35, 0
	s_mov_b32 s41, exec_lo
	v_cmpx_ne_u32_e32 0, v18
	s_cbranch_execz .LBB6_9451
; %bb.9444:                             ;   in Loop: Header=BB6_6801 Depth=2
	v_bfe_u32 v35, v18, 23, 8
	v_and_b32_e32 v19, 0x7fffff, v18
	s_delay_alu instid0(VALU_DEP_2) | instskip(SKIP_2) | instid1(VALU_DEP_4)
	v_cmp_gt_u32_e64 s7, 0x7a, v35
	v_sub_nc_u32_e32 v18, 0x79, v35
	v_cmp_eq_u32_e32 vcc_lo, 0, v35
	v_or_b32_e32 v20, 0x800000, v19
	s_delay_alu instid0(VALU_DEP_3) | instskip(NEXT) | instid1(VALU_DEP_1)
	v_cndmask_b32_e64 v18, 0, v18, s7
	v_cndmask_b32_e64 v65, v18, 0x78, vcc_lo
	s_delay_alu instid0(VALU_DEP_3) | instskip(NEXT) | instid1(VALU_DEP_2)
	v_dual_cndmask_b32 v18, v20, v19 :: v_dual_mov_b32 v19, v53
	v_dual_add_nc_u32 v20, 20, v65 :: v_dual_add_nc_u32 v116, 19, v65
	s_delay_alu instid0(VALU_DEP_1) | instskip(NEXT) | instid1(VALU_DEP_2)
	v_lshlrev_b64_e64 v[20:21], v20, -1
	v_lshlrev_b64_e64 v[116:117], v116, 1
	s_delay_alu instid0(VALU_DEP_2) | instskip(SKIP_1) | instid1(VALU_DEP_4)
	v_bfi_b32 v20, v20, 0, v18
	v_lshrrev_b64 v[18:19], v65, v[18:19]
	v_bfi_b32 v21, v21, 0, 0
	s_delay_alu instid0(VALU_DEP_1) | instskip(NEXT) | instid1(VALU_DEP_3)
	v_cmp_eq_u64_e64 s7, v[20:21], v[116:117]
	v_mov_b64_e32 v[20:21], v[18:19]
	s_and_saveexec_b32 s42, s7
; %bb.9445:                             ;   in Loop: Header=BB6_6801 Depth=2
	v_bfe_u32 v20, v18, 20, 1
	v_mov_b32_e32 v21, v53
	s_delay_alu instid0(VALU_DEP_1) | instskip(NEXT) | instid1(VALU_DEP_1)
	v_add_nc_u64_e32 v[20:21], v[18:19], v[20:21]
	v_add_nc_u64_e32 v[20:21], -1, v[20:21]
; %bb.9446:                             ;   in Loop: Header=BB6_6801 Depth=2
	s_or_b32 exec_lo, exec_lo, s42
	v_add_nc_u32_e32 v19, 0xffffff81, v35
	v_lshrrev_b32_e32 v21, 23, v18
	s_mov_b32 s7, exec_lo
	s_delay_alu instid0(VALU_DEP_2) | instskip(NEXT) | instid1(VALU_DEP_1)
	v_cndmask_b32_e64 v19, v19, 0xffffff82, vcc_lo
	v_add3_u32 v35, v65, v19, v21
	v_and_b32_e32 v19, 0xfffff, v20
                                        ; implicit-def: $vgpr20
	s_delay_alu instid0(VALU_DEP_1) | instskip(SKIP_1) | instid1(VALU_DEP_2)
	v_dual_add_nc_u32 v21, 6, v35 :: v_dual_add_nc_u32 v18, v19, v18
	v_mov_b32_e32 v19, v53
	v_cmpx_ne_u32_e32 0, v21
	s_xor_b32 s7, exec_lo, s7
; %bb.9447:                             ;   in Loop: Header=BB6_6801 Depth=2
	s_delay_alu instid0(VALU_DEP_2) | instskip(SKIP_1) | instid1(VALU_DEP_1)
	v_cmp_lt_u64_e32 vcc_lo, 0xffffff, v[18:19]
	v_add_nc_u32_e32 v20, 7, v35
	v_cndmask_b32_e32 v20, v21, v20, vcc_lo
	v_cndmask_b32_e64 v21, 0, 1, vcc_lo
	s_delay_alu instid0(VALU_DEP_1)
	v_lshrrev_b64 v[18:19], v21, v[18:19]
; %bb.9448:                             ;   in Loop: Header=BB6_6801 Depth=2
	s_and_not1_saveexec_b32 s7, s7
; %bb.9449:                             ;   in Loop: Header=BB6_6801 Depth=2
	s_delay_alu instid0(VALU_DEP_1)
	v_bfe_u32 v20, v18, 23, 1
; %bb.9450:                             ;   in Loop: Header=BB6_6801 Depth=2
	s_or_b32 exec_lo, exec_lo, s7
	s_delay_alu instid0(VALU_DEP_2) | instskip(NEXT) | instid1(VALU_DEP_2)
	v_lshrrev_b64 v[18:19], 20, v[18:19]
	v_cmp_gt_i32_e32 vcc_lo, 16, v20
	v_min_i32_e32 v21, 15, v20
	v_cmp_eq_u32_e64 s7, 0, v20
	s_delay_alu instid0(VALU_DEP_2) | instskip(SKIP_1) | instid1(VALU_DEP_2)
	v_dual_cndmask_b32 v19, 0, v19, vcc_lo :: v_dual_lshlrev_b32 v21, 3, v21
	v_cndmask_b32_e32 v18, 7, v18, vcc_lo
	v_and_b32_e32 v21, 0xf8, v21
	s_delay_alu instid0(VALU_DEP_2) | instskip(NEXT) | instid1(VALU_DEP_2)
	v_cmp_eq_u64_e32 vcc_lo, 0, v[18:19]
	v_and_or_b32 v18, v18, 7, v21
	s_and_b32 s7, s7, vcc_lo
	s_delay_alu instid0(VALU_DEP_1) | instid1(SALU_CYCLE_1)
	v_cndmask_b32_e64 v18, v18, 0, s7
	s_delay_alu instid0(VALU_DEP_1)
	v_or_b32_e32 v35, v18, v51
.LBB6_9451:                             ;   in Loop: Header=BB6_6801 Depth=2
	s_or_b32 exec_lo, exec_lo, s41
                                        ; implicit-def: $vgpr51
.LBB6_9452:                             ;   in Loop: Header=BB6_6801 Depth=2
	s_and_not1_saveexec_b32 s7, s40
; %bb.9453:                             ;   in Loop: Header=BB6_6801 Depth=2
	v_or_b32_e32 v35, 0x7e, v51
; %bb.9454:                             ;   in Loop: Header=BB6_6801 Depth=2
	s_or_b32 exec_lo, exec_lo, s7
                                        ; implicit-def: $vgpr19
.LBB6_9455:                             ;   in Loop: Header=BB6_6801 Depth=2
	s_and_not1_saveexec_b32 s7, s29
; %bb.9456:                             ;   in Loop: Header=BB6_6801 Depth=2
	v_or_b32_e32 v35, 0x7f, v19
; %bb.9457:                             ;   in Loop: Header=BB6_6801 Depth=2
	s_or_b32 exec_lo, exec_lo, s7
	v_lshrrev_b16 v18, 8, v50
	v_dual_mov_b32 v20, 0 :: v_dual_mov_b32 v21, 0
	s_mov_b32 s7, exec_lo
	s_delay_alu instid0(VALU_DEP_2)
	v_cmpx_ne_u16_e32 0, v18
	s_cbranch_execz .LBB6_9465
; %bb.9458:                             ;   in Loop: Header=BB6_6801 Depth=2
	v_bfrev_b32_e32 v21, 1
	s_mov_b32 s29, exec_lo
	v_cmpx_ne_u16_e32 0x80, v18
	s_cbranch_execz .LBB6_9464
; %bb.9459:                             ;   in Loop: Header=BB6_6801 Depth=2
	v_and_b32_e32 v18, 0xffff, v18
	v_mov_b32_e32 v21, 0x7f800001
	s_mov_b32 s40, exec_lo
	s_delay_alu instid0(VALU_DEP_2) | instskip(NEXT) | instid1(VALU_DEP_1)
	v_and_b32_e32 v51, 0x7f, v18
	v_cmpx_ne_u32_e32 0x7f, v51
	s_cbranch_execz .LBB6_9463
; %bb.9460:                             ;   in Loop: Header=BB6_6801 Depth=2
	v_dual_mov_b32 v19, v53 :: v_dual_bitop2_b32 v18, 7, v18 bitop3:0x40
	v_lshrrev_b32_e32 v21, 3, v51
	s_mov_b32 s41, exec_lo
	v_cmpx_gt_u32_e32 8, v51
; %bb.9461:                             ;   in Loop: Header=BB6_6801 Depth=2
	s_delay_alu instid0(VALU_DEP_3) | instskip(NEXT) | instid1(VALU_DEP_1)
	v_clz_i32_u32_e32 v21, v18
	v_min_u32_e32 v21, 32, v21
	s_delay_alu instid0(VALU_DEP_1) | instskip(NEXT) | instid1(VALU_DEP_1)
	v_subrev_nc_u32_e32 v51, 28, v21
	v_lshlrev_b64_e32 v[18:19], v51, v[18:19]
	s_delay_alu instid0(VALU_DEP_1)
	v_dual_sub_nc_u32 v21, 29, v21 :: v_dual_bitop2_b32 v18, 7, v18 bitop3:0x40
; %bb.9462:                             ;   in Loop: Header=BB6_6801 Depth=2
	s_or_b32 exec_lo, exec_lo, s41
	v_lshlrev_b32_e32 v19, 16, v50
	s_delay_alu instid0(VALU_DEP_2) | instskip(NEXT) | instid1(VALU_DEP_3)
	v_lshlrev_b32_e32 v18, 20, v18
	v_lshl_add_u32 v21, v21, 23, 0x3c000000
	s_delay_alu instid0(VALU_DEP_3) | instskip(NEXT) | instid1(VALU_DEP_1)
	v_and_b32_e32 v19, 0x80000000, v19
	v_or3_b32 v21, v18, v19, v21
.LBB6_9463:                             ;   in Loop: Header=BB6_6801 Depth=2
	s_or_b32 exec_lo, exec_lo, s40
.LBB6_9464:                             ;   in Loop: Header=BB6_6801 Depth=2
	s_delay_alu instid0(SALU_CYCLE_1)
	s_or_b32 exec_lo, exec_lo, s29
.LBB6_9465:                             ;   in Loop: Header=BB6_6801 Depth=2
	s_delay_alu instid0(SALU_CYCLE_1) | instskip(SKIP_2) | instid1(VALU_DEP_1)
	s_or_b32 exec_lo, exec_lo, s7
	v_lshrrev_b16 v18, 8, v15
	s_mov_b32 s7, exec_lo
	v_cmpx_ne_u16_e32 0, v18
	s_cbranch_execz .LBB6_9473
; %bb.9466:                             ;   in Loop: Header=BB6_6801 Depth=2
	v_bfrev_b32_e32 v20, 1
	s_mov_b32 s29, exec_lo
	v_cmpx_ne_u16_e32 0x80, v18
	s_cbranch_execz .LBB6_9472
; %bb.9467:                             ;   in Loop: Header=BB6_6801 Depth=2
	v_and_b32_e32 v18, 0xffff, v18
	v_mov_b32_e32 v20, 0x7f800001
	s_mov_b32 s40, exec_lo
	s_delay_alu instid0(VALU_DEP_2) | instskip(NEXT) | instid1(VALU_DEP_1)
	v_and_b32_e32 v50, 0x7f, v18
	v_cmpx_ne_u32_e32 0x7f, v50
	s_cbranch_execz .LBB6_9471
; %bb.9468:                             ;   in Loop: Header=BB6_6801 Depth=2
	v_dual_mov_b32 v19, v53 :: v_dual_bitop2_b32 v18, 7, v18 bitop3:0x40
	v_lshrrev_b32_e32 v20, 3, v50
	s_mov_b32 s41, exec_lo
	v_cmpx_gt_u32_e32 8, v50
; %bb.9469:                             ;   in Loop: Header=BB6_6801 Depth=2
	s_delay_alu instid0(VALU_DEP_3) | instskip(NEXT) | instid1(VALU_DEP_1)
	v_clz_i32_u32_e32 v20, v18
	v_min_u32_e32 v20, 32, v20
	s_delay_alu instid0(VALU_DEP_1) | instskip(NEXT) | instid1(VALU_DEP_1)
	v_subrev_nc_u32_e32 v50, 28, v20
	v_lshlrev_b64_e32 v[18:19], v50, v[18:19]
	s_delay_alu instid0(VALU_DEP_1)
	v_dual_sub_nc_u32 v20, 29, v20 :: v_dual_bitop2_b32 v18, 7, v18 bitop3:0x40
; %bb.9470:                             ;   in Loop: Header=BB6_6801 Depth=2
	s_or_b32 exec_lo, exec_lo, s41
	s_delay_alu instid0(VALU_DEP_1) | instskip(NEXT) | instid1(VALU_DEP_2)
	v_dual_lshlrev_b32 v19, 16, v15 :: v_dual_lshlrev_b32 v18, 20, v18
	v_lshl_add_u32 v20, v20, 23, 0x3c000000
	s_delay_alu instid0(VALU_DEP_2) | instskip(NEXT) | instid1(VALU_DEP_1)
	v_and_b32_e32 v19, 0x80000000, v19
	v_or3_b32 v20, v18, v19, v20
.LBB6_9471:                             ;   in Loop: Header=BB6_6801 Depth=2
	s_or_b32 exec_lo, exec_lo, s40
.LBB6_9472:                             ;   in Loop: Header=BB6_6801 Depth=2
	s_delay_alu instid0(SALU_CYCLE_1)
	s_or_b32 exec_lo, exec_lo, s29
.LBB6_9473:                             ;   in Loop: Header=BB6_6801 Depth=2
	s_delay_alu instid0(SALU_CYCLE_1) | instskip(NEXT) | instid1(VALU_DEP_1)
	s_or_b32 exec_lo, exec_lo, s7
	v_add_f32_e32 v18, v21, v20
	v_mov_b32_e32 v21, v53
                                        ; implicit-def: $vgpr50
	s_mov_b32 s7, exec_lo
	s_delay_alu instid0(VALU_DEP_2) | instskip(SKIP_1) | instid1(VALU_DEP_2)
	v_and_b32_e32 v20, 0x7f800000, v18
	v_lshrrev_b32_e32 v19, 24, v18
	v_cmpx_ne_u64_e32 0x7f800000, v[20:21]
	s_xor_b32 s29, exec_lo, s7
	s_cbranch_execz .LBB6_9487
; %bb.9474:                             ;   in Loop: Header=BB6_6801 Depth=2
	v_and_b32_e32 v20, 0x7fffffff, v18
	v_mov_b32_e32 v21, v53
	v_and_b32_e32 v51, 0x80, v19
                                        ; implicit-def: $vgpr50
	s_mov_b32 s7, exec_lo
	s_delay_alu instid0(VALU_DEP_2)
	v_cmpx_gt_u64_e32 0x43e00001, v[20:21]
	s_xor_b32 s40, exec_lo, s7
	s_cbranch_execz .LBB6_9484
; %bb.9475:                             ;   in Loop: Header=BB6_6801 Depth=2
	v_mov_b32_e32 v50, 0
	s_mov_b32 s41, exec_lo
	v_cmpx_ne_u32_e32 0, v18
	s_cbranch_execz .LBB6_9483
; %bb.9476:                             ;   in Loop: Header=BB6_6801 Depth=2
	v_bfe_u32 v50, v18, 23, 8
	v_and_b32_e32 v19, 0x7fffff, v18
	s_delay_alu instid0(VALU_DEP_2) | instskip(SKIP_2) | instid1(VALU_DEP_4)
	v_cmp_gt_u32_e64 s7, 0x7a, v50
	v_sub_nc_u32_e32 v18, 0x79, v50
	v_cmp_eq_u32_e32 vcc_lo, 0, v50
	v_or_b32_e32 v20, 0x800000, v19
	s_delay_alu instid0(VALU_DEP_3) | instskip(NEXT) | instid1(VALU_DEP_1)
	v_cndmask_b32_e64 v18, 0, v18, s7
	v_cndmask_b32_e64 v65, v18, 0x78, vcc_lo
	s_delay_alu instid0(VALU_DEP_3) | instskip(NEXT) | instid1(VALU_DEP_2)
	v_dual_cndmask_b32 v18, v20, v19 :: v_dual_mov_b32 v19, v53
	v_dual_add_nc_u32 v20, 20, v65 :: v_dual_add_nc_u32 v116, 19, v65
	s_delay_alu instid0(VALU_DEP_1) | instskip(NEXT) | instid1(VALU_DEP_2)
	v_lshlrev_b64_e64 v[20:21], v20, -1
	v_lshlrev_b64_e64 v[116:117], v116, 1
	s_delay_alu instid0(VALU_DEP_2) | instskip(SKIP_1) | instid1(VALU_DEP_4)
	v_bfi_b32 v20, v20, 0, v18
	v_lshrrev_b64 v[18:19], v65, v[18:19]
	v_bfi_b32 v21, v21, 0, 0
	s_delay_alu instid0(VALU_DEP_1) | instskip(NEXT) | instid1(VALU_DEP_3)
	v_cmp_eq_u64_e64 s7, v[20:21], v[116:117]
	v_mov_b64_e32 v[20:21], v[18:19]
	s_and_saveexec_b32 s42, s7
; %bb.9477:                             ;   in Loop: Header=BB6_6801 Depth=2
	v_bfe_u32 v20, v18, 20, 1
	v_mov_b32_e32 v21, v53
	s_delay_alu instid0(VALU_DEP_1) | instskip(NEXT) | instid1(VALU_DEP_1)
	v_add_nc_u64_e32 v[20:21], v[18:19], v[20:21]
	v_add_nc_u64_e32 v[20:21], -1, v[20:21]
; %bb.9478:                             ;   in Loop: Header=BB6_6801 Depth=2
	s_or_b32 exec_lo, exec_lo, s42
	v_add_nc_u32_e32 v19, 0xffffff81, v50
	v_lshrrev_b32_e32 v21, 23, v18
	s_mov_b32 s7, exec_lo
	s_delay_alu instid0(VALU_DEP_2) | instskip(NEXT) | instid1(VALU_DEP_1)
	v_cndmask_b32_e64 v19, v19, 0xffffff82, vcc_lo
	v_add3_u32 v50, v65, v19, v21
	v_and_b32_e32 v19, 0xfffff, v20
                                        ; implicit-def: $vgpr20
	s_delay_alu instid0(VALU_DEP_2) | instskip(NEXT) | instid1(VALU_DEP_2)
	v_add_nc_u32_e32 v21, 6, v50
	v_dual_mov_b32 v19, v53 :: v_dual_add_nc_u32 v18, v19, v18
	s_delay_alu instid0(VALU_DEP_2)
	v_cmpx_ne_u32_e32 0, v21
	s_xor_b32 s7, exec_lo, s7
; %bb.9479:                             ;   in Loop: Header=BB6_6801 Depth=2
	s_delay_alu instid0(VALU_DEP_2) | instskip(SKIP_1) | instid1(VALU_DEP_1)
	v_cmp_lt_u64_e32 vcc_lo, 0xffffff, v[18:19]
	v_add_nc_u32_e32 v20, 7, v50
	v_cndmask_b32_e32 v20, v21, v20, vcc_lo
	v_cndmask_b32_e64 v21, 0, 1, vcc_lo
	s_delay_alu instid0(VALU_DEP_1)
	v_lshrrev_b64 v[18:19], v21, v[18:19]
; %bb.9480:                             ;   in Loop: Header=BB6_6801 Depth=2
	s_and_not1_saveexec_b32 s7, s7
; %bb.9481:                             ;   in Loop: Header=BB6_6801 Depth=2
	s_delay_alu instid0(VALU_DEP_1)
	v_bfe_u32 v20, v18, 23, 1
; %bb.9482:                             ;   in Loop: Header=BB6_6801 Depth=2
	s_or_b32 exec_lo, exec_lo, s7
	s_delay_alu instid0(VALU_DEP_2) | instskip(NEXT) | instid1(VALU_DEP_2)
	v_lshrrev_b64 v[18:19], 20, v[18:19]
	v_cmp_gt_i32_e32 vcc_lo, 16, v20
	v_min_i32_e32 v21, 15, v20
	v_cmp_eq_u32_e64 s7, 0, v20
	s_delay_alu instid0(VALU_DEP_2) | instskip(SKIP_1) | instid1(VALU_DEP_2)
	v_dual_cndmask_b32 v19, 0, v19, vcc_lo :: v_dual_lshlrev_b32 v21, 3, v21
	v_cndmask_b32_e32 v18, 7, v18, vcc_lo
	v_and_b32_e32 v21, 0xf8, v21
	s_delay_alu instid0(VALU_DEP_2) | instskip(NEXT) | instid1(VALU_DEP_2)
	v_cmp_eq_u64_e32 vcc_lo, 0, v[18:19]
	v_and_or_b32 v18, v18, 7, v21
	s_and_b32 s7, s7, vcc_lo
	s_delay_alu instid0(VALU_DEP_1) | instid1(SALU_CYCLE_1)
	v_cndmask_b32_e64 v18, v18, 0, s7
	s_delay_alu instid0(VALU_DEP_1)
	v_or_b32_e32 v50, v18, v51
.LBB6_9483:                             ;   in Loop: Header=BB6_6801 Depth=2
	s_or_b32 exec_lo, exec_lo, s41
                                        ; implicit-def: $vgpr51
.LBB6_9484:                             ;   in Loop: Header=BB6_6801 Depth=2
	s_and_not1_saveexec_b32 s7, s40
; %bb.9485:                             ;   in Loop: Header=BB6_6801 Depth=2
	v_or_b32_e32 v50, 0x7e, v51
; %bb.9486:                             ;   in Loop: Header=BB6_6801 Depth=2
	s_or_b32 exec_lo, exec_lo, s7
                                        ; implicit-def: $vgpr19
.LBB6_9487:                             ;   in Loop: Header=BB6_6801 Depth=2
	s_and_not1_saveexec_b32 s7, s29
; %bb.9488:                             ;   in Loop: Header=BB6_6801 Depth=2
	v_or_b32_e32 v50, 0x7f, v19
; %bb.9489:                             ;   in Loop: Header=BB6_6801 Depth=2
	s_or_b32 exec_lo, exec_lo, s7
	v_dual_mov_b32 v20, 0 :: v_dual_lshrrev_b32 v51, 16, v52
	v_mov_b32_e32 v21, 0
	s_mov_b32 s7, exec_lo
	s_delay_alu instid0(VALU_DEP_2) | instskip(NEXT) | instid1(VALU_DEP_1)
	v_and_b32_e32 v18, 0xff, v51
	v_cmpx_ne_u16_e32 0, v18
	s_cbranch_execz .LBB6_9497
; %bb.9490:                             ;   in Loop: Header=BB6_6801 Depth=2
	v_bfrev_b32_e32 v21, 1
	s_mov_b32 s29, exec_lo
	v_cmpx_ne_u16_e32 0x80, v18
	s_cbranch_execz .LBB6_9496
; %bb.9491:                             ;   in Loop: Header=BB6_6801 Depth=2
	v_bfe_u32 v65, v52, 16, 7
	v_mov_b32_e32 v21, 0x7f800001
	s_mov_b32 s40, exec_lo
	s_delay_alu instid0(VALU_DEP_2)
	v_cmpx_ne_u32_e32 0x7f, v65
	s_cbranch_execz .LBB6_9495
; %bb.9492:                             ;   in Loop: Header=BB6_6801 Depth=2
	v_dual_mov_b32 v19, v53 :: v_dual_bitop2_b32 v18, 7, v51 bitop3:0x40
	v_lshrrev_b32_e32 v21, 3, v65
	s_mov_b32 s41, exec_lo
	v_cmpx_gt_u32_e32 8, v65
; %bb.9493:                             ;   in Loop: Header=BB6_6801 Depth=2
	s_delay_alu instid0(VALU_DEP_3) | instskip(NEXT) | instid1(VALU_DEP_1)
	v_clz_i32_u32_e32 v21, v18
	v_min_u32_e32 v21, 32, v21
	s_delay_alu instid0(VALU_DEP_1) | instskip(NEXT) | instid1(VALU_DEP_1)
	v_subrev_nc_u32_e32 v65, 28, v21
	v_lshlrev_b64_e32 v[18:19], v65, v[18:19]
	s_delay_alu instid0(VALU_DEP_1)
	v_dual_sub_nc_u32 v21, 29, v21 :: v_dual_bitop2_b32 v18, 7, v18 bitop3:0x40
; %bb.9494:                             ;   in Loop: Header=BB6_6801 Depth=2
	s_or_b32 exec_lo, exec_lo, s41
	s_delay_alu instid0(VALU_DEP_1) | instskip(NEXT) | instid1(VALU_DEP_2)
	v_dual_lshlrev_b32 v19, 24, v51 :: v_dual_lshlrev_b32 v18, 20, v18
	v_lshl_add_u32 v21, v21, 23, 0x3c000000
	s_delay_alu instid0(VALU_DEP_2) | instskip(NEXT) | instid1(VALU_DEP_1)
	v_and_b32_e32 v19, 0x80000000, v19
	v_or3_b32 v21, v18, v19, v21
.LBB6_9495:                             ;   in Loop: Header=BB6_6801 Depth=2
	s_or_b32 exec_lo, exec_lo, s40
.LBB6_9496:                             ;   in Loop: Header=BB6_6801 Depth=2
	s_delay_alu instid0(SALU_CYCLE_1)
	s_or_b32 exec_lo, exec_lo, s29
.LBB6_9497:                             ;   in Loop: Header=BB6_6801 Depth=2
	s_delay_alu instid0(SALU_CYCLE_1) | instskip(SKIP_2) | instid1(VALU_DEP_1)
	s_or_b32 exec_lo, exec_lo, s7
	v_lshrrev_b32_e32 v18, 16, v15
	s_mov_b32 s7, exec_lo
	v_and_b32_e32 v19, 0xff, v18
	s_delay_alu instid0(VALU_DEP_1)
	v_cmpx_ne_u16_e32 0, v19
	s_cbranch_execz .LBB6_9505
; %bb.9498:                             ;   in Loop: Header=BB6_6801 Depth=2
	v_bfrev_b32_e32 v20, 1
	s_mov_b32 s29, exec_lo
	v_cmpx_ne_u16_e32 0x80, v19
	s_cbranch_execz .LBB6_9504
; %bb.9499:                             ;   in Loop: Header=BB6_6801 Depth=2
	v_bfe_u32 v51, v15, 16, 7
	v_mov_b32_e32 v20, 0x7f800001
	s_mov_b32 s40, exec_lo
	s_delay_alu instid0(VALU_DEP_2)
	v_cmpx_ne_u32_e32 0x7f, v51
	s_cbranch_execz .LBB6_9503
; %bb.9500:                             ;   in Loop: Header=BB6_6801 Depth=2
	v_dual_mov_b32 v19, v53 :: v_dual_bitop2_b32 v18, 7, v18 bitop3:0x40
	v_lshrrev_b32_e32 v20, 3, v51
	s_mov_b32 s41, exec_lo
	v_cmpx_gt_u32_e32 8, v51
; %bb.9501:                             ;   in Loop: Header=BB6_6801 Depth=2
	s_delay_alu instid0(VALU_DEP_3) | instskip(NEXT) | instid1(VALU_DEP_1)
	v_clz_i32_u32_e32 v20, v18
	v_min_u32_e32 v20, 32, v20
	s_delay_alu instid0(VALU_DEP_1) | instskip(NEXT) | instid1(VALU_DEP_1)
	v_subrev_nc_u32_e32 v51, 28, v20
	v_lshlrev_b64_e32 v[18:19], v51, v[18:19]
	s_delay_alu instid0(VALU_DEP_1)
	v_dual_sub_nc_u32 v20, 29, v20 :: v_dual_bitop2_b32 v18, 7, v18 bitop3:0x40
; %bb.9502:                             ;   in Loop: Header=BB6_6801 Depth=2
	s_or_b32 exec_lo, exec_lo, s41
	s_delay_alu instid0(VALU_DEP_1) | instskip(NEXT) | instid1(VALU_DEP_2)
	v_dual_lshlrev_b32 v19, 8, v15 :: v_dual_lshlrev_b32 v18, 20, v18
	v_lshl_add_u32 v20, v20, 23, 0x3c000000
	s_delay_alu instid0(VALU_DEP_2) | instskip(NEXT) | instid1(VALU_DEP_1)
	v_and_b32_e32 v19, 0x80000000, v19
	v_or3_b32 v20, v18, v19, v20
.LBB6_9503:                             ;   in Loop: Header=BB6_6801 Depth=2
	s_or_b32 exec_lo, exec_lo, s40
.LBB6_9504:                             ;   in Loop: Header=BB6_6801 Depth=2
	s_delay_alu instid0(SALU_CYCLE_1)
	s_or_b32 exec_lo, exec_lo, s29
.LBB6_9505:                             ;   in Loop: Header=BB6_6801 Depth=2
	s_delay_alu instid0(SALU_CYCLE_1) | instskip(NEXT) | instid1(VALU_DEP_1)
	s_or_b32 exec_lo, exec_lo, s7
	v_add_f32_e32 v18, v21, v20
	s_delay_alu instid0(VALU_DEP_1) | instskip(SKIP_1) | instid1(VALU_DEP_1)
	v_dual_mov_b32 v21, v53 :: v_dual_lshrrev_b32 v19, 24, v18
	v_and_b32_e32 v20, 0x7f800000, v18
	v_cmp_ne_u64_e32 vcc_lo, 0x7f800000, v[20:21]
                                        ; implicit-def: $vgpr20
	s_and_saveexec_b32 s7, vcc_lo
	s_delay_alu instid0(SALU_CYCLE_1)
	s_xor_b32 s29, exec_lo, s7
	s_cbranch_execz .LBB6_9519
; %bb.9506:                             ;   in Loop: Header=BB6_6801 Depth=2
	v_and_b32_e32 v20, 0x7fffffff, v18
	v_mov_b32_e32 v21, v53
	v_and_b32_e32 v51, 0x80, v19
	s_delay_alu instid0(VALU_DEP_2) | instskip(SKIP_1) | instid1(SALU_CYCLE_1)
	v_cmp_gt_u64_e32 vcc_lo, 0x43e00001, v[20:21]
                                        ; implicit-def: $vgpr20
	s_and_saveexec_b32 s7, vcc_lo
	s_xor_b32 s40, exec_lo, s7
	s_cbranch_execz .LBB6_9516
; %bb.9507:                             ;   in Loop: Header=BB6_6801 Depth=2
	v_mov_b32_e32 v20, 0
	s_mov_b32 s41, exec_lo
	v_cmpx_ne_u32_e32 0, v18
	s_cbranch_execz .LBB6_9515
; %bb.9508:                             ;   in Loop: Header=BB6_6801 Depth=2
	v_bfe_u32 v65, v18, 23, 8
	v_and_b32_e32 v19, 0x7fffff, v18
	s_delay_alu instid0(VALU_DEP_2) | instskip(SKIP_2) | instid1(VALU_DEP_4)
	v_cmp_gt_u32_e64 s7, 0x7a, v65
	v_sub_nc_u32_e32 v18, 0x79, v65
	v_cmp_eq_u32_e32 vcc_lo, 0, v65
	v_or_b32_e32 v20, 0x800000, v19
	s_delay_alu instid0(VALU_DEP_3) | instskip(NEXT) | instid1(VALU_DEP_1)
	v_cndmask_b32_e64 v18, 0, v18, s7
	v_cndmask_b32_e64 v116, v18, 0x78, vcc_lo
	s_delay_alu instid0(VALU_DEP_3) | instskip(NEXT) | instid1(VALU_DEP_2)
	v_dual_cndmask_b32 v18, v20, v19 :: v_dual_mov_b32 v19, v53
	v_dual_add_nc_u32 v20, 20, v116 :: v_dual_add_nc_u32 v117, 19, v116
	s_delay_alu instid0(VALU_DEP_1) | instskip(NEXT) | instid1(VALU_DEP_2)
	v_lshlrev_b64_e64 v[20:21], v20, -1
	v_lshlrev_b64_e64 v[106:107], v117, 1
	s_delay_alu instid0(VALU_DEP_2) | instskip(SKIP_1) | instid1(VALU_DEP_4)
	v_bfi_b32 v20, v20, 0, v18
	v_lshrrev_b64 v[18:19], v116, v[18:19]
	v_bfi_b32 v21, v21, 0, 0
	s_delay_alu instid0(VALU_DEP_1) | instskip(NEXT) | instid1(VALU_DEP_3)
	v_cmp_eq_u64_e64 s7, v[20:21], v[106:107]
	v_mov_b64_e32 v[20:21], v[18:19]
	s_and_saveexec_b32 s42, s7
; %bb.9509:                             ;   in Loop: Header=BB6_6801 Depth=2
	v_bfe_u32 v20, v18, 20, 1
	v_mov_b32_e32 v21, v53
	s_delay_alu instid0(VALU_DEP_1) | instskip(NEXT) | instid1(VALU_DEP_1)
	v_add_nc_u64_e32 v[20:21], v[18:19], v[20:21]
	v_add_nc_u64_e32 v[20:21], -1, v[20:21]
; %bb.9510:                             ;   in Loop: Header=BB6_6801 Depth=2
	s_or_b32 exec_lo, exec_lo, s42
	v_add_nc_u32_e32 v19, 0xffffff81, v65
	v_lshrrev_b32_e32 v21, 23, v18
	s_mov_b32 s7, exec_lo
	s_delay_alu instid0(VALU_DEP_2) | instskip(NEXT) | instid1(VALU_DEP_1)
	v_cndmask_b32_e64 v19, v19, 0xffffff82, vcc_lo
	v_add3_u32 v65, v116, v19, v21
	v_and_b32_e32 v19, 0xfffff, v20
                                        ; implicit-def: $vgpr20
	s_delay_alu instid0(VALU_DEP_1) | instskip(SKIP_1) | instid1(VALU_DEP_2)
	v_dual_add_nc_u32 v21, 6, v65 :: v_dual_add_nc_u32 v18, v19, v18
	v_mov_b32_e32 v19, v53
	v_cmpx_ne_u32_e32 0, v21
	s_xor_b32 s7, exec_lo, s7
; %bb.9511:                             ;   in Loop: Header=BB6_6801 Depth=2
	s_delay_alu instid0(VALU_DEP_2) | instskip(SKIP_1) | instid1(VALU_DEP_1)
	v_cmp_lt_u64_e32 vcc_lo, 0xffffff, v[18:19]
	v_add_nc_u32_e32 v20, 7, v65
	v_cndmask_b32_e32 v20, v21, v20, vcc_lo
	v_cndmask_b32_e64 v21, 0, 1, vcc_lo
	s_delay_alu instid0(VALU_DEP_1)
	v_lshrrev_b64 v[18:19], v21, v[18:19]
; %bb.9512:                             ;   in Loop: Header=BB6_6801 Depth=2
	s_and_not1_saveexec_b32 s7, s7
; %bb.9513:                             ;   in Loop: Header=BB6_6801 Depth=2
	s_delay_alu instid0(VALU_DEP_1)
	v_bfe_u32 v20, v18, 23, 1
; %bb.9514:                             ;   in Loop: Header=BB6_6801 Depth=2
	s_or_b32 exec_lo, exec_lo, s7
	s_delay_alu instid0(VALU_DEP_2) | instskip(NEXT) | instid1(VALU_DEP_2)
	v_lshrrev_b64 v[18:19], 20, v[18:19]
	v_cmp_gt_i32_e32 vcc_lo, 16, v20
	v_min_i32_e32 v21, 15, v20
	v_cmp_eq_u32_e64 s7, 0, v20
	s_delay_alu instid0(VALU_DEP_2) | instskip(SKIP_1) | instid1(VALU_DEP_2)
	v_dual_cndmask_b32 v19, 0, v19, vcc_lo :: v_dual_lshlrev_b32 v21, 3, v21
	v_cndmask_b32_e32 v18, 7, v18, vcc_lo
	v_and_b32_e32 v21, 0xf8, v21
	s_delay_alu instid0(VALU_DEP_2) | instskip(NEXT) | instid1(VALU_DEP_2)
	v_cmp_eq_u64_e32 vcc_lo, 0, v[18:19]
	v_and_or_b32 v18, v18, 7, v21
	s_and_b32 s7, s7, vcc_lo
	s_delay_alu instid0(VALU_DEP_1) | instid1(SALU_CYCLE_1)
	v_cndmask_b32_e64 v18, v18, 0, s7
	s_delay_alu instid0(VALU_DEP_1)
	v_or_b32_e32 v20, v18, v51
.LBB6_9515:                             ;   in Loop: Header=BB6_6801 Depth=2
	s_or_b32 exec_lo, exec_lo, s41
                                        ; implicit-def: $vgpr51
.LBB6_9516:                             ;   in Loop: Header=BB6_6801 Depth=2
	s_and_not1_saveexec_b32 s7, s40
; %bb.9517:                             ;   in Loop: Header=BB6_6801 Depth=2
	v_or_b32_e32 v20, 0x7e, v51
; %bb.9518:                             ;   in Loop: Header=BB6_6801 Depth=2
	s_or_b32 exec_lo, exec_lo, s7
                                        ; implicit-def: $vgpr19
.LBB6_9519:                             ;   in Loop: Header=BB6_6801 Depth=2
	s_and_not1_saveexec_b32 s7, s29
; %bb.9520:                             ;   in Loop: Header=BB6_6801 Depth=2
	v_or_b32_e32 v20, 0x7f, v19
; %bb.9521:                             ;   in Loop: Header=BB6_6801 Depth=2
	s_or_b32 exec_lo, exec_lo, s7
	v_dual_mov_b32 v21, 0 :: v_dual_mov_b32 v18, 0
	s_mov_b32 s7, exec_lo
	v_cmpx_lt_u32_e32 0xffffff, v52
	s_cbranch_execz .LBB6_9529
; %bb.9522:                             ;   in Loop: Header=BB6_6801 Depth=2
	v_lshrrev_b32_e32 v51, 24, v52
	v_bfrev_b32_e32 v18, 1
	s_mov_b32 s29, exec_lo
	s_delay_alu instid0(VALU_DEP_2)
	v_cmpx_ne_u32_e32 0x80, v51
	s_cbranch_execz .LBB6_9528
; %bb.9523:                             ;   in Loop: Header=BB6_6801 Depth=2
	v_bfe_u32 v19, v52, 24, 7
	v_mov_b32_e32 v18, 0x7f800001
	s_mov_b32 s40, exec_lo
	s_delay_alu instid0(VALU_DEP_2)
	v_cmpx_ne_u32_e32 0x7f, v19
	s_cbranch_execz .LBB6_9527
; %bb.9524:                             ;   in Loop: Header=BB6_6801 Depth=2
	v_and_b32_e32 v52, 7, v51
	v_lshrrev_b32_e32 v65, 3, v19
	v_cmp_gt_u32_e32 vcc_lo, 8, v19
	s_delay_alu instid0(VALU_DEP_3)
	v_mov_b64_e32 v[18:19], v[52:53]
	s_and_saveexec_b32 s41, vcc_lo
; %bb.9525:                             ;   in Loop: Header=BB6_6801 Depth=2
	v_clz_i32_u32_e32 v18, v52
	s_delay_alu instid0(VALU_DEP_1) | instskip(NEXT) | instid1(VALU_DEP_1)
	v_min_u32_e32 v65, 32, v18
	v_subrev_nc_u32_e32 v18, 28, v65
	s_delay_alu instid0(VALU_DEP_1) | instskip(NEXT) | instid1(VALU_DEP_1)
	v_lshlrev_b64_e32 v[18:19], v18, v[52:53]
	v_dual_sub_nc_u32 v65, 29, v65 :: v_dual_bitop2_b32 v18, 7, v18 bitop3:0x40
; %bb.9526:                             ;   in Loop: Header=BB6_6801 Depth=2
	s_or_b32 exec_lo, exec_lo, s41
	s_delay_alu instid0(VALU_DEP_1) | instskip(NEXT) | instid1(VALU_DEP_2)
	v_dual_lshlrev_b32 v19, 24, v51 :: v_dual_lshlrev_b32 v18, 20, v18
	v_lshl_add_u32 v51, v65, 23, 0x3c000000
	s_delay_alu instid0(VALU_DEP_2) | instskip(NEXT) | instid1(VALU_DEP_1)
	v_and_b32_e32 v19, 0x80000000, v19
	v_or3_b32 v18, v18, v19, v51
.LBB6_9527:                             ;   in Loop: Header=BB6_6801 Depth=2
	s_or_b32 exec_lo, exec_lo, s40
.LBB6_9528:                             ;   in Loop: Header=BB6_6801 Depth=2
	s_delay_alu instid0(SALU_CYCLE_1)
	s_or_b32 exec_lo, exec_lo, s29
.LBB6_9529:                             ;   in Loop: Header=BB6_6801 Depth=2
	s_delay_alu instid0(SALU_CYCLE_1) | instskip(NEXT) | instid1(SALU_CYCLE_1)
	s_or_b32 exec_lo, exec_lo, s7
	s_mov_b32 s7, exec_lo
	v_cmpx_lt_u64_e64 s[12:13], v[14:15]
	s_cbranch_execz .LBB6_9537
; %bb.9530:                             ;   in Loop: Header=BB6_6801 Depth=2
	v_lshrrev_b32_e32 v19, 24, v15
	v_bfrev_b32_e32 v21, 1
	s_mov_b32 s29, exec_lo
	s_delay_alu instid0(VALU_DEP_2)
	v_cmpx_ne_u32_e32 0x80, v19
	s_cbranch_execz .LBB6_9536
; %bb.9531:                             ;   in Loop: Header=BB6_6801 Depth=2
	v_bfe_u32 v14, v15, 24, 7
	v_mov_b32_e32 v21, 0x7f800001
	s_mov_b32 s40, exec_lo
	s_delay_alu instid0(VALU_DEP_2)
	v_cmpx_ne_u32_e32 0x7f, v14
	s_cbranch_execz .LBB6_9535
; %bb.9532:                             ;   in Loop: Header=BB6_6801 Depth=2
	v_dual_lshrrev_b32 v21, 3, v14 :: v_dual_bitop2_b32 v52, 7, v19 bitop3:0x40
	v_cmp_gt_u32_e32 vcc_lo, 8, v14
	s_delay_alu instid0(VALU_DEP_2)
	v_mov_b64_e32 v[14:15], v[52:53]
	s_and_saveexec_b32 s41, vcc_lo
; %bb.9533:                             ;   in Loop: Header=BB6_6801 Depth=2
	v_clz_i32_u32_e32 v14, v52
	s_delay_alu instid0(VALU_DEP_1) | instskip(NEXT) | instid1(VALU_DEP_1)
	v_min_u32_e32 v21, 32, v14
	v_subrev_nc_u32_e32 v14, 28, v21
	s_delay_alu instid0(VALU_DEP_1) | instskip(NEXT) | instid1(VALU_DEP_1)
	v_lshlrev_b64_e32 v[14:15], v14, v[52:53]
	v_dual_sub_nc_u32 v21, 29, v21 :: v_dual_bitop2_b32 v14, 7, v14 bitop3:0x40
; %bb.9534:                             ;   in Loop: Header=BB6_6801 Depth=2
	s_or_b32 exec_lo, exec_lo, s41
	s_delay_alu instid0(VALU_DEP_1) | instskip(NEXT) | instid1(VALU_DEP_2)
	v_dual_lshlrev_b32 v15, 24, v19 :: v_dual_lshlrev_b32 v14, 20, v14
	v_lshl_add_u32 v19, v21, 23, 0x3c000000
	s_delay_alu instid0(VALU_DEP_2) | instskip(NEXT) | instid1(VALU_DEP_1)
	v_and_b32_e32 v15, 0x80000000, v15
	v_or3_b32 v21, v14, v15, v19
.LBB6_9535:                             ;   in Loop: Header=BB6_6801 Depth=2
	s_or_b32 exec_lo, exec_lo, s40
.LBB6_9536:                             ;   in Loop: Header=BB6_6801 Depth=2
	s_delay_alu instid0(SALU_CYCLE_1)
	s_or_b32 exec_lo, exec_lo, s29
.LBB6_9537:                             ;   in Loop: Header=BB6_6801 Depth=2
	s_delay_alu instid0(SALU_CYCLE_1) | instskip(NEXT) | instid1(VALU_DEP_1)
	s_or_b32 exec_lo, exec_lo, s7
	v_add_f32_e32 v14, v18, v21
                                        ; implicit-def: $vgpr21
	s_mov_b32 s7, exec_lo
	s_delay_alu instid0(VALU_DEP_1) | instskip(SKIP_1) | instid1(VALU_DEP_2)
	v_and_b32_e32 v52, 0x7f800000, v14
	v_lshrrev_b32_e32 v15, 24, v14
	v_cmpx_ne_u64_e32 0x7f800000, v[52:53]
	s_xor_b32 s29, exec_lo, s7
	s_cbranch_execz .LBB6_9551
; %bb.9538:                             ;   in Loop: Header=BB6_6801 Depth=2
	v_and_b32_e32 v52, 0x7fffffff, v14
	v_and_b32_e32 v51, 0x80, v15
                                        ; implicit-def: $vgpr21
	s_mov_b32 s7, exec_lo
	s_delay_alu instid0(VALU_DEP_2)
	v_cmpx_gt_u64_e32 0x43e00001, v[52:53]
	s_xor_b32 s40, exec_lo, s7
	s_cbranch_execz .LBB6_9548
; %bb.9539:                             ;   in Loop: Header=BB6_6801 Depth=2
	v_mov_b32_e32 v21, 0
	s_mov_b32 s41, exec_lo
	v_cmpx_ne_u32_e32 0, v14
	s_cbranch_execz .LBB6_9547
; %bb.9540:                             ;   in Loop: Header=BB6_6801 Depth=2
	v_bfe_u32 v21, v14, 23, 8
	v_and_b32_e32 v15, 0x7fffff, v14
	s_delay_alu instid0(VALU_DEP_2) | instskip(SKIP_2) | instid1(VALU_DEP_4)
	v_cmp_gt_u32_e64 s7, 0x7a, v21
	v_sub_nc_u32_e32 v14, 0x79, v21
	v_cmp_eq_u32_e32 vcc_lo, 0, v21
	v_or_b32_e32 v18, 0x800000, v15
	s_delay_alu instid0(VALU_DEP_1) | instskip(NEXT) | instid1(VALU_DEP_1)
	v_dual_cndmask_b32 v14, 0, v14, s7 :: v_dual_cndmask_b32 v52, v18, v15, vcc_lo
	v_cndmask_b32_e64 v65, v14, 0x78, vcc_lo
	s_delay_alu instid0(VALU_DEP_1) | instskip(NEXT) | instid1(VALU_DEP_1)
	v_dual_add_nc_u32 v14, 20, v65 :: v_dual_add_nc_u32 v18, 19, v65
	v_lshlrev_b64_e64 v[14:15], v14, -1
	s_delay_alu instid0(VALU_DEP_2) | instskip(NEXT) | instid1(VALU_DEP_2)
	v_lshlrev_b64_e64 v[18:19], v18, 1
	v_bfi_b32 v15, v15, 0, 0
	s_delay_alu instid0(VALU_DEP_3) | instskip(NEXT) | instid1(VALU_DEP_1)
	v_bfi_b32 v14, v14, 0, v52
	v_cmp_eq_u64_e64 s7, v[14:15], v[18:19]
	v_lshrrev_b64 v[14:15], v65, v[52:53]
	s_delay_alu instid0(VALU_DEP_1)
	v_mov_b64_e32 v[18:19], v[14:15]
	s_and_saveexec_b32 s42, s7
; %bb.9541:                             ;   in Loop: Header=BB6_6801 Depth=2
	v_bfe_u32 v52, v14, 20, 1
	s_delay_alu instid0(VALU_DEP_1) | instskip(NEXT) | instid1(VALU_DEP_1)
	v_add_nc_u64_e32 v[18:19], v[14:15], v[52:53]
	v_add_nc_u64_e32 v[18:19], -1, v[18:19]
; %bb.9542:                             ;   in Loop: Header=BB6_6801 Depth=2
	s_or_b32 exec_lo, exec_lo, s42
	v_add_nc_u32_e32 v15, 0xffffff81, v21
	v_lshrrev_b32_e32 v19, 23, v14
	s_mov_b32 s7, exec_lo
	s_delay_alu instid0(VALU_DEP_2) | instskip(NEXT) | instid1(VALU_DEP_1)
	v_cndmask_b32_e64 v15, v15, 0xffffff82, vcc_lo
	v_add3_u32 v21, v65, v15, v19
	v_and_b32_e32 v15, 0xfffff, v18
                                        ; implicit-def: $vgpr18
	s_delay_alu instid0(VALU_DEP_1) | instskip(NEXT) | instid1(VALU_DEP_1)
	v_dual_add_nc_u32 v19, 6, v21 :: v_dual_add_nc_u32 v52, v15, v14
                                        ; implicit-def: $vgpr14_vgpr15
	v_cmpx_ne_u32_e32 0, v19
	s_xor_b32 s7, exec_lo, s7
; %bb.9543:                             ;   in Loop: Header=BB6_6801 Depth=2
	s_delay_alu instid0(VALU_DEP_2) | instskip(SKIP_1) | instid1(VALU_DEP_1)
	v_cmp_lt_u64_e32 vcc_lo, 0xffffff, v[52:53]
	v_add_nc_u32_e32 v14, 7, v21
	v_cndmask_b32_e32 v18, v19, v14, vcc_lo
	v_cndmask_b32_e64 v14, 0, 1, vcc_lo
	s_delay_alu instid0(VALU_DEP_1)
	v_lshrrev_b64 v[14:15], v14, v[52:53]
; %bb.9544:                             ;   in Loop: Header=BB6_6801 Depth=2
	s_and_not1_saveexec_b32 s7, s7
; %bb.9545:                             ;   in Loop: Header=BB6_6801 Depth=2
	v_mov_b64_e32 v[14:15], v[52:53]
	v_bfe_u32 v18, v52, 23, 1
; %bb.9546:                             ;   in Loop: Header=BB6_6801 Depth=2
	s_or_b32 exec_lo, exec_lo, s7
	s_delay_alu instid0(VALU_DEP_2) | instskip(NEXT) | instid1(VALU_DEP_2)
	v_lshrrev_b64 v[14:15], 20, v[14:15]
	v_cmp_gt_i32_e32 vcc_lo, 16, v18
	v_min_i32_e32 v19, 15, v18
	v_cmp_eq_u32_e64 s7, 0, v18
	s_delay_alu instid0(VALU_DEP_4) | instskip(NEXT) | instid1(VALU_DEP_3)
	v_cndmask_b32_e32 v15, 0, v15, vcc_lo
	v_dual_cndmask_b32 v14, 7, v14 :: v_dual_lshlrev_b32 v19, 3, v19
	s_delay_alu instid0(VALU_DEP_1) | instskip(NEXT) | instid1(VALU_DEP_2)
	v_and_b32_e32 v19, 0xf8, v19
	v_cmp_eq_u64_e32 vcc_lo, 0, v[14:15]
	s_delay_alu instid0(VALU_DEP_2)
	v_and_or_b32 v14, v14, 7, v19
	s_and_b32 s7, s7, vcc_lo
	s_delay_alu instid0(VALU_DEP_1) | instid1(SALU_CYCLE_1)
	v_cndmask_b32_e64 v14, v14, 0, s7
	s_delay_alu instid0(VALU_DEP_1)
	v_or_b32_e32 v21, v14, v51
.LBB6_9547:                             ;   in Loop: Header=BB6_6801 Depth=2
	s_or_b32 exec_lo, exec_lo, s41
                                        ; implicit-def: $vgpr51
.LBB6_9548:                             ;   in Loop: Header=BB6_6801 Depth=2
	s_and_not1_saveexec_b32 s7, s40
; %bb.9549:                             ;   in Loop: Header=BB6_6801 Depth=2
	v_or_b32_e32 v21, 0x7e, v51
; %bb.9550:                             ;   in Loop: Header=BB6_6801 Depth=2
	s_or_b32 exec_lo, exec_lo, s7
                                        ; implicit-def: $vgpr15
.LBB6_9551:                             ;   in Loop: Header=BB6_6801 Depth=2
	s_and_not1_saveexec_b32 s7, s29
; %bb.9552:                             ;   in Loop: Header=BB6_6801 Depth=2
	v_or_b32_e32 v21, 0x7f, v15
; %bb.9553:                             ;   in Loop: Header=BB6_6801 Depth=2
	s_or_b32 exec_lo, exec_lo, s7
	v_lshl_or_b32 v51, v31, 8, v78
	v_dual_lshlrev_b32 v14, 16, v90 :: v_dual_lshlrev_b32 v15, 24, v93
	s_mov_b32 s7, exec_lo
	s_delay_alu instid0(VALU_DEP_1)
	v_or3_b32 v52, v14, v15, v51
	v_dual_mov_b32 v14, 0 :: v_dual_mov_b32 v15, 0
	v_cmpx_ne_u32_e32 0, v78
	s_cbranch_execz .LBB6_9559
; %bb.9554:                             ;   in Loop: Header=BB6_6801 Depth=2
	v_bfrev_b32_e32 v15, 1
	s_mov_b32 s29, exec_lo
	v_cmpx_ne_u32_e32 0x80, v78
	s_cbranch_execz .LBB6_9558
; %bb.9555:                             ;   in Loop: Header=BB6_6801 Depth=2
	v_and_b32_e32 v18, 0x7f, v78
	v_mov_b32_e32 v15, 0x7f800001
	s_mov_b32 s40, exec_lo
	s_delay_alu instid0(VALU_DEP_2)
	v_cmpx_ne_u32_e32 0x7f, v18
	s_cbranch_execz .LBB6_9557
; %bb.9556:                             ;   in Loop: Header=BB6_6801 Depth=2
	v_and_b32_e32 v15, 7, v78
	v_cmp_gt_u32_e32 vcc_lo, 8, v18
	s_delay_alu instid0(VALU_DEP_2) | instskip(NEXT) | instid1(VALU_DEP_1)
	v_clz_i32_u32_e32 v15, v15
	v_min_u32_e32 v15, 32, v15
	v_lshrrev_b32_e32 v19, 3, v18
	s_delay_alu instid0(VALU_DEP_2) | instskip(NEXT) | instid1(VALU_DEP_1)
	v_subrev_nc_u32_e32 v18, 28, v15
	v_dual_cndmask_b32 v18, 0, v18 :: v_dual_sub_nc_u32 v15, 29, v15
	s_delay_alu instid0(VALU_DEP_1) | instskip(NEXT) | instid1(VALU_DEP_2)
	v_cndmask_b32_e32 v15, v19, v15, vcc_lo
	v_lshlrev_b64_e32 v[18:19], v18, v[52:53]
	v_lshlrev_b32_e32 v19, 24, v52
	s_delay_alu instid0(VALU_DEP_3) | instskip(NEXT) | instid1(VALU_DEP_2)
	v_lshl_add_u32 v15, v15, 23, 0x3c000000
	v_and_b32_e32 v19, 0x80000000, v19
	s_delay_alu instid0(VALU_DEP_4) | instskip(NEXT) | instid1(VALU_DEP_1)
	v_lshlrev_b32_e32 v18, 20, v18
	v_and_b32_e32 v18, 0x700000, v18
	s_delay_alu instid0(VALU_DEP_1)
	v_or3_b32 v15, v18, v19, v15
.LBB6_9557:                             ;   in Loop: Header=BB6_6801 Depth=2
	s_or_b32 exec_lo, exec_lo, s40
.LBB6_9558:                             ;   in Loop: Header=BB6_6801 Depth=2
	s_delay_alu instid0(SALU_CYCLE_1)
	s_or_b32 exec_lo, exec_lo, s29
.LBB6_9559:                             ;   in Loop: Header=BB6_6801 Depth=2
	s_delay_alu instid0(SALU_CYCLE_1) | instskip(SKIP_2) | instid1(VALU_DEP_1)
	s_or_b32 exec_lo, exec_lo, s7
	v_and_b32_e32 v18, 0xff, v16
	s_mov_b32 s7, exec_lo
	v_cmpx_ne_u16_e32 0, v18
	s_cbranch_execz .LBB6_9565
; %bb.9560:                             ;   in Loop: Header=BB6_6801 Depth=2
	v_bfrev_b32_e32 v14, 1
	s_mov_b32 s29, exec_lo
	v_cmpx_ne_u16_e32 0x80, v18
	s_cbranch_execz .LBB6_9564
; %bb.9561:                             ;   in Loop: Header=BB6_6801 Depth=2
	v_and_b32_e32 v18, 0x7f, v16
	v_mov_b32_e32 v14, 0x7f800001
	s_mov_b32 s40, exec_lo
	s_delay_alu instid0(VALU_DEP_2)
	v_cmpx_ne_u32_e32 0x7f, v18
	s_cbranch_execz .LBB6_9563
; %bb.9562:                             ;   in Loop: Header=BB6_6801 Depth=2
	v_dual_lshrrev_b32 v19, 3, v18 :: v_dual_bitop2_b32 v14, 7, v16 bitop3:0x40
	v_cmp_gt_u32_e32 vcc_lo, 8, v18
	s_delay_alu instid0(VALU_DEP_2) | instskip(NEXT) | instid1(VALU_DEP_1)
	v_clz_i32_u32_e32 v14, v14
	v_min_u32_e32 v14, 32, v14
	s_delay_alu instid0(VALU_DEP_1) | instskip(SKIP_1) | instid1(VALU_DEP_2)
	v_subrev_nc_u32_e32 v18, 28, v14
	v_sub_nc_u32_e32 v14, 29, v14
	v_cndmask_b32_e32 v18, 0, v18, vcc_lo
	s_delay_alu instid0(VALU_DEP_2) | instskip(NEXT) | instid1(VALU_DEP_2)
	v_cndmask_b32_e32 v14, v19, v14, vcc_lo
	v_lshlrev_b64_e32 v[18:19], v18, v[16:17]
	v_lshlrev_b32_e32 v19, 24, v16
	s_delay_alu instid0(VALU_DEP_3) | instskip(NEXT) | instid1(VALU_DEP_2)
	v_lshl_add_u32 v14, v14, 23, 0x3c000000
	v_and_b32_e32 v19, 0x80000000, v19
	s_delay_alu instid0(VALU_DEP_4) | instskip(NEXT) | instid1(VALU_DEP_1)
	v_lshlrev_b32_e32 v18, 20, v18
	v_and_b32_e32 v18, 0x700000, v18
	s_delay_alu instid0(VALU_DEP_1)
	v_or3_b32 v14, v18, v19, v14
.LBB6_9563:                             ;   in Loop: Header=BB6_6801 Depth=2
	s_or_b32 exec_lo, exec_lo, s40
.LBB6_9564:                             ;   in Loop: Header=BB6_6801 Depth=2
	s_delay_alu instid0(SALU_CYCLE_1)
	s_or_b32 exec_lo, exec_lo, s29
.LBB6_9565:                             ;   in Loop: Header=BB6_6801 Depth=2
	s_delay_alu instid0(SALU_CYCLE_1) | instskip(NEXT) | instid1(VALU_DEP_1)
	s_or_b32 exec_lo, exec_lo, s7
	v_dual_add_f32 v14, v15, v14 :: v_dual_mov_b32 v19, v53
                                        ; implicit-def: $vgpr31
	s_mov_b32 s7, exec_lo
	s_delay_alu instid0(VALU_DEP_1) | instskip(SKIP_1) | instid1(VALU_DEP_2)
	v_and_b32_e32 v18, 0x7f800000, v14
	v_lshrrev_b32_e32 v15, 24, v14
	v_cmpx_ne_u64_e32 0x7f800000, v[18:19]
	s_xor_b32 s29, exec_lo, s7
	s_cbranch_execz .LBB6_9579
; %bb.9566:                             ;   in Loop: Header=BB6_6801 Depth=2
	v_and_b32_e32 v18, 0x7fffffff, v14
	v_mov_b32_e32 v19, v53
	v_and_b32_e32 v65, 0x80, v15
                                        ; implicit-def: $vgpr31
	s_mov_b32 s7, exec_lo
	s_delay_alu instid0(VALU_DEP_2)
	v_cmpx_gt_u64_e32 0x43e00001, v[18:19]
	s_xor_b32 s40, exec_lo, s7
	s_cbranch_execz .LBB6_9576
; %bb.9567:                             ;   in Loop: Header=BB6_6801 Depth=2
	v_mov_b32_e32 v31, 0
	s_mov_b32 s41, exec_lo
	v_cmpx_ne_u32_e32 0, v14
	s_cbranch_execz .LBB6_9575
; %bb.9568:                             ;   in Loop: Header=BB6_6801 Depth=2
	v_bfe_u32 v31, v14, 23, 8
	v_and_b32_e32 v15, 0x7fffff, v14
	s_delay_alu instid0(VALU_DEP_2) | instskip(SKIP_2) | instid1(VALU_DEP_4)
	v_cmp_gt_u32_e64 s7, 0x7a, v31
	v_sub_nc_u32_e32 v14, 0x79, v31
	v_cmp_eq_u32_e32 vcc_lo, 0, v31
	v_or_b32_e32 v18, 0x800000, v15
	s_delay_alu instid0(VALU_DEP_3) | instskip(NEXT) | instid1(VALU_DEP_1)
	v_cndmask_b32_e64 v14, 0, v14, s7
	v_cndmask_b32_e64 v116, v14, 0x78, vcc_lo
	s_delay_alu instid0(VALU_DEP_3) | instskip(NEXT) | instid1(VALU_DEP_2)
	v_dual_cndmask_b32 v14, v18, v15 :: v_dual_mov_b32 v15, v53
	v_dual_add_nc_u32 v18, 20, v116 :: v_dual_add_nc_u32 v117, 19, v116
	s_delay_alu instid0(VALU_DEP_1) | instskip(NEXT) | instid1(VALU_DEP_2)
	v_lshlrev_b64_e64 v[18:19], v18, -1
	v_lshlrev_b64_e64 v[92:93], v117, 1
	s_delay_alu instid0(VALU_DEP_2) | instskip(SKIP_1) | instid1(VALU_DEP_4)
	v_bfi_b32 v18, v18, 0, v14
	v_lshrrev_b64 v[14:15], v116, v[14:15]
	v_bfi_b32 v19, v19, 0, 0
	s_delay_alu instid0(VALU_DEP_1) | instskip(NEXT) | instid1(VALU_DEP_3)
	v_cmp_eq_u64_e64 s7, v[18:19], v[92:93]
	v_mov_b64_e32 v[18:19], v[14:15]
	s_and_saveexec_b32 s42, s7
; %bb.9569:                             ;   in Loop: Header=BB6_6801 Depth=2
	v_bfe_u32 v18, v14, 20, 1
	v_mov_b32_e32 v19, v53
	s_delay_alu instid0(VALU_DEP_1) | instskip(NEXT) | instid1(VALU_DEP_1)
	v_add_nc_u64_e32 v[18:19], v[14:15], v[18:19]
	v_add_nc_u64_e32 v[18:19], -1, v[18:19]
; %bb.9570:                             ;   in Loop: Header=BB6_6801 Depth=2
	s_or_b32 exec_lo, exec_lo, s42
	v_add_nc_u32_e32 v15, 0xffffff81, v31
	v_lshrrev_b32_e32 v19, 23, v14
	s_mov_b32 s7, exec_lo
	s_delay_alu instid0(VALU_DEP_2) | instskip(NEXT) | instid1(VALU_DEP_1)
	v_cndmask_b32_e64 v15, v15, 0xffffff82, vcc_lo
	v_add3_u32 v31, v116, v15, v19
	v_and_b32_e32 v15, 0xfffff, v18
                                        ; implicit-def: $vgpr18
	s_delay_alu instid0(VALU_DEP_1) | instskip(SKIP_1) | instid1(VALU_DEP_2)
	v_dual_add_nc_u32 v19, 6, v31 :: v_dual_add_nc_u32 v14, v15, v14
	v_mov_b32_e32 v15, v53
	v_cmpx_ne_u32_e32 0, v19
	s_xor_b32 s7, exec_lo, s7
; %bb.9571:                             ;   in Loop: Header=BB6_6801 Depth=2
	s_delay_alu instid0(VALU_DEP_2) | instskip(SKIP_1) | instid1(VALU_DEP_1)
	v_cmp_lt_u64_e32 vcc_lo, 0xffffff, v[14:15]
	v_add_nc_u32_e32 v18, 7, v31
	v_cndmask_b32_e32 v18, v19, v18, vcc_lo
	v_cndmask_b32_e64 v19, 0, 1, vcc_lo
	s_delay_alu instid0(VALU_DEP_1)
	v_lshrrev_b64 v[14:15], v19, v[14:15]
; %bb.9572:                             ;   in Loop: Header=BB6_6801 Depth=2
	s_and_not1_saveexec_b32 s7, s7
; %bb.9573:                             ;   in Loop: Header=BB6_6801 Depth=2
	s_delay_alu instid0(VALU_DEP_1)
	v_bfe_u32 v18, v14, 23, 1
; %bb.9574:                             ;   in Loop: Header=BB6_6801 Depth=2
	s_or_b32 exec_lo, exec_lo, s7
	s_delay_alu instid0(VALU_DEP_2) | instskip(NEXT) | instid1(VALU_DEP_2)
	v_lshrrev_b64 v[14:15], 20, v[14:15]
	v_cmp_gt_i32_e32 vcc_lo, 16, v18
	v_min_i32_e32 v19, 15, v18
	v_cmp_eq_u32_e64 s7, 0, v18
	s_delay_alu instid0(VALU_DEP_4) | instskip(NEXT) | instid1(VALU_DEP_3)
	v_cndmask_b32_e32 v15, 0, v15, vcc_lo
	v_dual_cndmask_b32 v14, 7, v14 :: v_dual_lshlrev_b32 v19, 3, v19
	s_delay_alu instid0(VALU_DEP_1) | instskip(NEXT) | instid1(VALU_DEP_2)
	v_and_b32_e32 v19, 0xf8, v19
	v_cmp_eq_u64_e32 vcc_lo, 0, v[14:15]
	s_delay_alu instid0(VALU_DEP_2)
	v_and_or_b32 v14, v14, 7, v19
	s_and_b32 s7, s7, vcc_lo
	s_delay_alu instid0(VALU_DEP_1) | instid1(SALU_CYCLE_1)
	v_cndmask_b32_e64 v14, v14, 0, s7
	s_delay_alu instid0(VALU_DEP_1)
	v_or_b32_e32 v31, v14, v65
.LBB6_9575:                             ;   in Loop: Header=BB6_6801 Depth=2
	s_or_b32 exec_lo, exec_lo, s41
                                        ; implicit-def: $vgpr65
.LBB6_9576:                             ;   in Loop: Header=BB6_6801 Depth=2
	s_and_not1_saveexec_b32 s7, s40
; %bb.9577:                             ;   in Loop: Header=BB6_6801 Depth=2
	v_or_b32_e32 v31, 0x7e, v65
; %bb.9578:                             ;   in Loop: Header=BB6_6801 Depth=2
	s_or_b32 exec_lo, exec_lo, s7
                                        ; implicit-def: $vgpr15
.LBB6_9579:                             ;   in Loop: Header=BB6_6801 Depth=2
	s_and_not1_saveexec_b32 s7, s29
; %bb.9580:                             ;   in Loop: Header=BB6_6801 Depth=2
	v_or_b32_e32 v31, 0x7f, v15
; %bb.9581:                             ;   in Loop: Header=BB6_6801 Depth=2
	s_or_b32 exec_lo, exec_lo, s7
	v_lshrrev_b16 v14, 8, v51
	v_dual_mov_b32 v18, 0 :: v_dual_mov_b32 v19, 0
	s_mov_b32 s7, exec_lo
	s_delay_alu instid0(VALU_DEP_2)
	v_cmpx_ne_u16_e32 0, v14
	s_cbranch_execz .LBB6_9589
; %bb.9582:                             ;   in Loop: Header=BB6_6801 Depth=2
	v_bfrev_b32_e32 v19, 1
	s_mov_b32 s29, exec_lo
	v_cmpx_ne_u16_e32 0x80, v14
	s_cbranch_execz .LBB6_9588
; %bb.9583:                             ;   in Loop: Header=BB6_6801 Depth=2
	v_and_b32_e32 v14, 0xffff, v14
	v_mov_b32_e32 v19, 0x7f800001
	s_mov_b32 s40, exec_lo
	s_delay_alu instid0(VALU_DEP_2) | instskip(NEXT) | instid1(VALU_DEP_1)
	v_and_b32_e32 v65, 0x7f, v14
	v_cmpx_ne_u32_e32 0x7f, v65
	s_cbranch_execz .LBB6_9587
; %bb.9584:                             ;   in Loop: Header=BB6_6801 Depth=2
	v_dual_mov_b32 v15, v53 :: v_dual_bitop2_b32 v14, 7, v14 bitop3:0x40
	v_lshrrev_b32_e32 v19, 3, v65
	s_mov_b32 s41, exec_lo
	v_cmpx_gt_u32_e32 8, v65
; %bb.9585:                             ;   in Loop: Header=BB6_6801 Depth=2
	s_delay_alu instid0(VALU_DEP_3) | instskip(NEXT) | instid1(VALU_DEP_1)
	v_clz_i32_u32_e32 v19, v14
	v_min_u32_e32 v19, 32, v19
	s_delay_alu instid0(VALU_DEP_1) | instskip(NEXT) | instid1(VALU_DEP_1)
	v_subrev_nc_u32_e32 v65, 28, v19
	v_lshlrev_b64_e32 v[14:15], v65, v[14:15]
	s_delay_alu instid0(VALU_DEP_1)
	v_dual_sub_nc_u32 v19, 29, v19 :: v_dual_bitop2_b32 v14, 7, v14 bitop3:0x40
; %bb.9586:                             ;   in Loop: Header=BB6_6801 Depth=2
	s_or_b32 exec_lo, exec_lo, s41
	s_delay_alu instid0(VALU_DEP_1) | instskip(NEXT) | instid1(VALU_DEP_2)
	v_dual_lshlrev_b32 v15, 16, v51 :: v_dual_lshlrev_b32 v14, 20, v14
	v_lshl_add_u32 v19, v19, 23, 0x3c000000
	s_delay_alu instid0(VALU_DEP_2) | instskip(NEXT) | instid1(VALU_DEP_1)
	v_and_b32_e32 v15, 0x80000000, v15
	v_or3_b32 v19, v14, v15, v19
.LBB6_9587:                             ;   in Loop: Header=BB6_6801 Depth=2
	s_or_b32 exec_lo, exec_lo, s40
.LBB6_9588:                             ;   in Loop: Header=BB6_6801 Depth=2
	s_delay_alu instid0(SALU_CYCLE_1)
	s_or_b32 exec_lo, exec_lo, s29
.LBB6_9589:                             ;   in Loop: Header=BB6_6801 Depth=2
	s_delay_alu instid0(SALU_CYCLE_1) | instskip(SKIP_2) | instid1(VALU_DEP_1)
	s_or_b32 exec_lo, exec_lo, s7
	v_lshrrev_b16 v14, 8, v16
	s_mov_b32 s7, exec_lo
	v_cmpx_ne_u16_e32 0, v14
	s_cbranch_execz .LBB6_9597
; %bb.9590:                             ;   in Loop: Header=BB6_6801 Depth=2
	v_bfrev_b32_e32 v18, 1
	s_mov_b32 s29, exec_lo
	v_cmpx_ne_u16_e32 0x80, v14
	s_cbranch_execz .LBB6_9596
; %bb.9591:                             ;   in Loop: Header=BB6_6801 Depth=2
	v_and_b32_e32 v14, 0xffff, v14
	v_mov_b32_e32 v18, 0x7f800001
	s_mov_b32 s40, exec_lo
	s_delay_alu instid0(VALU_DEP_2) | instskip(NEXT) | instid1(VALU_DEP_1)
	v_and_b32_e32 v51, 0x7f, v14
	v_cmpx_ne_u32_e32 0x7f, v51
	s_cbranch_execz .LBB6_9595
; %bb.9592:                             ;   in Loop: Header=BB6_6801 Depth=2
	v_dual_mov_b32 v15, v53 :: v_dual_bitop2_b32 v14, 7, v14 bitop3:0x40
	v_lshrrev_b32_e32 v18, 3, v51
	s_mov_b32 s41, exec_lo
	v_cmpx_gt_u32_e32 8, v51
; %bb.9593:                             ;   in Loop: Header=BB6_6801 Depth=2
	s_delay_alu instid0(VALU_DEP_3) | instskip(NEXT) | instid1(VALU_DEP_1)
	v_clz_i32_u32_e32 v18, v14
	v_min_u32_e32 v18, 32, v18
	s_delay_alu instid0(VALU_DEP_1) | instskip(SKIP_1) | instid1(VALU_DEP_2)
	v_subrev_nc_u32_e32 v51, 28, v18
	v_sub_nc_u32_e32 v18, 29, v18
	v_lshlrev_b64_e32 v[14:15], v51, v[14:15]
	s_delay_alu instid0(VALU_DEP_1)
	v_and_b32_e32 v14, 7, v14
; %bb.9594:                             ;   in Loop: Header=BB6_6801 Depth=2
	s_or_b32 exec_lo, exec_lo, s41
	s_delay_alu instid0(VALU_DEP_1) | instskip(SKIP_1) | instid1(VALU_DEP_2)
	v_dual_lshlrev_b32 v15, 16, v16 :: v_dual_lshlrev_b32 v14, 20, v14
	v_lshl_add_u32 v18, v18, 23, 0x3c000000
	v_and_b32_e32 v15, 0x80000000, v15
	s_delay_alu instid0(VALU_DEP_1)
	v_or3_b32 v18, v14, v15, v18
.LBB6_9595:                             ;   in Loop: Header=BB6_6801 Depth=2
	s_or_b32 exec_lo, exec_lo, s40
.LBB6_9596:                             ;   in Loop: Header=BB6_6801 Depth=2
	s_delay_alu instid0(SALU_CYCLE_1)
	s_or_b32 exec_lo, exec_lo, s29
.LBB6_9597:                             ;   in Loop: Header=BB6_6801 Depth=2
	s_delay_alu instid0(SALU_CYCLE_1) | instskip(NEXT) | instid1(VALU_DEP_1)
	s_or_b32 exec_lo, exec_lo, s7
	v_dual_add_f32 v14, v19, v18 :: v_dual_mov_b32 v19, v53
                                        ; implicit-def: $vgpr51
	s_mov_b32 s7, exec_lo
	s_delay_alu instid0(VALU_DEP_1) | instskip(SKIP_1) | instid1(VALU_DEP_2)
	v_and_b32_e32 v18, 0x7f800000, v14
	v_lshrrev_b32_e32 v15, 24, v14
	v_cmpx_ne_u64_e32 0x7f800000, v[18:19]
	s_xor_b32 s29, exec_lo, s7
	s_cbranch_execz .LBB6_9611
; %bb.9598:                             ;   in Loop: Header=BB6_6801 Depth=2
	v_and_b32_e32 v18, 0x7fffffff, v14
	v_mov_b32_e32 v19, v53
	v_and_b32_e32 v65, 0x80, v15
                                        ; implicit-def: $vgpr51
	s_mov_b32 s7, exec_lo
	s_delay_alu instid0(VALU_DEP_2)
	v_cmpx_gt_u64_e32 0x43e00001, v[18:19]
	s_xor_b32 s40, exec_lo, s7
	s_cbranch_execz .LBB6_9608
; %bb.9599:                             ;   in Loop: Header=BB6_6801 Depth=2
	v_mov_b32_e32 v51, 0
	s_mov_b32 s41, exec_lo
	v_cmpx_ne_u32_e32 0, v14
	s_cbranch_execz .LBB6_9607
; %bb.9600:                             ;   in Loop: Header=BB6_6801 Depth=2
	v_bfe_u32 v51, v14, 23, 8
	v_and_b32_e32 v15, 0x7fffff, v14
	s_delay_alu instid0(VALU_DEP_2) | instskip(SKIP_2) | instid1(VALU_DEP_4)
	v_cmp_gt_u32_e64 s7, 0x7a, v51
	v_sub_nc_u32_e32 v14, 0x79, v51
	v_cmp_eq_u32_e32 vcc_lo, 0, v51
	v_or_b32_e32 v18, 0x800000, v15
	s_delay_alu instid0(VALU_DEP_3) | instskip(NEXT) | instid1(VALU_DEP_1)
	v_cndmask_b32_e64 v14, 0, v14, s7
	v_cndmask_b32_e64 v116, v14, 0x78, vcc_lo
	s_delay_alu instid0(VALU_DEP_3) | instskip(NEXT) | instid1(VALU_DEP_2)
	v_dual_cndmask_b32 v14, v18, v15 :: v_dual_mov_b32 v15, v53
	v_dual_add_nc_u32 v18, 20, v116 :: v_dual_add_nc_u32 v117, 19, v116
	s_delay_alu instid0(VALU_DEP_1) | instskip(NEXT) | instid1(VALU_DEP_2)
	v_lshlrev_b64_e64 v[18:19], v18, -1
	v_lshlrev_b64_e64 v[92:93], v117, 1
	s_delay_alu instid0(VALU_DEP_2) | instskip(SKIP_1) | instid1(VALU_DEP_4)
	v_bfi_b32 v18, v18, 0, v14
	v_lshrrev_b64 v[14:15], v116, v[14:15]
	v_bfi_b32 v19, v19, 0, 0
	s_delay_alu instid0(VALU_DEP_1) | instskip(NEXT) | instid1(VALU_DEP_3)
	v_cmp_eq_u64_e64 s7, v[18:19], v[92:93]
	v_mov_b64_e32 v[18:19], v[14:15]
	s_and_saveexec_b32 s42, s7
; %bb.9601:                             ;   in Loop: Header=BB6_6801 Depth=2
	v_bfe_u32 v18, v14, 20, 1
	v_mov_b32_e32 v19, v53
	s_delay_alu instid0(VALU_DEP_1) | instskip(NEXT) | instid1(VALU_DEP_1)
	v_add_nc_u64_e32 v[18:19], v[14:15], v[18:19]
	v_add_nc_u64_e32 v[18:19], -1, v[18:19]
; %bb.9602:                             ;   in Loop: Header=BB6_6801 Depth=2
	s_or_b32 exec_lo, exec_lo, s42
	v_add_nc_u32_e32 v15, 0xffffff81, v51
	v_lshrrev_b32_e32 v19, 23, v14
	s_mov_b32 s7, exec_lo
	s_delay_alu instid0(VALU_DEP_2) | instskip(NEXT) | instid1(VALU_DEP_1)
	v_cndmask_b32_e64 v15, v15, 0xffffff82, vcc_lo
	v_add3_u32 v51, v116, v15, v19
	v_and_b32_e32 v15, 0xfffff, v18
                                        ; implicit-def: $vgpr18
	s_delay_alu instid0(VALU_DEP_1) | instskip(SKIP_1) | instid1(VALU_DEP_2)
	v_dual_add_nc_u32 v19, 6, v51 :: v_dual_add_nc_u32 v14, v15, v14
	v_mov_b32_e32 v15, v53
	v_cmpx_ne_u32_e32 0, v19
	s_xor_b32 s7, exec_lo, s7
; %bb.9603:                             ;   in Loop: Header=BB6_6801 Depth=2
	s_delay_alu instid0(VALU_DEP_2) | instskip(SKIP_1) | instid1(VALU_DEP_1)
	v_cmp_lt_u64_e32 vcc_lo, 0xffffff, v[14:15]
	v_add_nc_u32_e32 v18, 7, v51
	v_cndmask_b32_e32 v18, v19, v18, vcc_lo
	v_cndmask_b32_e64 v19, 0, 1, vcc_lo
	s_delay_alu instid0(VALU_DEP_1)
	v_lshrrev_b64 v[14:15], v19, v[14:15]
; %bb.9604:                             ;   in Loop: Header=BB6_6801 Depth=2
	s_and_not1_saveexec_b32 s7, s7
; %bb.9605:                             ;   in Loop: Header=BB6_6801 Depth=2
	s_delay_alu instid0(VALU_DEP_1)
	v_bfe_u32 v18, v14, 23, 1
; %bb.9606:                             ;   in Loop: Header=BB6_6801 Depth=2
	s_or_b32 exec_lo, exec_lo, s7
	s_delay_alu instid0(VALU_DEP_2) | instskip(NEXT) | instid1(VALU_DEP_2)
	v_lshrrev_b64 v[14:15], 20, v[14:15]
	v_cmp_gt_i32_e32 vcc_lo, 16, v18
	v_min_i32_e32 v19, 15, v18
	v_cmp_eq_u32_e64 s7, 0, v18
	s_delay_alu instid0(VALU_DEP_4) | instskip(NEXT) | instid1(VALU_DEP_3)
	v_cndmask_b32_e32 v15, 0, v15, vcc_lo
	v_dual_cndmask_b32 v14, 7, v14 :: v_dual_lshlrev_b32 v19, 3, v19
	s_delay_alu instid0(VALU_DEP_1) | instskip(NEXT) | instid1(VALU_DEP_2)
	v_and_b32_e32 v19, 0xf8, v19
	v_cmp_eq_u64_e32 vcc_lo, 0, v[14:15]
	s_delay_alu instid0(VALU_DEP_2)
	v_and_or_b32 v14, v14, 7, v19
	s_and_b32 s7, s7, vcc_lo
	s_delay_alu instid0(VALU_DEP_1) | instid1(SALU_CYCLE_1)
	v_cndmask_b32_e64 v14, v14, 0, s7
	s_delay_alu instid0(VALU_DEP_1)
	v_or_b32_e32 v51, v14, v65
.LBB6_9607:                             ;   in Loop: Header=BB6_6801 Depth=2
	s_or_b32 exec_lo, exec_lo, s41
                                        ; implicit-def: $vgpr65
.LBB6_9608:                             ;   in Loop: Header=BB6_6801 Depth=2
	s_and_not1_saveexec_b32 s7, s40
; %bb.9609:                             ;   in Loop: Header=BB6_6801 Depth=2
	v_or_b32_e32 v51, 0x7e, v65
; %bb.9610:                             ;   in Loop: Header=BB6_6801 Depth=2
	s_or_b32 exec_lo, exec_lo, s7
                                        ; implicit-def: $vgpr15
.LBB6_9611:                             ;   in Loop: Header=BB6_6801 Depth=2
	s_and_not1_saveexec_b32 s7, s29
; %bb.9612:                             ;   in Loop: Header=BB6_6801 Depth=2
	v_or_b32_e32 v51, 0x7f, v15
; %bb.9613:                             ;   in Loop: Header=BB6_6801 Depth=2
	s_or_b32 exec_lo, exec_lo, s7
	v_dual_mov_b32 v18, 0 :: v_dual_lshrrev_b32 v65, 16, v52
	v_mov_b32_e32 v19, 0
	s_mov_b32 s7, exec_lo
	s_delay_alu instid0(VALU_DEP_2) | instskip(NEXT) | instid1(VALU_DEP_1)
	v_and_b32_e32 v14, 0xff, v65
	v_cmpx_ne_u16_e32 0, v14
	s_cbranch_execz .LBB6_9621
; %bb.9614:                             ;   in Loop: Header=BB6_6801 Depth=2
	v_bfrev_b32_e32 v19, 1
	s_mov_b32 s29, exec_lo
	v_cmpx_ne_u16_e32 0x80, v14
	s_cbranch_execz .LBB6_9620
; %bb.9615:                             ;   in Loop: Header=BB6_6801 Depth=2
	v_bfe_u32 v116, v52, 16, 7
	v_mov_b32_e32 v19, 0x7f800001
	s_mov_b32 s40, exec_lo
	s_delay_alu instid0(VALU_DEP_2)
	v_cmpx_ne_u32_e32 0x7f, v116
	s_cbranch_execz .LBB6_9619
; %bb.9616:                             ;   in Loop: Header=BB6_6801 Depth=2
	v_dual_mov_b32 v15, v53 :: v_dual_bitop2_b32 v14, 7, v65 bitop3:0x40
	v_lshrrev_b32_e32 v19, 3, v116
	s_mov_b32 s41, exec_lo
	v_cmpx_gt_u32_e32 8, v116
; %bb.9617:                             ;   in Loop: Header=BB6_6801 Depth=2
	s_delay_alu instid0(VALU_DEP_3) | instskip(NEXT) | instid1(VALU_DEP_1)
	v_clz_i32_u32_e32 v19, v14
	v_min_u32_e32 v19, 32, v19
	s_delay_alu instid0(VALU_DEP_1) | instskip(NEXT) | instid1(VALU_DEP_1)
	v_subrev_nc_u32_e32 v116, 28, v19
	v_lshlrev_b64_e32 v[14:15], v116, v[14:15]
	s_delay_alu instid0(VALU_DEP_1)
	v_dual_sub_nc_u32 v19, 29, v19 :: v_dual_bitop2_b32 v14, 7, v14 bitop3:0x40
; %bb.9618:                             ;   in Loop: Header=BB6_6801 Depth=2
	s_or_b32 exec_lo, exec_lo, s41
	s_delay_alu instid0(VALU_DEP_1) | instskip(NEXT) | instid1(VALU_DEP_2)
	v_dual_lshlrev_b32 v15, 24, v65 :: v_dual_lshlrev_b32 v14, 20, v14
	v_lshl_add_u32 v19, v19, 23, 0x3c000000
	s_delay_alu instid0(VALU_DEP_2) | instskip(NEXT) | instid1(VALU_DEP_1)
	v_and_b32_e32 v15, 0x80000000, v15
	v_or3_b32 v19, v14, v15, v19
.LBB6_9619:                             ;   in Loop: Header=BB6_6801 Depth=2
	s_or_b32 exec_lo, exec_lo, s40
.LBB6_9620:                             ;   in Loop: Header=BB6_6801 Depth=2
	s_delay_alu instid0(SALU_CYCLE_1)
	s_or_b32 exec_lo, exec_lo, s29
.LBB6_9621:                             ;   in Loop: Header=BB6_6801 Depth=2
	s_delay_alu instid0(SALU_CYCLE_1) | instskip(SKIP_2) | instid1(VALU_DEP_1)
	s_or_b32 exec_lo, exec_lo, s7
	v_lshrrev_b32_e32 v14, 16, v16
	s_mov_b32 s7, exec_lo
	v_and_b32_e32 v15, 0xff, v14
	s_delay_alu instid0(VALU_DEP_1)
	v_cmpx_ne_u16_e32 0, v15
	s_cbranch_execz .LBB6_9629
; %bb.9622:                             ;   in Loop: Header=BB6_6801 Depth=2
	v_bfrev_b32_e32 v18, 1
	s_mov_b32 s29, exec_lo
	v_cmpx_ne_u16_e32 0x80, v15
	s_cbranch_execz .LBB6_9628
; %bb.9623:                             ;   in Loop: Header=BB6_6801 Depth=2
	v_bfe_u32 v65, v16, 16, 7
	v_mov_b32_e32 v18, 0x7f800001
	s_mov_b32 s40, exec_lo
	s_delay_alu instid0(VALU_DEP_2)
	v_cmpx_ne_u32_e32 0x7f, v65
	s_cbranch_execz .LBB6_9627
; %bb.9624:                             ;   in Loop: Header=BB6_6801 Depth=2
	v_dual_mov_b32 v15, v53 :: v_dual_bitop2_b32 v14, 7, v14 bitop3:0x40
	v_lshrrev_b32_e32 v18, 3, v65
	s_mov_b32 s41, exec_lo
	v_cmpx_gt_u32_e32 8, v65
; %bb.9625:                             ;   in Loop: Header=BB6_6801 Depth=2
	s_delay_alu instid0(VALU_DEP_3) | instskip(NEXT) | instid1(VALU_DEP_1)
	v_clz_i32_u32_e32 v18, v14
	v_min_u32_e32 v18, 32, v18
	s_delay_alu instid0(VALU_DEP_1) | instskip(SKIP_1) | instid1(VALU_DEP_2)
	v_subrev_nc_u32_e32 v65, 28, v18
	v_sub_nc_u32_e32 v18, 29, v18
	v_lshlrev_b64_e32 v[14:15], v65, v[14:15]
	s_delay_alu instid0(VALU_DEP_1)
	v_and_b32_e32 v14, 7, v14
; %bb.9626:                             ;   in Loop: Header=BB6_6801 Depth=2
	s_or_b32 exec_lo, exec_lo, s41
	s_delay_alu instid0(VALU_DEP_1) | instskip(SKIP_1) | instid1(VALU_DEP_2)
	v_dual_lshlrev_b32 v15, 8, v16 :: v_dual_lshlrev_b32 v14, 20, v14
	v_lshl_add_u32 v18, v18, 23, 0x3c000000
	v_and_b32_e32 v15, 0x80000000, v15
	s_delay_alu instid0(VALU_DEP_1)
	v_or3_b32 v18, v14, v15, v18
.LBB6_9627:                             ;   in Loop: Header=BB6_6801 Depth=2
	s_or_b32 exec_lo, exec_lo, s40
.LBB6_9628:                             ;   in Loop: Header=BB6_6801 Depth=2
	s_delay_alu instid0(SALU_CYCLE_1)
	s_or_b32 exec_lo, exec_lo, s29
.LBB6_9629:                             ;   in Loop: Header=BB6_6801 Depth=2
	s_delay_alu instid0(SALU_CYCLE_1) | instskip(NEXT) | instid1(VALU_DEP_1)
	s_or_b32 exec_lo, exec_lo, s7
	v_dual_add_f32 v14, v19, v18 :: v_dual_mov_b32 v19, v53
                                        ; implicit-def: $vgpr65
	s_mov_b32 s7, exec_lo
	s_delay_alu instid0(VALU_DEP_1) | instskip(SKIP_1) | instid1(VALU_DEP_2)
	v_and_b32_e32 v18, 0x7f800000, v14
	v_lshrrev_b32_e32 v15, 24, v14
	v_cmpx_ne_u64_e32 0x7f800000, v[18:19]
	s_xor_b32 s29, exec_lo, s7
	s_cbranch_execz .LBB6_9643
; %bb.9630:                             ;   in Loop: Header=BB6_6801 Depth=2
	v_and_b32_e32 v18, 0x7fffffff, v14
	v_mov_b32_e32 v19, v53
	v_and_b32_e32 v116, 0x80, v15
                                        ; implicit-def: $vgpr65
	s_mov_b32 s7, exec_lo
	s_delay_alu instid0(VALU_DEP_2)
	v_cmpx_gt_u64_e32 0x43e00001, v[18:19]
	s_xor_b32 s40, exec_lo, s7
	s_cbranch_execz .LBB6_9640
; %bb.9631:                             ;   in Loop: Header=BB6_6801 Depth=2
	v_mov_b32_e32 v65, 0
	s_mov_b32 s41, exec_lo
	v_cmpx_ne_u32_e32 0, v14
	s_cbranch_execz .LBB6_9639
; %bb.9632:                             ;   in Loop: Header=BB6_6801 Depth=2
	v_bfe_u32 v65, v14, 23, 8
	v_and_b32_e32 v15, 0x7fffff, v14
	s_delay_alu instid0(VALU_DEP_2) | instskip(SKIP_2) | instid1(VALU_DEP_4)
	v_cmp_gt_u32_e64 s7, 0x7a, v65
	v_sub_nc_u32_e32 v14, 0x79, v65
	v_cmp_eq_u32_e32 vcc_lo, 0, v65
	v_or_b32_e32 v18, 0x800000, v15
	s_delay_alu instid0(VALU_DEP_3) | instskip(NEXT) | instid1(VALU_DEP_1)
	v_cndmask_b32_e64 v14, 0, v14, s7
	v_cndmask_b32_e64 v117, v14, 0x78, vcc_lo
	s_delay_alu instid0(VALU_DEP_3) | instskip(NEXT) | instid1(VALU_DEP_2)
	v_dual_cndmask_b32 v14, v18, v15 :: v_dual_mov_b32 v15, v53
	v_dual_add_nc_u32 v18, 20, v117 :: v_dual_add_nc_u32 v118, 19, v117
	s_delay_alu instid0(VALU_DEP_1) | instskip(NEXT) | instid1(VALU_DEP_2)
	v_lshlrev_b64_e64 v[18:19], v18, -1
	v_lshlrev_b64_e64 v[92:93], v118, 1
	s_delay_alu instid0(VALU_DEP_2) | instskip(SKIP_1) | instid1(VALU_DEP_4)
	v_bfi_b32 v18, v18, 0, v14
	v_lshrrev_b64 v[14:15], v117, v[14:15]
	v_bfi_b32 v19, v19, 0, 0
	s_delay_alu instid0(VALU_DEP_1) | instskip(NEXT) | instid1(VALU_DEP_3)
	v_cmp_eq_u64_e64 s7, v[18:19], v[92:93]
	v_mov_b64_e32 v[18:19], v[14:15]
	s_and_saveexec_b32 s42, s7
; %bb.9633:                             ;   in Loop: Header=BB6_6801 Depth=2
	v_bfe_u32 v18, v14, 20, 1
	v_mov_b32_e32 v19, v53
	s_delay_alu instid0(VALU_DEP_1) | instskip(NEXT) | instid1(VALU_DEP_1)
	v_add_nc_u64_e32 v[18:19], v[14:15], v[18:19]
	v_add_nc_u64_e32 v[18:19], -1, v[18:19]
; %bb.9634:                             ;   in Loop: Header=BB6_6801 Depth=2
	s_or_b32 exec_lo, exec_lo, s42
	v_add_nc_u32_e32 v15, 0xffffff81, v65
	v_lshrrev_b32_e32 v19, 23, v14
	s_mov_b32 s7, exec_lo
	s_delay_alu instid0(VALU_DEP_2) | instskip(NEXT) | instid1(VALU_DEP_1)
	v_cndmask_b32_e64 v15, v15, 0xffffff82, vcc_lo
	v_add3_u32 v65, v117, v15, v19
	v_and_b32_e32 v15, 0xfffff, v18
                                        ; implicit-def: $vgpr18
	s_delay_alu instid0(VALU_DEP_1) | instskip(SKIP_1) | instid1(VALU_DEP_2)
	v_dual_add_nc_u32 v19, 6, v65 :: v_dual_add_nc_u32 v14, v15, v14
	v_mov_b32_e32 v15, v53
	v_cmpx_ne_u32_e32 0, v19
	s_xor_b32 s7, exec_lo, s7
; %bb.9635:                             ;   in Loop: Header=BB6_6801 Depth=2
	s_delay_alu instid0(VALU_DEP_2) | instskip(SKIP_1) | instid1(VALU_DEP_1)
	v_cmp_lt_u64_e32 vcc_lo, 0xffffff, v[14:15]
	v_add_nc_u32_e32 v18, 7, v65
	v_cndmask_b32_e32 v18, v19, v18, vcc_lo
	v_cndmask_b32_e64 v19, 0, 1, vcc_lo
	s_delay_alu instid0(VALU_DEP_1)
	v_lshrrev_b64 v[14:15], v19, v[14:15]
; %bb.9636:                             ;   in Loop: Header=BB6_6801 Depth=2
	s_and_not1_saveexec_b32 s7, s7
; %bb.9637:                             ;   in Loop: Header=BB6_6801 Depth=2
	s_delay_alu instid0(VALU_DEP_1)
	v_bfe_u32 v18, v14, 23, 1
; %bb.9638:                             ;   in Loop: Header=BB6_6801 Depth=2
	s_or_b32 exec_lo, exec_lo, s7
	s_delay_alu instid0(VALU_DEP_2) | instskip(NEXT) | instid1(VALU_DEP_2)
	v_lshrrev_b64 v[14:15], 20, v[14:15]
	v_cmp_gt_i32_e32 vcc_lo, 16, v18
	v_min_i32_e32 v19, 15, v18
	v_cmp_eq_u32_e64 s7, 0, v18
	s_delay_alu instid0(VALU_DEP_4) | instskip(NEXT) | instid1(VALU_DEP_3)
	v_cndmask_b32_e32 v15, 0, v15, vcc_lo
	v_dual_cndmask_b32 v14, 7, v14 :: v_dual_lshlrev_b32 v19, 3, v19
	s_delay_alu instid0(VALU_DEP_1) | instskip(NEXT) | instid1(VALU_DEP_2)
	v_and_b32_e32 v19, 0xf8, v19
	v_cmp_eq_u64_e32 vcc_lo, 0, v[14:15]
	s_delay_alu instid0(VALU_DEP_2)
	v_and_or_b32 v14, v14, 7, v19
	s_and_b32 s7, s7, vcc_lo
	s_delay_alu instid0(VALU_DEP_1) | instid1(SALU_CYCLE_1)
	v_cndmask_b32_e64 v14, v14, 0, s7
	s_delay_alu instid0(VALU_DEP_1)
	v_or_b32_e32 v65, v14, v116
.LBB6_9639:                             ;   in Loop: Header=BB6_6801 Depth=2
	s_or_b32 exec_lo, exec_lo, s41
                                        ; implicit-def: $vgpr116
.LBB6_9640:                             ;   in Loop: Header=BB6_6801 Depth=2
	s_and_not1_saveexec_b32 s7, s40
; %bb.9641:                             ;   in Loop: Header=BB6_6801 Depth=2
	v_or_b32_e32 v65, 0x7e, v116
; %bb.9642:                             ;   in Loop: Header=BB6_6801 Depth=2
	s_or_b32 exec_lo, exec_lo, s7
                                        ; implicit-def: $vgpr15
.LBB6_9643:                             ;   in Loop: Header=BB6_6801 Depth=2
	s_and_not1_saveexec_b32 s7, s29
; %bb.9644:                             ;   in Loop: Header=BB6_6801 Depth=2
	v_or_b32_e32 v65, 0x7f, v15
; %bb.9645:                             ;   in Loop: Header=BB6_6801 Depth=2
	s_or_b32 exec_lo, exec_lo, s7
	v_dual_mov_b32 v18, 0 :: v_dual_mov_b32 v19, 0
	s_mov_b32 s7, exec_lo
	v_cmpx_lt_u32_e32 0xffffff, v52
	s_cbranch_execz .LBB6_9653
; %bb.9646:                             ;   in Loop: Header=BB6_6801 Depth=2
	v_lshrrev_b32_e32 v116, 24, v52
	v_bfrev_b32_e32 v19, 1
	s_mov_b32 s29, exec_lo
	s_delay_alu instid0(VALU_DEP_2)
	v_cmpx_ne_u32_e32 0x80, v116
	s_cbranch_execz .LBB6_9652
; %bb.9647:                             ;   in Loop: Header=BB6_6801 Depth=2
	v_bfe_u32 v14, v52, 24, 7
	v_mov_b32_e32 v19, 0x7f800001
	s_mov_b32 s40, exec_lo
	s_delay_alu instid0(VALU_DEP_2)
	v_cmpx_ne_u32_e32 0x7f, v14
	s_cbranch_execz .LBB6_9651
; %bb.9648:                             ;   in Loop: Header=BB6_6801 Depth=2
	v_dual_lshrrev_b32 v19, 3, v14 :: v_dual_bitop2_b32 v52, 7, v116 bitop3:0x40
	v_cmp_gt_u32_e32 vcc_lo, 8, v14
	s_delay_alu instid0(VALU_DEP_2)
	v_mov_b64_e32 v[14:15], v[52:53]
	s_and_saveexec_b32 s41, vcc_lo
; %bb.9649:                             ;   in Loop: Header=BB6_6801 Depth=2
	v_clz_i32_u32_e32 v14, v52
	s_delay_alu instid0(VALU_DEP_1) | instskip(NEXT) | instid1(VALU_DEP_1)
	v_min_u32_e32 v19, 32, v14
	v_subrev_nc_u32_e32 v14, 28, v19
	s_delay_alu instid0(VALU_DEP_1) | instskip(NEXT) | instid1(VALU_DEP_1)
	v_lshlrev_b64_e32 v[14:15], v14, v[52:53]
	v_dual_sub_nc_u32 v19, 29, v19 :: v_dual_bitop2_b32 v14, 7, v14 bitop3:0x40
; %bb.9650:                             ;   in Loop: Header=BB6_6801 Depth=2
	s_or_b32 exec_lo, exec_lo, s41
	s_delay_alu instid0(VALU_DEP_1) | instskip(NEXT) | instid1(VALU_DEP_2)
	v_dual_lshlrev_b32 v15, 24, v116 :: v_dual_lshlrev_b32 v14, 20, v14
	v_lshl_add_u32 v19, v19, 23, 0x3c000000
	s_delay_alu instid0(VALU_DEP_2) | instskip(NEXT) | instid1(VALU_DEP_1)
	v_and_b32_e32 v15, 0x80000000, v15
	v_or3_b32 v19, v14, v15, v19
.LBB6_9651:                             ;   in Loop: Header=BB6_6801 Depth=2
	s_or_b32 exec_lo, exec_lo, s40
.LBB6_9652:                             ;   in Loop: Header=BB6_6801 Depth=2
	s_delay_alu instid0(SALU_CYCLE_1)
	s_or_b32 exec_lo, exec_lo, s29
.LBB6_9653:                             ;   in Loop: Header=BB6_6801 Depth=2
	s_delay_alu instid0(SALU_CYCLE_1) | instskip(NEXT) | instid1(SALU_CYCLE_1)
	s_or_b32 exec_lo, exec_lo, s7
	s_mov_b32 s7, exec_lo
	v_cmpx_lt_u32_e32 0xffffff, v16
	s_cbranch_execz .LBB6_9661
; %bb.9654:                             ;   in Loop: Header=BB6_6801 Depth=2
	v_lshrrev_b32_e32 v116, 24, v16
	v_bfrev_b32_e32 v18, 1
	s_mov_b32 s29, exec_lo
	s_delay_alu instid0(VALU_DEP_2)
	v_cmpx_ne_u32_e32 0x80, v116
	s_cbranch_execz .LBB6_9660
; %bb.9655:                             ;   in Loop: Header=BB6_6801 Depth=2
	v_bfe_u32 v14, v16, 24, 7
	v_mov_b32_e32 v18, 0x7f800001
	s_mov_b32 s40, exec_lo
	s_delay_alu instid0(VALU_DEP_2)
	v_cmpx_ne_u32_e32 0x7f, v14
	s_cbranch_execz .LBB6_9659
; %bb.9656:                             ;   in Loop: Header=BB6_6801 Depth=2
	v_dual_lshrrev_b32 v18, 3, v14 :: v_dual_bitop2_b32 v52, 7, v116 bitop3:0x40
	v_cmp_gt_u32_e32 vcc_lo, 8, v14
	s_delay_alu instid0(VALU_DEP_2)
	v_mov_b64_e32 v[14:15], v[52:53]
	s_and_saveexec_b32 s41, vcc_lo
; %bb.9657:                             ;   in Loop: Header=BB6_6801 Depth=2
	v_clz_i32_u32_e32 v14, v52
	s_delay_alu instid0(VALU_DEP_1) | instskip(NEXT) | instid1(VALU_DEP_1)
	v_min_u32_e32 v18, 32, v14
	v_subrev_nc_u32_e32 v14, 28, v18
	v_sub_nc_u32_e32 v18, 29, v18
	s_delay_alu instid0(VALU_DEP_2) | instskip(NEXT) | instid1(VALU_DEP_1)
	v_lshlrev_b64_e32 v[14:15], v14, v[52:53]
	v_and_b32_e32 v14, 7, v14
; %bb.9658:                             ;   in Loop: Header=BB6_6801 Depth=2
	s_or_b32 exec_lo, exec_lo, s41
	s_delay_alu instid0(VALU_DEP_1) | instskip(SKIP_1) | instid1(VALU_DEP_2)
	v_dual_lshlrev_b32 v15, 24, v116 :: v_dual_lshlrev_b32 v14, 20, v14
	v_lshl_add_u32 v18, v18, 23, 0x3c000000
	v_and_b32_e32 v15, 0x80000000, v15
	s_delay_alu instid0(VALU_DEP_1)
	v_or3_b32 v18, v14, v15, v18
.LBB6_9659:                             ;   in Loop: Header=BB6_6801 Depth=2
	s_or_b32 exec_lo, exec_lo, s40
.LBB6_9660:                             ;   in Loop: Header=BB6_6801 Depth=2
	s_delay_alu instid0(SALU_CYCLE_1)
	s_or_b32 exec_lo, exec_lo, s29
.LBB6_9661:                             ;   in Loop: Header=BB6_6801 Depth=2
	s_delay_alu instid0(SALU_CYCLE_1) | instskip(NEXT) | instid1(VALU_DEP_1)
	s_or_b32 exec_lo, exec_lo, s7
	v_add_f32_e32 v14, v19, v18
                                        ; implicit-def: $vgpr116
	s_mov_b32 s7, exec_lo
	s_delay_alu instid0(VALU_DEP_1) | instskip(SKIP_1) | instid1(VALU_DEP_2)
	v_and_b32_e32 v52, 0x7f800000, v14
	v_lshrrev_b32_e32 v15, 24, v14
	v_cmpx_ne_u64_e32 0x7f800000, v[52:53]
	s_xor_b32 s29, exec_lo, s7
	s_cbranch_execz .LBB6_9675
; %bb.9662:                             ;   in Loop: Header=BB6_6801 Depth=2
	v_and_b32_e32 v52, 0x7fffffff, v14
	v_and_b32_e32 v117, 0x80, v15
                                        ; implicit-def: $vgpr116
	s_mov_b32 s7, exec_lo
	s_delay_alu instid0(VALU_DEP_2)
	v_cmpx_gt_u64_e32 0x43e00001, v[52:53]
	s_xor_b32 s40, exec_lo, s7
	s_cbranch_execz .LBB6_9672
; %bb.9663:                             ;   in Loop: Header=BB6_6801 Depth=2
	v_mov_b32_e32 v116, 0
	s_mov_b32 s41, exec_lo
	v_cmpx_ne_u32_e32 0, v14
	s_cbranch_execz .LBB6_9671
; %bb.9664:                             ;   in Loop: Header=BB6_6801 Depth=2
	v_bfe_u32 v116, v14, 23, 8
	v_and_b32_e32 v15, 0x7fffff, v14
	s_delay_alu instid0(VALU_DEP_2) | instskip(SKIP_2) | instid1(VALU_DEP_4)
	v_cmp_gt_u32_e64 s7, 0x7a, v116
	v_sub_nc_u32_e32 v14, 0x79, v116
	v_cmp_eq_u32_e32 vcc_lo, 0, v116
	v_or_b32_e32 v18, 0x800000, v15
	s_delay_alu instid0(VALU_DEP_1) | instskip(NEXT) | instid1(VALU_DEP_1)
	v_dual_cndmask_b32 v14, 0, v14, s7 :: v_dual_cndmask_b32 v52, v18, v15, vcc_lo
	v_cndmask_b32_e64 v118, v14, 0x78, vcc_lo
	s_delay_alu instid0(VALU_DEP_1) | instskip(NEXT) | instid1(VALU_DEP_1)
	v_dual_add_nc_u32 v14, 20, v118 :: v_dual_add_nc_u32 v18, 19, v118
	v_lshlrev_b64_e64 v[14:15], v14, -1
	s_delay_alu instid0(VALU_DEP_2) | instskip(NEXT) | instid1(VALU_DEP_2)
	v_lshlrev_b64_e64 v[18:19], v18, 1
	v_bfi_b32 v15, v15, 0, 0
	s_delay_alu instid0(VALU_DEP_3) | instskip(NEXT) | instid1(VALU_DEP_1)
	v_bfi_b32 v14, v14, 0, v52
	v_cmp_eq_u64_e64 s7, v[14:15], v[18:19]
	v_lshrrev_b64 v[14:15], v118, v[52:53]
	s_delay_alu instid0(VALU_DEP_1)
	v_mov_b64_e32 v[18:19], v[14:15]
	s_and_saveexec_b32 s42, s7
; %bb.9665:                             ;   in Loop: Header=BB6_6801 Depth=2
	v_bfe_u32 v52, v14, 20, 1
	s_delay_alu instid0(VALU_DEP_1) | instskip(NEXT) | instid1(VALU_DEP_1)
	v_add_nc_u64_e32 v[18:19], v[14:15], v[52:53]
	v_add_nc_u64_e32 v[18:19], -1, v[18:19]
; %bb.9666:                             ;   in Loop: Header=BB6_6801 Depth=2
	s_or_b32 exec_lo, exec_lo, s42
	v_add_nc_u32_e32 v15, 0xffffff81, v116
	v_lshrrev_b32_e32 v19, 23, v14
	s_mov_b32 s7, exec_lo
	s_delay_alu instid0(VALU_DEP_2) | instskip(NEXT) | instid1(VALU_DEP_1)
	v_cndmask_b32_e64 v15, v15, 0xffffff82, vcc_lo
	v_add3_u32 v116, v118, v15, v19
	v_and_b32_e32 v15, 0xfffff, v18
                                        ; implicit-def: $vgpr18
	s_delay_alu instid0(VALU_DEP_1) | instskip(NEXT) | instid1(VALU_DEP_1)
	v_dual_add_nc_u32 v19, 6, v116 :: v_dual_add_nc_u32 v52, v15, v14
                                        ; implicit-def: $vgpr14_vgpr15
	v_cmpx_ne_u32_e32 0, v19
	s_xor_b32 s7, exec_lo, s7
; %bb.9667:                             ;   in Loop: Header=BB6_6801 Depth=2
	s_delay_alu instid0(VALU_DEP_2) | instskip(SKIP_1) | instid1(VALU_DEP_1)
	v_cmp_lt_u64_e32 vcc_lo, 0xffffff, v[52:53]
	v_add_nc_u32_e32 v14, 7, v116
	v_cndmask_b32_e32 v18, v19, v14, vcc_lo
	v_cndmask_b32_e64 v14, 0, 1, vcc_lo
	s_delay_alu instid0(VALU_DEP_1)
	v_lshrrev_b64 v[14:15], v14, v[52:53]
; %bb.9668:                             ;   in Loop: Header=BB6_6801 Depth=2
	s_and_not1_saveexec_b32 s7, s7
; %bb.9669:                             ;   in Loop: Header=BB6_6801 Depth=2
	v_mov_b64_e32 v[14:15], v[52:53]
	v_bfe_u32 v18, v52, 23, 1
; %bb.9670:                             ;   in Loop: Header=BB6_6801 Depth=2
	s_or_b32 exec_lo, exec_lo, s7
	s_delay_alu instid0(VALU_DEP_2) | instskip(NEXT) | instid1(VALU_DEP_2)
	v_lshrrev_b64 v[14:15], 20, v[14:15]
	v_cmp_gt_i32_e32 vcc_lo, 16, v18
	v_min_i32_e32 v19, 15, v18
	v_cmp_eq_u32_e64 s7, 0, v18
	s_delay_alu instid0(VALU_DEP_4) | instskip(NEXT) | instid1(VALU_DEP_3)
	v_cndmask_b32_e32 v15, 0, v15, vcc_lo
	v_dual_cndmask_b32 v14, 7, v14 :: v_dual_lshlrev_b32 v19, 3, v19
	s_delay_alu instid0(VALU_DEP_1) | instskip(NEXT) | instid1(VALU_DEP_2)
	v_and_b32_e32 v19, 0xf8, v19
	v_cmp_eq_u64_e32 vcc_lo, 0, v[14:15]
	s_delay_alu instid0(VALU_DEP_2)
	v_and_or_b32 v14, v14, 7, v19
	s_and_b32 s7, s7, vcc_lo
	s_delay_alu instid0(VALU_DEP_1) | instid1(SALU_CYCLE_1)
	v_cndmask_b32_e64 v14, v14, 0, s7
	s_delay_alu instid0(VALU_DEP_1)
	v_or_b32_e32 v116, v14, v117
.LBB6_9671:                             ;   in Loop: Header=BB6_6801 Depth=2
	s_or_b32 exec_lo, exec_lo, s41
                                        ; implicit-def: $vgpr117
.LBB6_9672:                             ;   in Loop: Header=BB6_6801 Depth=2
	s_and_not1_saveexec_b32 s7, s40
; %bb.9673:                             ;   in Loop: Header=BB6_6801 Depth=2
	v_or_b32_e32 v116, 0x7e, v117
; %bb.9674:                             ;   in Loop: Header=BB6_6801 Depth=2
	s_or_b32 exec_lo, exec_lo, s7
                                        ; implicit-def: $vgpr15
.LBB6_9675:                             ;   in Loop: Header=BB6_6801 Depth=2
	s_and_not1_saveexec_b32 s7, s29
; %bb.9676:                             ;   in Loop: Header=BB6_6801 Depth=2
	v_or_b32_e32 v116, 0x7f, v15
; %bb.9677:                             ;   in Loop: Header=BB6_6801 Depth=2
	s_or_b32 exec_lo, exec_lo, s7
	v_dual_lshlrev_b32 v14, 24, v88 :: v_dual_lshlrev_b32 v15, 16, v79
	v_lshl_or_b32 v117, v28, 8, v75
	s_mov_b32 s7, exec_lo
	s_delay_alu instid0(VALU_DEP_1)
	v_or3_b32 v52, v15, v14, v117
	v_dual_mov_b32 v14, 0 :: v_dual_mov_b32 v15, 0
	v_cmpx_ne_u32_e32 0, v75
	s_cbranch_execz .LBB6_9683
; %bb.9678:                             ;   in Loop: Header=BB6_6801 Depth=2
	v_bfrev_b32_e32 v15, 1
	s_mov_b32 s29, exec_lo
	v_cmpx_ne_u32_e32 0x80, v75
	s_cbranch_execz .LBB6_9682
; %bb.9679:                             ;   in Loop: Header=BB6_6801 Depth=2
	v_and_b32_e32 v18, 0x7f, v75
	v_mov_b32_e32 v15, 0x7f800001
	s_mov_b32 s40, exec_lo
	s_delay_alu instid0(VALU_DEP_2)
	v_cmpx_ne_u32_e32 0x7f, v18
	s_cbranch_execz .LBB6_9681
; %bb.9680:                             ;   in Loop: Header=BB6_6801 Depth=2
	v_dual_lshrrev_b32 v19, 3, v18 :: v_dual_bitop2_b32 v15, 7, v75 bitop3:0x40
	v_cmp_gt_u32_e32 vcc_lo, 8, v18
	s_delay_alu instid0(VALU_DEP_2) | instskip(NEXT) | instid1(VALU_DEP_1)
	v_clz_i32_u32_e32 v15, v15
	v_min_u32_e32 v15, 32, v15
	s_delay_alu instid0(VALU_DEP_1) | instskip(NEXT) | instid1(VALU_DEP_1)
	v_subrev_nc_u32_e32 v18, 28, v15
	v_dual_cndmask_b32 v18, 0, v18 :: v_dual_sub_nc_u32 v15, 29, v15
	s_delay_alu instid0(VALU_DEP_1) | instskip(NEXT) | instid1(VALU_DEP_2)
	v_cndmask_b32_e32 v15, v19, v15, vcc_lo
	v_lshlrev_b64_e32 v[18:19], v18, v[52:53]
	v_lshlrev_b32_e32 v19, 24, v52
	s_delay_alu instid0(VALU_DEP_1) | instskip(NEXT) | instid1(VALU_DEP_3)
	v_and_b32_e32 v19, 0x80000000, v19
	v_lshlrev_b32_e32 v18, 20, v18
	v_lshl_add_u32 v15, v15, 23, 0x3c000000
	s_delay_alu instid0(VALU_DEP_2) | instskip(NEXT) | instid1(VALU_DEP_1)
	v_and_b32_e32 v18, 0x700000, v18
	v_or3_b32 v15, v18, v19, v15
.LBB6_9681:                             ;   in Loop: Header=BB6_6801 Depth=2
	s_or_b32 exec_lo, exec_lo, s40
.LBB6_9682:                             ;   in Loop: Header=BB6_6801 Depth=2
	s_delay_alu instid0(SALU_CYCLE_1)
	s_or_b32 exec_lo, exec_lo, s29
.LBB6_9683:                             ;   in Loop: Header=BB6_6801 Depth=2
	s_delay_alu instid0(SALU_CYCLE_1) | instskip(SKIP_2) | instid1(VALU_DEP_1)
	s_or_b32 exec_lo, exec_lo, s7
	v_and_b32_e32 v18, 0xff, v17
	s_mov_b32 s7, exec_lo
	v_cmpx_ne_u16_e32 0, v18
	s_cbranch_execz .LBB6_9689
; %bb.9684:                             ;   in Loop: Header=BB6_6801 Depth=2
	v_bfrev_b32_e32 v14, 1
	s_mov_b32 s29, exec_lo
	v_cmpx_ne_u16_e32 0x80, v18
	s_cbranch_execz .LBB6_9688
; %bb.9685:                             ;   in Loop: Header=BB6_6801 Depth=2
	v_and_b32_e32 v18, 0x7f, v17
	v_mov_b32_e32 v14, 0x7f800001
	s_mov_b32 s40, exec_lo
	s_delay_alu instid0(VALU_DEP_2)
	v_cmpx_ne_u32_e32 0x7f, v18
	s_cbranch_execz .LBB6_9687
; %bb.9686:                             ;   in Loop: Header=BB6_6801 Depth=2
	v_dual_lshrrev_b32 v28, 3, v18 :: v_dual_bitop2_b32 v14, 7, v17 bitop3:0x40
	v_cmp_gt_u32_e32 vcc_lo, 8, v18
	v_mov_b32_e32 v18, v17
	s_delay_alu instid0(VALU_DEP_3) | instskip(NEXT) | instid1(VALU_DEP_1)
	v_clz_i32_u32_e32 v14, v14
	v_min_u32_e32 v14, 32, v14
	s_delay_alu instid0(VALU_DEP_1) | instskip(SKIP_1) | instid1(VALU_DEP_2)
	v_sub_nc_u32_e32 v118, 29, v14
	v_subrev_nc_u32_e32 v14, 28, v14
	v_dual_mov_b32 v19, v53 :: v_dual_cndmask_b32 v28, v28, v118
	s_delay_alu instid0(VALU_DEP_2) | instskip(NEXT) | instid1(VALU_DEP_1)
	v_cndmask_b32_e32 v14, 0, v14, vcc_lo
	v_lshlrev_b64_e32 v[78:79], v14, v[18:19]
	v_lshlrev_b32_e32 v14, 24, v18
	s_delay_alu instid0(VALU_DEP_4) | instskip(NEXT) | instid1(VALU_DEP_2)
	v_lshl_add_u32 v19, v28, 23, 0x3c000000
	v_and_b32_e32 v14, 0x80000000, v14
	s_delay_alu instid0(VALU_DEP_4) | instskip(NEXT) | instid1(VALU_DEP_1)
	v_lshlrev_b32_e32 v18, 20, v78
	v_and_b32_e32 v18, 0x700000, v18
	s_delay_alu instid0(VALU_DEP_1)
	v_or3_b32 v14, v18, v14, v19
.LBB6_9687:                             ;   in Loop: Header=BB6_6801 Depth=2
	s_or_b32 exec_lo, exec_lo, s40
.LBB6_9688:                             ;   in Loop: Header=BB6_6801 Depth=2
	s_delay_alu instid0(SALU_CYCLE_1)
	s_or_b32 exec_lo, exec_lo, s29
.LBB6_9689:                             ;   in Loop: Header=BB6_6801 Depth=2
	s_delay_alu instid0(SALU_CYCLE_1) | instskip(NEXT) | instid1(VALU_DEP_1)
	s_or_b32 exec_lo, exec_lo, s7
	v_dual_add_f32 v14, v15, v14 :: v_dual_mov_b32 v19, v53
                                        ; implicit-def: $vgpr28
	s_mov_b32 s7, exec_lo
	s_delay_alu instid0(VALU_DEP_1) | instskip(SKIP_1) | instid1(VALU_DEP_2)
	v_and_b32_e32 v18, 0x7f800000, v14
	v_lshrrev_b32_e32 v15, 24, v14
	v_cmpx_ne_u64_e32 0x7f800000, v[18:19]
	s_xor_b32 s29, exec_lo, s7
	s_cbranch_execz .LBB6_9703
; %bb.9690:                             ;   in Loop: Header=BB6_6801 Depth=2
	v_and_b32_e32 v18, 0x7fffffff, v14
	v_mov_b32_e32 v19, v53
	v_and_b32_e32 v118, 0x80, v15
                                        ; implicit-def: $vgpr28
	s_mov_b32 s7, exec_lo
	s_delay_alu instid0(VALU_DEP_2)
	v_cmpx_gt_u64_e32 0x43e00001, v[18:19]
	s_xor_b32 s40, exec_lo, s7
	s_cbranch_execz .LBB6_9700
; %bb.9691:                             ;   in Loop: Header=BB6_6801 Depth=2
	v_mov_b32_e32 v28, 0
	s_mov_b32 s41, exec_lo
	v_cmpx_ne_u32_e32 0, v14
	s_cbranch_execz .LBB6_9699
; %bb.9692:                             ;   in Loop: Header=BB6_6801 Depth=2
	v_bfe_u32 v28, v14, 23, 8
	v_and_b32_e32 v15, 0x7fffff, v14
	s_delay_alu instid0(VALU_DEP_2) | instskip(SKIP_2) | instid1(VALU_DEP_4)
	v_cmp_gt_u32_e64 s7, 0x7a, v28
	v_sub_nc_u32_e32 v14, 0x79, v28
	v_cmp_eq_u32_e32 vcc_lo, 0, v28
	v_or_b32_e32 v18, 0x800000, v15
	s_delay_alu instid0(VALU_DEP_3) | instskip(NEXT) | instid1(VALU_DEP_1)
	v_cndmask_b32_e64 v14, 0, v14, s7
	v_cndmask_b32_e64 v75, v14, 0x78, vcc_lo
	s_delay_alu instid0(VALU_DEP_3) | instskip(NEXT) | instid1(VALU_DEP_2)
	v_dual_cndmask_b32 v14, v18, v15 :: v_dual_mov_b32 v15, v53
	v_dual_add_nc_u32 v18, 20, v75 :: v_dual_add_nc_u32 v78, 19, v75
	s_delay_alu instid0(VALU_DEP_1) | instskip(NEXT) | instid1(VALU_DEP_2)
	v_lshlrev_b64_e64 v[18:19], v18, -1
	v_lshlrev_b64_e64 v[78:79], v78, 1
	s_delay_alu instid0(VALU_DEP_2) | instskip(SKIP_1) | instid1(VALU_DEP_4)
	v_bfi_b32 v18, v18, 0, v14
	v_lshrrev_b64 v[14:15], v75, v[14:15]
	v_bfi_b32 v19, v19, 0, 0
	s_delay_alu instid0(VALU_DEP_1) | instskip(NEXT) | instid1(VALU_DEP_3)
	v_cmp_eq_u64_e64 s7, v[18:19], v[78:79]
	v_mov_b64_e32 v[18:19], v[14:15]
	s_and_saveexec_b32 s42, s7
; %bb.9693:                             ;   in Loop: Header=BB6_6801 Depth=2
	v_bfe_u32 v18, v14, 20, 1
	v_mov_b32_e32 v19, v53
	s_delay_alu instid0(VALU_DEP_1) | instskip(NEXT) | instid1(VALU_DEP_1)
	v_add_nc_u64_e32 v[18:19], v[14:15], v[18:19]
	v_add_nc_u64_e32 v[18:19], -1, v[18:19]
; %bb.9694:                             ;   in Loop: Header=BB6_6801 Depth=2
	s_or_b32 exec_lo, exec_lo, s42
	v_add_nc_u32_e32 v15, 0xffffff81, v28
	v_lshrrev_b32_e32 v19, 23, v14
	s_mov_b32 s7, exec_lo
	s_delay_alu instid0(VALU_DEP_2) | instskip(NEXT) | instid1(VALU_DEP_1)
	v_cndmask_b32_e64 v15, v15, 0xffffff82, vcc_lo
	v_add3_u32 v28, v75, v15, v19
	v_and_b32_e32 v15, 0xfffff, v18
                                        ; implicit-def: $vgpr18
	s_delay_alu instid0(VALU_DEP_1) | instskip(SKIP_1) | instid1(VALU_DEP_2)
	v_dual_add_nc_u32 v19, 6, v28 :: v_dual_add_nc_u32 v14, v15, v14
	v_mov_b32_e32 v15, v53
	v_cmpx_ne_u32_e32 0, v19
	s_xor_b32 s7, exec_lo, s7
; %bb.9695:                             ;   in Loop: Header=BB6_6801 Depth=2
	s_delay_alu instid0(VALU_DEP_2) | instskip(SKIP_1) | instid1(VALU_DEP_1)
	v_cmp_lt_u64_e32 vcc_lo, 0xffffff, v[14:15]
	v_add_nc_u32_e32 v18, 7, v28
	v_cndmask_b32_e32 v18, v19, v18, vcc_lo
	v_cndmask_b32_e64 v19, 0, 1, vcc_lo
	s_delay_alu instid0(VALU_DEP_1)
	v_lshrrev_b64 v[14:15], v19, v[14:15]
; %bb.9696:                             ;   in Loop: Header=BB6_6801 Depth=2
	s_and_not1_saveexec_b32 s7, s7
; %bb.9697:                             ;   in Loop: Header=BB6_6801 Depth=2
	s_delay_alu instid0(VALU_DEP_1)
	v_bfe_u32 v18, v14, 23, 1
; %bb.9698:                             ;   in Loop: Header=BB6_6801 Depth=2
	s_or_b32 exec_lo, exec_lo, s7
	s_delay_alu instid0(VALU_DEP_2) | instskip(NEXT) | instid1(VALU_DEP_2)
	v_lshrrev_b64 v[14:15], 20, v[14:15]
	v_cmp_gt_i32_e32 vcc_lo, 16, v18
	v_min_i32_e32 v19, 15, v18
	v_cmp_eq_u32_e64 s7, 0, v18
	s_delay_alu instid0(VALU_DEP_4) | instskip(NEXT) | instid1(VALU_DEP_3)
	v_cndmask_b32_e32 v15, 0, v15, vcc_lo
	v_dual_cndmask_b32 v14, 7, v14 :: v_dual_lshlrev_b32 v19, 3, v19
	s_delay_alu instid0(VALU_DEP_1) | instskip(NEXT) | instid1(VALU_DEP_2)
	v_and_b32_e32 v19, 0xf8, v19
	v_cmp_eq_u64_e32 vcc_lo, 0, v[14:15]
	s_delay_alu instid0(VALU_DEP_2)
	v_and_or_b32 v14, v14, 7, v19
	s_and_b32 s7, s7, vcc_lo
	s_delay_alu instid0(VALU_DEP_1) | instid1(SALU_CYCLE_1)
	v_cndmask_b32_e64 v14, v14, 0, s7
	s_delay_alu instid0(VALU_DEP_1)
	v_or_b32_e32 v28, v14, v118
.LBB6_9699:                             ;   in Loop: Header=BB6_6801 Depth=2
	s_or_b32 exec_lo, exec_lo, s41
                                        ; implicit-def: $vgpr118
.LBB6_9700:                             ;   in Loop: Header=BB6_6801 Depth=2
	s_and_not1_saveexec_b32 s7, s40
; %bb.9701:                             ;   in Loop: Header=BB6_6801 Depth=2
	v_or_b32_e32 v28, 0x7e, v118
; %bb.9702:                             ;   in Loop: Header=BB6_6801 Depth=2
	s_or_b32 exec_lo, exec_lo, s7
                                        ; implicit-def: $vgpr15
.LBB6_9703:                             ;   in Loop: Header=BB6_6801 Depth=2
	s_and_not1_saveexec_b32 s7, s29
; %bb.9704:                             ;   in Loop: Header=BB6_6801 Depth=2
	v_or_b32_e32 v28, 0x7f, v15
; %bb.9705:                             ;   in Loop: Header=BB6_6801 Depth=2
	s_or_b32 exec_lo, exec_lo, s7
	v_lshrrev_b16 v14, 8, v117
	v_dual_mov_b32 v18, 0 :: v_dual_mov_b32 v19, 0
	s_mov_b32 s7, exec_lo
	s_delay_alu instid0(VALU_DEP_2)
	v_cmpx_ne_u16_e32 0, v14
	s_cbranch_execz .LBB6_9713
; %bb.9706:                             ;   in Loop: Header=BB6_6801 Depth=2
	v_bfrev_b32_e32 v19, 1
	s_mov_b32 s29, exec_lo
	v_cmpx_ne_u16_e32 0x80, v14
	s_cbranch_execz .LBB6_9712
; %bb.9707:                             ;   in Loop: Header=BB6_6801 Depth=2
	v_and_b32_e32 v14, 0xffff, v14
	v_mov_b32_e32 v19, 0x7f800001
	s_mov_b32 s40, exec_lo
	s_delay_alu instid0(VALU_DEP_2) | instskip(NEXT) | instid1(VALU_DEP_1)
	v_and_b32_e32 v118, 0x7f, v14
	v_cmpx_ne_u32_e32 0x7f, v118
	s_cbranch_execz .LBB6_9711
; %bb.9708:                             ;   in Loop: Header=BB6_6801 Depth=2
	v_dual_mov_b32 v15, v53 :: v_dual_bitop2_b32 v14, 7, v14 bitop3:0x40
	v_lshrrev_b32_e32 v19, 3, v118
	s_mov_b32 s41, exec_lo
	v_cmpx_gt_u32_e32 8, v118
; %bb.9709:                             ;   in Loop: Header=BB6_6801 Depth=2
	s_delay_alu instid0(VALU_DEP_3) | instskip(NEXT) | instid1(VALU_DEP_1)
	v_clz_i32_u32_e32 v19, v14
	v_min_u32_e32 v19, 32, v19
	s_delay_alu instid0(VALU_DEP_1) | instskip(NEXT) | instid1(VALU_DEP_1)
	v_subrev_nc_u32_e32 v118, 28, v19
	v_lshlrev_b64_e32 v[14:15], v118, v[14:15]
	s_delay_alu instid0(VALU_DEP_1)
	v_dual_sub_nc_u32 v19, 29, v19 :: v_dual_bitop2_b32 v14, 7, v14 bitop3:0x40
; %bb.9710:                             ;   in Loop: Header=BB6_6801 Depth=2
	s_or_b32 exec_lo, exec_lo, s41
	s_delay_alu instid0(VALU_DEP_1) | instskip(NEXT) | instid1(VALU_DEP_2)
	v_dual_lshlrev_b32 v15, 16, v117 :: v_dual_lshlrev_b32 v14, 20, v14
	v_lshl_add_u32 v19, v19, 23, 0x3c000000
	s_delay_alu instid0(VALU_DEP_2) | instskip(NEXT) | instid1(VALU_DEP_1)
	v_and_b32_e32 v15, 0x80000000, v15
	v_or3_b32 v19, v14, v15, v19
.LBB6_9711:                             ;   in Loop: Header=BB6_6801 Depth=2
	s_or_b32 exec_lo, exec_lo, s40
.LBB6_9712:                             ;   in Loop: Header=BB6_6801 Depth=2
	s_delay_alu instid0(SALU_CYCLE_1)
	s_or_b32 exec_lo, exec_lo, s29
.LBB6_9713:                             ;   in Loop: Header=BB6_6801 Depth=2
	s_delay_alu instid0(SALU_CYCLE_1) | instskip(SKIP_2) | instid1(VALU_DEP_1)
	s_or_b32 exec_lo, exec_lo, s7
	v_lshrrev_b16 v14, 8, v17
	s_mov_b32 s7, exec_lo
	v_cmpx_ne_u16_e32 0, v14
	s_cbranch_execz .LBB6_9721
; %bb.9714:                             ;   in Loop: Header=BB6_6801 Depth=2
	v_bfrev_b32_e32 v18, 1
	s_mov_b32 s29, exec_lo
	v_cmpx_ne_u16_e32 0x80, v14
	s_cbranch_execz .LBB6_9720
; %bb.9715:                             ;   in Loop: Header=BB6_6801 Depth=2
	v_and_b32_e32 v14, 0xffff, v14
	v_mov_b32_e32 v18, 0x7f800001
	s_mov_b32 s40, exec_lo
	s_delay_alu instid0(VALU_DEP_2) | instskip(NEXT) | instid1(VALU_DEP_1)
	v_and_b32_e32 v117, 0x7f, v14
	v_cmpx_ne_u32_e32 0x7f, v117
	s_cbranch_execz .LBB6_9719
; %bb.9716:                             ;   in Loop: Header=BB6_6801 Depth=2
	v_dual_mov_b32 v15, v53 :: v_dual_bitop2_b32 v14, 7, v14 bitop3:0x40
	v_lshrrev_b32_e32 v18, 3, v117
	s_mov_b32 s41, exec_lo
	v_cmpx_gt_u32_e32 8, v117
; %bb.9717:                             ;   in Loop: Header=BB6_6801 Depth=2
	s_delay_alu instid0(VALU_DEP_3) | instskip(NEXT) | instid1(VALU_DEP_1)
	v_clz_i32_u32_e32 v18, v14
	v_min_u32_e32 v18, 32, v18
	s_delay_alu instid0(VALU_DEP_1) | instskip(SKIP_1) | instid1(VALU_DEP_2)
	v_subrev_nc_u32_e32 v117, 28, v18
	v_sub_nc_u32_e32 v18, 29, v18
	v_lshlrev_b64_e32 v[14:15], v117, v[14:15]
	s_delay_alu instid0(VALU_DEP_1)
	v_and_b32_e32 v14, 7, v14
; %bb.9718:                             ;   in Loop: Header=BB6_6801 Depth=2
	s_or_b32 exec_lo, exec_lo, s41
	s_delay_alu instid0(VALU_DEP_1) | instskip(SKIP_1) | instid1(VALU_DEP_2)
	v_dual_lshlrev_b32 v15, 16, v17 :: v_dual_lshlrev_b32 v14, 20, v14
	v_lshl_add_u32 v18, v18, 23, 0x3c000000
	v_and_b32_e32 v15, 0x80000000, v15
	s_delay_alu instid0(VALU_DEP_1)
	v_or3_b32 v18, v14, v15, v18
.LBB6_9719:                             ;   in Loop: Header=BB6_6801 Depth=2
	s_or_b32 exec_lo, exec_lo, s40
.LBB6_9720:                             ;   in Loop: Header=BB6_6801 Depth=2
	s_delay_alu instid0(SALU_CYCLE_1)
	s_or_b32 exec_lo, exec_lo, s29
.LBB6_9721:                             ;   in Loop: Header=BB6_6801 Depth=2
	s_delay_alu instid0(SALU_CYCLE_1) | instskip(NEXT) | instid1(VALU_DEP_1)
	s_or_b32 exec_lo, exec_lo, s7
	v_dual_add_f32 v14, v19, v18 :: v_dual_mov_b32 v19, v53
                                        ; implicit-def: $vgpr117
	s_mov_b32 s7, exec_lo
	s_delay_alu instid0(VALU_DEP_1) | instskip(SKIP_1) | instid1(VALU_DEP_2)
	v_and_b32_e32 v18, 0x7f800000, v14
	v_lshrrev_b32_e32 v15, 24, v14
	v_cmpx_ne_u64_e32 0x7f800000, v[18:19]
	s_xor_b32 s29, exec_lo, s7
	s_cbranch_execz .LBB6_9735
; %bb.9722:                             ;   in Loop: Header=BB6_6801 Depth=2
	v_and_b32_e32 v18, 0x7fffffff, v14
	v_mov_b32_e32 v19, v53
	v_and_b32_e32 v118, 0x80, v15
                                        ; implicit-def: $vgpr117
	s_mov_b32 s7, exec_lo
	s_delay_alu instid0(VALU_DEP_2)
	v_cmpx_gt_u64_e32 0x43e00001, v[18:19]
	s_xor_b32 s40, exec_lo, s7
	s_cbranch_execz .LBB6_9732
; %bb.9723:                             ;   in Loop: Header=BB6_6801 Depth=2
	v_mov_b32_e32 v117, 0
	s_mov_b32 s41, exec_lo
	v_cmpx_ne_u32_e32 0, v14
	s_cbranch_execz .LBB6_9731
; %bb.9724:                             ;   in Loop: Header=BB6_6801 Depth=2
	v_bfe_u32 v117, v14, 23, 8
	v_and_b32_e32 v15, 0x7fffff, v14
	s_delay_alu instid0(VALU_DEP_2) | instskip(SKIP_2) | instid1(VALU_DEP_4)
	v_cmp_gt_u32_e64 s7, 0x7a, v117
	v_sub_nc_u32_e32 v14, 0x79, v117
	v_cmp_eq_u32_e32 vcc_lo, 0, v117
	v_or_b32_e32 v18, 0x800000, v15
	s_delay_alu instid0(VALU_DEP_3) | instskip(NEXT) | instid1(VALU_DEP_1)
	v_cndmask_b32_e64 v14, 0, v14, s7
	v_cndmask_b32_e64 v75, v14, 0x78, vcc_lo
	s_delay_alu instid0(VALU_DEP_3) | instskip(NEXT) | instid1(VALU_DEP_2)
	v_dual_cndmask_b32 v14, v18, v15 :: v_dual_mov_b32 v15, v53
	v_dual_add_nc_u32 v18, 20, v75 :: v_dual_add_nc_u32 v78, 19, v75
	s_delay_alu instid0(VALU_DEP_1) | instskip(NEXT) | instid1(VALU_DEP_2)
	v_lshlrev_b64_e64 v[18:19], v18, -1
	v_lshlrev_b64_e64 v[78:79], v78, 1
	s_delay_alu instid0(VALU_DEP_2) | instskip(SKIP_1) | instid1(VALU_DEP_4)
	v_bfi_b32 v18, v18, 0, v14
	v_lshrrev_b64 v[14:15], v75, v[14:15]
	v_bfi_b32 v19, v19, 0, 0
	s_delay_alu instid0(VALU_DEP_1) | instskip(NEXT) | instid1(VALU_DEP_3)
	v_cmp_eq_u64_e64 s7, v[18:19], v[78:79]
	v_mov_b64_e32 v[18:19], v[14:15]
	s_and_saveexec_b32 s42, s7
; %bb.9725:                             ;   in Loop: Header=BB6_6801 Depth=2
	v_bfe_u32 v18, v14, 20, 1
	v_mov_b32_e32 v19, v53
	s_delay_alu instid0(VALU_DEP_1) | instskip(NEXT) | instid1(VALU_DEP_1)
	v_add_nc_u64_e32 v[18:19], v[14:15], v[18:19]
	v_add_nc_u64_e32 v[18:19], -1, v[18:19]
; %bb.9726:                             ;   in Loop: Header=BB6_6801 Depth=2
	s_or_b32 exec_lo, exec_lo, s42
	v_add_nc_u32_e32 v15, 0xffffff81, v117
	v_lshrrev_b32_e32 v19, 23, v14
	s_mov_b32 s7, exec_lo
	s_delay_alu instid0(VALU_DEP_2) | instskip(NEXT) | instid1(VALU_DEP_1)
	v_cndmask_b32_e64 v15, v15, 0xffffff82, vcc_lo
	v_add3_u32 v117, v75, v15, v19
	v_and_b32_e32 v15, 0xfffff, v18
                                        ; implicit-def: $vgpr18
	s_delay_alu instid0(VALU_DEP_1) | instskip(SKIP_1) | instid1(VALU_DEP_2)
	v_dual_add_nc_u32 v19, 6, v117 :: v_dual_add_nc_u32 v14, v15, v14
	v_mov_b32_e32 v15, v53
	v_cmpx_ne_u32_e32 0, v19
	s_xor_b32 s7, exec_lo, s7
; %bb.9727:                             ;   in Loop: Header=BB6_6801 Depth=2
	s_delay_alu instid0(VALU_DEP_2) | instskip(SKIP_1) | instid1(VALU_DEP_1)
	v_cmp_lt_u64_e32 vcc_lo, 0xffffff, v[14:15]
	v_add_nc_u32_e32 v18, 7, v117
	v_cndmask_b32_e32 v18, v19, v18, vcc_lo
	v_cndmask_b32_e64 v19, 0, 1, vcc_lo
	s_delay_alu instid0(VALU_DEP_1)
	v_lshrrev_b64 v[14:15], v19, v[14:15]
; %bb.9728:                             ;   in Loop: Header=BB6_6801 Depth=2
	s_and_not1_saveexec_b32 s7, s7
; %bb.9729:                             ;   in Loop: Header=BB6_6801 Depth=2
	s_delay_alu instid0(VALU_DEP_1)
	v_bfe_u32 v18, v14, 23, 1
; %bb.9730:                             ;   in Loop: Header=BB6_6801 Depth=2
	s_or_b32 exec_lo, exec_lo, s7
	s_delay_alu instid0(VALU_DEP_2) | instskip(NEXT) | instid1(VALU_DEP_2)
	v_lshrrev_b64 v[14:15], 20, v[14:15]
	v_cmp_gt_i32_e32 vcc_lo, 16, v18
	v_min_i32_e32 v19, 15, v18
	v_cmp_eq_u32_e64 s7, 0, v18
	s_delay_alu instid0(VALU_DEP_4) | instskip(NEXT) | instid1(VALU_DEP_3)
	v_cndmask_b32_e32 v15, 0, v15, vcc_lo
	v_dual_cndmask_b32 v14, 7, v14 :: v_dual_lshlrev_b32 v19, 3, v19
	s_delay_alu instid0(VALU_DEP_1) | instskip(NEXT) | instid1(VALU_DEP_2)
	v_and_b32_e32 v19, 0xf8, v19
	v_cmp_eq_u64_e32 vcc_lo, 0, v[14:15]
	s_delay_alu instid0(VALU_DEP_2)
	v_and_or_b32 v14, v14, 7, v19
	s_and_b32 s7, s7, vcc_lo
	s_delay_alu instid0(VALU_DEP_1) | instid1(SALU_CYCLE_1)
	v_cndmask_b32_e64 v14, v14, 0, s7
	s_delay_alu instid0(VALU_DEP_1)
	v_or_b32_e32 v117, v14, v118
.LBB6_9731:                             ;   in Loop: Header=BB6_6801 Depth=2
	s_or_b32 exec_lo, exec_lo, s41
                                        ; implicit-def: $vgpr118
.LBB6_9732:                             ;   in Loop: Header=BB6_6801 Depth=2
	s_and_not1_saveexec_b32 s7, s40
; %bb.9733:                             ;   in Loop: Header=BB6_6801 Depth=2
	v_or_b32_e32 v117, 0x7e, v118
; %bb.9734:                             ;   in Loop: Header=BB6_6801 Depth=2
	s_or_b32 exec_lo, exec_lo, s7
                                        ; implicit-def: $vgpr15
.LBB6_9735:                             ;   in Loop: Header=BB6_6801 Depth=2
	s_and_not1_saveexec_b32 s7, s29
; %bb.9736:                             ;   in Loop: Header=BB6_6801 Depth=2
	v_or_b32_e32 v117, 0x7f, v15
; %bb.9737:                             ;   in Loop: Header=BB6_6801 Depth=2
	s_or_b32 exec_lo, exec_lo, s7
	v_dual_lshrrev_b32 v118, 16, v52 :: v_dual_mov_b32 v18, 0
	v_mov_b32_e32 v19, 0
	s_mov_b32 s7, exec_lo
	s_delay_alu instid0(VALU_DEP_2) | instskip(NEXT) | instid1(VALU_DEP_1)
	v_and_b32_e32 v14, 0xff, v118
	v_cmpx_ne_u16_e32 0, v14
	s_cbranch_execz .LBB6_9745
; %bb.9738:                             ;   in Loop: Header=BB6_6801 Depth=2
	v_bfrev_b32_e32 v19, 1
	s_mov_b32 s29, exec_lo
	v_cmpx_ne_u16_e32 0x80, v14
	s_cbranch_execz .LBB6_9744
; %bb.9739:                             ;   in Loop: Header=BB6_6801 Depth=2
	v_bfe_u32 v75, v52, 16, 7
	v_mov_b32_e32 v19, 0x7f800001
	s_mov_b32 s40, exec_lo
	s_delay_alu instid0(VALU_DEP_2)
	v_cmpx_ne_u32_e32 0x7f, v75
	s_cbranch_execz .LBB6_9743
; %bb.9740:                             ;   in Loop: Header=BB6_6801 Depth=2
	v_dual_mov_b32 v15, v53 :: v_dual_bitop2_b32 v14, 7, v118 bitop3:0x40
	v_lshrrev_b32_e32 v19, 3, v75
	s_mov_b32 s41, exec_lo
	v_cmpx_gt_u32_e32 8, v75
; %bb.9741:                             ;   in Loop: Header=BB6_6801 Depth=2
	s_delay_alu instid0(VALU_DEP_3) | instskip(NEXT) | instid1(VALU_DEP_1)
	v_clz_i32_u32_e32 v19, v14
	v_min_u32_e32 v19, 32, v19
	s_delay_alu instid0(VALU_DEP_1) | instskip(NEXT) | instid1(VALU_DEP_1)
	v_subrev_nc_u32_e32 v75, 28, v19
	v_lshlrev_b64_e32 v[14:15], v75, v[14:15]
	s_delay_alu instid0(VALU_DEP_1)
	v_dual_sub_nc_u32 v19, 29, v19 :: v_dual_bitop2_b32 v14, 7, v14 bitop3:0x40
; %bb.9742:                             ;   in Loop: Header=BB6_6801 Depth=2
	s_or_b32 exec_lo, exec_lo, s41
	v_lshlrev_b32_e32 v15, 24, v118
	s_delay_alu instid0(VALU_DEP_2) | instskip(NEXT) | instid1(VALU_DEP_3)
	v_lshlrev_b32_e32 v14, 20, v14
	v_lshl_add_u32 v19, v19, 23, 0x3c000000
	s_delay_alu instid0(VALU_DEP_3) | instskip(NEXT) | instid1(VALU_DEP_1)
	v_and_b32_e32 v15, 0x80000000, v15
	v_or3_b32 v19, v14, v15, v19
.LBB6_9743:                             ;   in Loop: Header=BB6_6801 Depth=2
	s_or_b32 exec_lo, exec_lo, s40
.LBB6_9744:                             ;   in Loop: Header=BB6_6801 Depth=2
	s_delay_alu instid0(SALU_CYCLE_1)
	s_or_b32 exec_lo, exec_lo, s29
.LBB6_9745:                             ;   in Loop: Header=BB6_6801 Depth=2
	s_delay_alu instid0(SALU_CYCLE_1) | instskip(SKIP_2) | instid1(VALU_DEP_1)
	s_or_b32 exec_lo, exec_lo, s7
	v_lshrrev_b32_e32 v14, 16, v17
	s_mov_b32 s7, exec_lo
	v_and_b32_e32 v15, 0xff, v14
	s_delay_alu instid0(VALU_DEP_1)
	v_cmpx_ne_u16_e32 0, v15
	s_cbranch_execz .LBB6_9753
; %bb.9746:                             ;   in Loop: Header=BB6_6801 Depth=2
	v_bfrev_b32_e32 v18, 1
	s_mov_b32 s29, exec_lo
	v_cmpx_ne_u16_e32 0x80, v15
	s_cbranch_execz .LBB6_9752
; %bb.9747:                             ;   in Loop: Header=BB6_6801 Depth=2
	v_bfe_u32 v118, v17, 16, 7
	v_mov_b32_e32 v18, 0x7f800001
	s_mov_b32 s40, exec_lo
	s_delay_alu instid0(VALU_DEP_2)
	v_cmpx_ne_u32_e32 0x7f, v118
	s_cbranch_execz .LBB6_9751
; %bb.9748:                             ;   in Loop: Header=BB6_6801 Depth=2
	v_dual_mov_b32 v15, v53 :: v_dual_bitop2_b32 v14, 7, v14 bitop3:0x40
	v_lshrrev_b32_e32 v18, 3, v118
	s_mov_b32 s41, exec_lo
	v_cmpx_gt_u32_e32 8, v118
; %bb.9749:                             ;   in Loop: Header=BB6_6801 Depth=2
	s_delay_alu instid0(VALU_DEP_3) | instskip(NEXT) | instid1(VALU_DEP_1)
	v_clz_i32_u32_e32 v18, v14
	v_min_u32_e32 v18, 32, v18
	s_delay_alu instid0(VALU_DEP_1) | instskip(SKIP_1) | instid1(VALU_DEP_2)
	v_subrev_nc_u32_e32 v118, 28, v18
	v_sub_nc_u32_e32 v18, 29, v18
	v_lshlrev_b64_e32 v[14:15], v118, v[14:15]
	s_delay_alu instid0(VALU_DEP_1)
	v_and_b32_e32 v14, 7, v14
; %bb.9750:                             ;   in Loop: Header=BB6_6801 Depth=2
	s_or_b32 exec_lo, exec_lo, s41
	s_delay_alu instid0(VALU_DEP_1) | instskip(SKIP_1) | instid1(VALU_DEP_2)
	v_dual_lshlrev_b32 v15, 8, v17 :: v_dual_lshlrev_b32 v14, 20, v14
	v_lshl_add_u32 v18, v18, 23, 0x3c000000
	v_and_b32_e32 v15, 0x80000000, v15
	s_delay_alu instid0(VALU_DEP_1)
	v_or3_b32 v18, v14, v15, v18
.LBB6_9751:                             ;   in Loop: Header=BB6_6801 Depth=2
	s_or_b32 exec_lo, exec_lo, s40
.LBB6_9752:                             ;   in Loop: Header=BB6_6801 Depth=2
	s_delay_alu instid0(SALU_CYCLE_1)
	s_or_b32 exec_lo, exec_lo, s29
.LBB6_9753:                             ;   in Loop: Header=BB6_6801 Depth=2
	s_delay_alu instid0(SALU_CYCLE_1) | instskip(NEXT) | instid1(VALU_DEP_1)
	s_or_b32 exec_lo, exec_lo, s7
	v_dual_add_f32 v14, v19, v18 :: v_dual_mov_b32 v19, v53
	s_delay_alu instid0(VALU_DEP_1) | instskip(SKIP_1) | instid1(VALU_DEP_2)
	v_and_b32_e32 v18, 0x7f800000, v14
	v_lshrrev_b32_e32 v15, 24, v14
	v_cmp_ne_u64_e32 vcc_lo, 0x7f800000, v[18:19]
                                        ; implicit-def: $vgpr18
	s_and_saveexec_b32 s7, vcc_lo
	s_delay_alu instid0(SALU_CYCLE_1)
	s_xor_b32 s29, exec_lo, s7
	s_cbranch_execz .LBB6_9767
; %bb.9754:                             ;   in Loop: Header=BB6_6801 Depth=2
	v_and_b32_e32 v18, 0x7fffffff, v14
	v_mov_b32_e32 v19, v53
	v_and_b32_e32 v118, 0x80, v15
	s_delay_alu instid0(VALU_DEP_2) | instskip(SKIP_1) | instid1(SALU_CYCLE_1)
	v_cmp_gt_u64_e32 vcc_lo, 0x43e00001, v[18:19]
                                        ; implicit-def: $vgpr18
	s_and_saveexec_b32 s7, vcc_lo
	s_xor_b32 s40, exec_lo, s7
	s_cbranch_execz .LBB6_9764
; %bb.9755:                             ;   in Loop: Header=BB6_6801 Depth=2
	v_mov_b32_e32 v18, 0
	s_mov_b32 s41, exec_lo
	v_cmpx_ne_u32_e32 0, v14
	s_cbranch_execz .LBB6_9763
; %bb.9756:                             ;   in Loop: Header=BB6_6801 Depth=2
	v_bfe_u32 v75, v14, 23, 8
	v_and_b32_e32 v15, 0x7fffff, v14
	s_delay_alu instid0(VALU_DEP_2) | instskip(SKIP_2) | instid1(VALU_DEP_4)
	v_cmp_gt_u32_e64 s7, 0x7a, v75
	v_sub_nc_u32_e32 v14, 0x79, v75
	v_cmp_eq_u32_e32 vcc_lo, 0, v75
	v_or_b32_e32 v18, 0x800000, v15
	s_delay_alu instid0(VALU_DEP_3) | instskip(NEXT) | instid1(VALU_DEP_1)
	v_cndmask_b32_e64 v14, 0, v14, s7
	v_cndmask_b32_e64 v78, v14, 0x78, vcc_lo
	s_delay_alu instid0(VALU_DEP_3) | instskip(NEXT) | instid1(VALU_DEP_2)
	v_dual_cndmask_b32 v14, v18, v15 :: v_dual_mov_b32 v15, v53
	v_dual_add_nc_u32 v18, 20, v78 :: v_dual_add_nc_u32 v79, 19, v78
	s_delay_alu instid0(VALU_DEP_1) | instskip(NEXT) | instid1(VALU_DEP_2)
	v_lshlrev_b64_e64 v[18:19], v18, -1
	v_lshlrev_b64_e64 v[88:89], v79, 1
	s_delay_alu instid0(VALU_DEP_2) | instskip(SKIP_1) | instid1(VALU_DEP_4)
	v_bfi_b32 v18, v18, 0, v14
	v_lshrrev_b64 v[14:15], v78, v[14:15]
	v_bfi_b32 v19, v19, 0, 0
	s_delay_alu instid0(VALU_DEP_1) | instskip(NEXT) | instid1(VALU_DEP_3)
	v_cmp_eq_u64_e64 s7, v[18:19], v[88:89]
	v_mov_b64_e32 v[18:19], v[14:15]
	s_and_saveexec_b32 s42, s7
; %bb.9757:                             ;   in Loop: Header=BB6_6801 Depth=2
	v_bfe_u32 v18, v14, 20, 1
	v_mov_b32_e32 v19, v53
	s_delay_alu instid0(VALU_DEP_1) | instskip(NEXT) | instid1(VALU_DEP_1)
	v_add_nc_u64_e32 v[18:19], v[14:15], v[18:19]
	v_add_nc_u64_e32 v[18:19], -1, v[18:19]
; %bb.9758:                             ;   in Loop: Header=BB6_6801 Depth=2
	s_or_b32 exec_lo, exec_lo, s42
	v_add_nc_u32_e32 v15, 0xffffff81, v75
	v_lshrrev_b32_e32 v19, 23, v14
	s_mov_b32 s7, exec_lo
	s_delay_alu instid0(VALU_DEP_2) | instskip(NEXT) | instid1(VALU_DEP_1)
	v_cndmask_b32_e64 v15, v15, 0xffffff82, vcc_lo
	v_add3_u32 v75, v78, v15, v19
	v_and_b32_e32 v15, 0xfffff, v18
                                        ; implicit-def: $vgpr18
	s_delay_alu instid0(VALU_DEP_1) | instskip(SKIP_1) | instid1(VALU_DEP_2)
	v_dual_add_nc_u32 v19, 6, v75 :: v_dual_add_nc_u32 v14, v15, v14
	v_mov_b32_e32 v15, v53
	v_cmpx_ne_u32_e32 0, v19
	s_xor_b32 s7, exec_lo, s7
; %bb.9759:                             ;   in Loop: Header=BB6_6801 Depth=2
	s_delay_alu instid0(VALU_DEP_2) | instskip(SKIP_1) | instid1(VALU_DEP_1)
	v_cmp_lt_u64_e32 vcc_lo, 0xffffff, v[14:15]
	v_add_nc_u32_e32 v18, 7, v75
	v_cndmask_b32_e32 v18, v19, v18, vcc_lo
	v_cndmask_b32_e64 v19, 0, 1, vcc_lo
	s_delay_alu instid0(VALU_DEP_1)
	v_lshrrev_b64 v[14:15], v19, v[14:15]
; %bb.9760:                             ;   in Loop: Header=BB6_6801 Depth=2
	s_and_not1_saveexec_b32 s7, s7
; %bb.9761:                             ;   in Loop: Header=BB6_6801 Depth=2
	s_delay_alu instid0(VALU_DEP_1)
	v_bfe_u32 v18, v14, 23, 1
; %bb.9762:                             ;   in Loop: Header=BB6_6801 Depth=2
	s_or_b32 exec_lo, exec_lo, s7
	s_delay_alu instid0(VALU_DEP_2) | instskip(NEXT) | instid1(VALU_DEP_2)
	v_lshrrev_b64 v[14:15], 20, v[14:15]
	v_cmp_gt_i32_e32 vcc_lo, 16, v18
	v_min_i32_e32 v19, 15, v18
	v_cmp_eq_u32_e64 s7, 0, v18
	s_delay_alu instid0(VALU_DEP_4) | instskip(NEXT) | instid1(VALU_DEP_3)
	v_cndmask_b32_e32 v15, 0, v15, vcc_lo
	v_dual_cndmask_b32 v14, 7, v14 :: v_dual_lshlrev_b32 v19, 3, v19
	s_delay_alu instid0(VALU_DEP_1) | instskip(NEXT) | instid1(VALU_DEP_2)
	v_and_b32_e32 v19, 0xf8, v19
	v_cmp_eq_u64_e32 vcc_lo, 0, v[14:15]
	s_delay_alu instid0(VALU_DEP_2)
	v_and_or_b32 v14, v14, 7, v19
	s_and_b32 s7, s7, vcc_lo
	s_delay_alu instid0(VALU_DEP_1) | instid1(SALU_CYCLE_1)
	v_cndmask_b32_e64 v14, v14, 0, s7
	s_delay_alu instid0(VALU_DEP_1)
	v_or_b32_e32 v18, v14, v118
.LBB6_9763:                             ;   in Loop: Header=BB6_6801 Depth=2
	s_or_b32 exec_lo, exec_lo, s41
                                        ; implicit-def: $vgpr118
.LBB6_9764:                             ;   in Loop: Header=BB6_6801 Depth=2
	s_and_not1_saveexec_b32 s7, s40
; %bb.9765:                             ;   in Loop: Header=BB6_6801 Depth=2
	v_or_b32_e32 v18, 0x7e, v118
; %bb.9766:                             ;   in Loop: Header=BB6_6801 Depth=2
	s_or_b32 exec_lo, exec_lo, s7
                                        ; implicit-def: $vgpr15
.LBB6_9767:                             ;   in Loop: Header=BB6_6801 Depth=2
	s_and_not1_saveexec_b32 s7, s29
; %bb.9768:                             ;   in Loop: Header=BB6_6801 Depth=2
	v_or_b32_e32 v18, 0x7f, v15
; %bb.9769:                             ;   in Loop: Header=BB6_6801 Depth=2
	s_or_b32 exec_lo, exec_lo, s7
	v_dual_mov_b32 v19, 0 :: v_dual_mov_b32 v118, 0
	s_mov_b32 s7, exec_lo
	v_cmpx_lt_u32_e32 0xffffff, v52
	s_cbranch_execz .LBB6_9777
; %bb.9770:                             ;   in Loop: Header=BB6_6801 Depth=2
	v_lshrrev_b32_e32 v75, 24, v52
	v_bfrev_b32_e32 v118, 1
	s_mov_b32 s29, exec_lo
	s_delay_alu instid0(VALU_DEP_2)
	v_cmpx_ne_u32_e32 0x80, v75
	s_cbranch_execz .LBB6_9776
; %bb.9771:                             ;   in Loop: Header=BB6_6801 Depth=2
	v_bfe_u32 v14, v52, 24, 7
	v_mov_b32_e32 v118, 0x7f800001
	s_mov_b32 s40, exec_lo
	s_delay_alu instid0(VALU_DEP_2)
	v_cmpx_ne_u32_e32 0x7f, v14
	s_cbranch_execz .LBB6_9775
; %bb.9772:                             ;   in Loop: Header=BB6_6801 Depth=2
	v_dual_lshrrev_b32 v118, 3, v14 :: v_dual_bitop2_b32 v52, 7, v75 bitop3:0x40
	v_cmp_gt_u32_e32 vcc_lo, 8, v14
	s_delay_alu instid0(VALU_DEP_2)
	v_mov_b64_e32 v[14:15], v[52:53]
	s_and_saveexec_b32 s41, vcc_lo
; %bb.9773:                             ;   in Loop: Header=BB6_6801 Depth=2
	v_clz_i32_u32_e32 v14, v52
	s_delay_alu instid0(VALU_DEP_1) | instskip(NEXT) | instid1(VALU_DEP_1)
	v_min_u32_e32 v118, 32, v14
	v_subrev_nc_u32_e32 v14, 28, v118
	v_sub_nc_u32_e32 v118, 29, v118
	s_delay_alu instid0(VALU_DEP_2) | instskip(NEXT) | instid1(VALU_DEP_1)
	v_lshlrev_b64_e32 v[14:15], v14, v[52:53]
	v_and_b32_e32 v14, 7, v14
; %bb.9774:                             ;   in Loop: Header=BB6_6801 Depth=2
	s_or_b32 exec_lo, exec_lo, s41
	s_delay_alu instid0(VALU_DEP_1) | instskip(SKIP_1) | instid1(VALU_DEP_2)
	v_dual_lshlrev_b32 v15, 24, v75 :: v_dual_lshlrev_b32 v14, 20, v14
	v_lshl_add_u32 v52, v118, 23, 0x3c000000
	v_and_b32_e32 v15, 0x80000000, v15
	s_delay_alu instid0(VALU_DEP_1)
	v_or3_b32 v118, v14, v15, v52
.LBB6_9775:                             ;   in Loop: Header=BB6_6801 Depth=2
	s_or_b32 exec_lo, exec_lo, s40
.LBB6_9776:                             ;   in Loop: Header=BB6_6801 Depth=2
	s_delay_alu instid0(SALU_CYCLE_1)
	s_or_b32 exec_lo, exec_lo, s29
.LBB6_9777:                             ;   in Loop: Header=BB6_6801 Depth=2
	s_delay_alu instid0(SALU_CYCLE_1) | instskip(NEXT) | instid1(SALU_CYCLE_1)
	s_or_b32 exec_lo, exec_lo, s7
	s_mov_b32 s7, exec_lo
	v_cmpx_lt_u64_e64 s[12:13], v[16:17]
	s_cbranch_execz .LBB6_9785
; %bb.9778:                             ;   in Loop: Header=BB6_6801 Depth=2
	v_lshrrev_b32_e32 v16, 24, v17
	v_bfrev_b32_e32 v19, 1
	s_mov_b32 s29, exec_lo
	s_delay_alu instid0(VALU_DEP_2)
	v_cmpx_ne_u32_e32 0x80, v16
	s_cbranch_execz .LBB6_9784
; %bb.9779:                             ;   in Loop: Header=BB6_6801 Depth=2
	v_bfe_u32 v14, v17, 24, 7
	v_mov_b32_e32 v19, 0x7f800001
	s_mov_b32 s40, exec_lo
	s_delay_alu instid0(VALU_DEP_2)
	v_cmpx_ne_u32_e32 0x7f, v14
	s_cbranch_execz .LBB6_9783
; %bb.9780:                             ;   in Loop: Header=BB6_6801 Depth=2
	v_dual_lshrrev_b32 v17, 3, v14 :: v_dual_bitop2_b32 v52, 7, v16 bitop3:0x40
	v_cmp_gt_u32_e32 vcc_lo, 8, v14
	s_delay_alu instid0(VALU_DEP_2)
	v_mov_b64_e32 v[14:15], v[52:53]
	s_and_saveexec_b32 s41, vcc_lo
; %bb.9781:                             ;   in Loop: Header=BB6_6801 Depth=2
	v_clz_i32_u32_e32 v14, v52
	s_delay_alu instid0(VALU_DEP_1) | instskip(NEXT) | instid1(VALU_DEP_1)
	v_min_u32_e32 v17, 32, v14
	v_subrev_nc_u32_e32 v14, 28, v17
	s_delay_alu instid0(VALU_DEP_1) | instskip(NEXT) | instid1(VALU_DEP_1)
	v_lshlrev_b64_e32 v[14:15], v14, v[52:53]
	v_dual_sub_nc_u32 v17, 29, v17 :: v_dual_bitop2_b32 v14, 7, v14 bitop3:0x40
; %bb.9782:                             ;   in Loop: Header=BB6_6801 Depth=2
	s_or_b32 exec_lo, exec_lo, s41
	s_delay_alu instid0(VALU_DEP_1) | instskip(NEXT) | instid1(VALU_DEP_2)
	v_dual_lshlrev_b32 v15, 24, v16 :: v_dual_lshlrev_b32 v14, 20, v14
	v_lshl_add_u32 v16, v17, 23, 0x3c000000
	s_delay_alu instid0(VALU_DEP_2) | instskip(NEXT) | instid1(VALU_DEP_1)
	v_and_b32_e32 v15, 0x80000000, v15
	v_or3_b32 v19, v14, v15, v16
.LBB6_9783:                             ;   in Loop: Header=BB6_6801 Depth=2
	s_or_b32 exec_lo, exec_lo, s40
.LBB6_9784:                             ;   in Loop: Header=BB6_6801 Depth=2
	s_delay_alu instid0(SALU_CYCLE_1)
	s_or_b32 exec_lo, exec_lo, s29
.LBB6_9785:                             ;   in Loop: Header=BB6_6801 Depth=2
	s_delay_alu instid0(SALU_CYCLE_1) | instskip(NEXT) | instid1(VALU_DEP_1)
	s_or_b32 exec_lo, exec_lo, s7
	v_add_f32_e32 v14, v118, v19
                                        ; implicit-def: $vgpr19
	s_mov_b32 s7, exec_lo
	s_delay_alu instid0(VALU_DEP_1) | instskip(SKIP_1) | instid1(VALU_DEP_2)
	v_and_b32_e32 v52, 0x7f800000, v14
	v_lshrrev_b32_e32 v15, 24, v14
	v_cmpx_ne_u64_e32 0x7f800000, v[52:53]
	s_xor_b32 s29, exec_lo, s7
	s_cbranch_execz .LBB6_9799
; %bb.9786:                             ;   in Loop: Header=BB6_6801 Depth=2
	v_and_b32_e32 v52, 0x7fffffff, v14
	v_and_b32_e32 v118, 0x80, v15
                                        ; implicit-def: $vgpr19
	s_mov_b32 s7, exec_lo
	s_delay_alu instid0(VALU_DEP_2)
	v_cmpx_gt_u64_e32 0x43e00001, v[52:53]
	s_xor_b32 s40, exec_lo, s7
	s_cbranch_execz .LBB6_9796
; %bb.9787:                             ;   in Loop: Header=BB6_6801 Depth=2
	v_mov_b32_e32 v19, 0
	s_mov_b32 s41, exec_lo
	v_cmpx_ne_u32_e32 0, v14
	s_cbranch_execz .LBB6_9795
; %bb.9788:                             ;   in Loop: Header=BB6_6801 Depth=2
	v_bfe_u32 v19, v14, 23, 8
	v_and_b32_e32 v15, 0x7fffff, v14
	s_delay_alu instid0(VALU_DEP_2) | instskip(SKIP_2) | instid1(VALU_DEP_4)
	v_cmp_gt_u32_e64 s7, 0x7a, v19
	v_sub_nc_u32_e32 v14, 0x79, v19
	v_cmp_eq_u32_e32 vcc_lo, 0, v19
	v_or_b32_e32 v16, 0x800000, v15
	s_delay_alu instid0(VALU_DEP_1) | instskip(NEXT) | instid1(VALU_DEP_1)
	v_dual_cndmask_b32 v14, 0, v14, s7 :: v_dual_cndmask_b32 v52, v16, v15, vcc_lo
	v_cndmask_b32_e64 v75, v14, 0x78, vcc_lo
	s_delay_alu instid0(VALU_DEP_1) | instskip(NEXT) | instid1(VALU_DEP_1)
	v_dual_add_nc_u32 v14, 20, v75 :: v_dual_add_nc_u32 v16, 19, v75
	v_lshlrev_b64_e64 v[14:15], v14, -1
	s_delay_alu instid0(VALU_DEP_2) | instskip(NEXT) | instid1(VALU_DEP_2)
	v_lshlrev_b64_e64 v[16:17], v16, 1
	v_bfi_b32 v15, v15, 0, 0
	s_delay_alu instid0(VALU_DEP_3) | instskip(NEXT) | instid1(VALU_DEP_1)
	v_bfi_b32 v14, v14, 0, v52
	v_cmp_eq_u64_e64 s7, v[14:15], v[16:17]
	v_lshrrev_b64 v[14:15], v75, v[52:53]
	s_delay_alu instid0(VALU_DEP_1)
	v_mov_b64_e32 v[16:17], v[14:15]
	s_and_saveexec_b32 s42, s7
; %bb.9789:                             ;   in Loop: Header=BB6_6801 Depth=2
	v_bfe_u32 v52, v14, 20, 1
	s_delay_alu instid0(VALU_DEP_1) | instskip(NEXT) | instid1(VALU_DEP_1)
	v_add_nc_u64_e32 v[16:17], v[14:15], v[52:53]
	v_add_nc_u64_e32 v[16:17], -1, v[16:17]
; %bb.9790:                             ;   in Loop: Header=BB6_6801 Depth=2
	s_or_b32 exec_lo, exec_lo, s42
	v_add_nc_u32_e32 v15, 0xffffff81, v19
	v_lshrrev_b32_e32 v17, 23, v14
	s_mov_b32 s7, exec_lo
	s_delay_alu instid0(VALU_DEP_2) | instskip(NEXT) | instid1(VALU_DEP_1)
	v_cndmask_b32_e64 v15, v15, 0xffffff82, vcc_lo
	v_add3_u32 v19, v75, v15, v17
	v_and_b32_e32 v15, 0xfffff, v16
                                        ; implicit-def: $vgpr16
	s_delay_alu instid0(VALU_DEP_1) | instskip(NEXT) | instid1(VALU_DEP_1)
	v_dual_add_nc_u32 v17, 6, v19 :: v_dual_add_nc_u32 v52, v15, v14
                                        ; implicit-def: $vgpr14_vgpr15
	v_cmpx_ne_u32_e32 0, v17
	s_xor_b32 s7, exec_lo, s7
; %bb.9791:                             ;   in Loop: Header=BB6_6801 Depth=2
	s_delay_alu instid0(VALU_DEP_2) | instskip(SKIP_1) | instid1(VALU_DEP_1)
	v_cmp_lt_u64_e32 vcc_lo, 0xffffff, v[52:53]
	v_add_nc_u32_e32 v14, 7, v19
	v_cndmask_b32_e32 v16, v17, v14, vcc_lo
	v_cndmask_b32_e64 v14, 0, 1, vcc_lo
	s_delay_alu instid0(VALU_DEP_1)
	v_lshrrev_b64 v[14:15], v14, v[52:53]
; %bb.9792:                             ;   in Loop: Header=BB6_6801 Depth=2
	s_and_not1_saveexec_b32 s7, s7
; %bb.9793:                             ;   in Loop: Header=BB6_6801 Depth=2
	v_mov_b64_e32 v[14:15], v[52:53]
	v_bfe_u32 v16, v52, 23, 1
; %bb.9794:                             ;   in Loop: Header=BB6_6801 Depth=2
	s_or_b32 exec_lo, exec_lo, s7
	s_delay_alu instid0(VALU_DEP_2) | instskip(NEXT) | instid1(VALU_DEP_2)
	v_lshrrev_b64 v[14:15], 20, v[14:15]
	v_cmp_gt_i32_e32 vcc_lo, 16, v16
	v_min_i32_e32 v17, 15, v16
	v_cmp_eq_u32_e64 s7, 0, v16
	s_delay_alu instid0(VALU_DEP_2) | instskip(SKIP_1) | instid1(VALU_DEP_2)
	v_dual_cndmask_b32 v15, 0, v15, vcc_lo :: v_dual_lshlrev_b32 v17, 3, v17
	v_cndmask_b32_e32 v14, 7, v14, vcc_lo
	v_and_b32_e32 v17, 0xf8, v17
	s_delay_alu instid0(VALU_DEP_2) | instskip(NEXT) | instid1(VALU_DEP_2)
	v_cmp_eq_u64_e32 vcc_lo, 0, v[14:15]
	v_and_or_b32 v14, v14, 7, v17
	s_and_b32 s7, s7, vcc_lo
	s_delay_alu instid0(VALU_DEP_1) | instid1(SALU_CYCLE_1)
	v_cndmask_b32_e64 v14, v14, 0, s7
	s_delay_alu instid0(VALU_DEP_1)
	v_or_b32_e32 v19, v14, v118
.LBB6_9795:                             ;   in Loop: Header=BB6_6801 Depth=2
	s_or_b32 exec_lo, exec_lo, s41
                                        ; implicit-def: $vgpr118
.LBB6_9796:                             ;   in Loop: Header=BB6_6801 Depth=2
	s_and_not1_saveexec_b32 s7, s40
; %bb.9797:                             ;   in Loop: Header=BB6_6801 Depth=2
	v_or_b32_e32 v19, 0x7e, v118
; %bb.9798:                             ;   in Loop: Header=BB6_6801 Depth=2
	s_or_b32 exec_lo, exec_lo, s7
                                        ; implicit-def: $vgpr15
.LBB6_9799:                             ;   in Loop: Header=BB6_6801 Depth=2
	s_and_not1_saveexec_b32 s7, s29
; %bb.9800:                             ;   in Loop: Header=BB6_6801 Depth=2
	v_or_b32_e32 v19, 0x7f, v15
; %bb.9801:                             ;   in Loop: Header=BB6_6801 Depth=2
	s_or_b32 exec_lo, exec_lo, s7
	v_lshl_or_b32 v118, v73, 8, v61
	v_dual_lshlrev_b32 v14, 16, v76 :: v_dual_lshlrev_b32 v15, 24, v29
	s_mov_b32 s7, exec_lo
	s_delay_alu instid0(VALU_DEP_1)
	v_or3_b32 v52, v14, v15, v118
	v_dual_mov_b32 v14, 0 :: v_dual_mov_b32 v15, 0
	v_cmpx_ne_u32_e32 0, v61
	s_cbranch_execz .LBB6_9807
; %bb.9802:                             ;   in Loop: Header=BB6_6801 Depth=2
	v_bfrev_b32_e32 v15, 1
	s_mov_b32 s29, exec_lo
	v_cmpx_ne_u32_e32 0x80, v61
	s_cbranch_execz .LBB6_9806
; %bb.9803:                             ;   in Loop: Header=BB6_6801 Depth=2
	v_and_b32_e32 v16, 0x7f, v61
	v_mov_b32_e32 v15, 0x7f800001
	s_mov_b32 s40, exec_lo
	s_delay_alu instid0(VALU_DEP_2)
	v_cmpx_ne_u32_e32 0x7f, v16
	s_cbranch_execz .LBB6_9805
; %bb.9804:                             ;   in Loop: Header=BB6_6801 Depth=2
	v_dual_lshrrev_b32 v17, 3, v16 :: v_dual_bitop2_b32 v15, 7, v61 bitop3:0x40
	v_cmp_gt_u32_e32 vcc_lo, 8, v16
	s_delay_alu instid0(VALU_DEP_2) | instskip(NEXT) | instid1(VALU_DEP_1)
	v_clz_i32_u32_e32 v15, v15
	v_min_u32_e32 v15, 32, v15
	s_delay_alu instid0(VALU_DEP_1) | instskip(NEXT) | instid1(VALU_DEP_1)
	v_subrev_nc_u32_e32 v16, 28, v15
	v_dual_cndmask_b32 v16, 0, v16 :: v_dual_sub_nc_u32 v15, 29, v15
	s_delay_alu instid0(VALU_DEP_1) | instskip(NEXT) | instid1(VALU_DEP_2)
	v_cndmask_b32_e32 v15, v17, v15, vcc_lo
	v_lshlrev_b64_e32 v[16:17], v16, v[52:53]
	v_lshlrev_b32_e32 v17, 24, v52
	s_delay_alu instid0(VALU_DEP_1) | instskip(NEXT) | instid1(VALU_DEP_3)
	v_and_b32_e32 v17, 0x80000000, v17
	v_lshlrev_b32_e32 v16, 20, v16
	v_lshl_add_u32 v15, v15, 23, 0x3c000000
	s_delay_alu instid0(VALU_DEP_2) | instskip(NEXT) | instid1(VALU_DEP_1)
	v_and_b32_e32 v16, 0x700000, v16
	v_or3_b32 v15, v16, v17, v15
.LBB6_9805:                             ;   in Loop: Header=BB6_6801 Depth=2
	s_or_b32 exec_lo, exec_lo, s40
.LBB6_9806:                             ;   in Loop: Header=BB6_6801 Depth=2
	s_delay_alu instid0(SALU_CYCLE_1)
	s_or_b32 exec_lo, exec_lo, s29
.LBB6_9807:                             ;   in Loop: Header=BB6_6801 Depth=2
	s_delay_alu instid0(SALU_CYCLE_1) | instskip(SKIP_3) | instid1(VALU_DEP_1)
	s_or_b32 exec_lo, exec_lo, s7
	s_wait_loadcnt 0x0
	v_and_b32_e32 v16, 0xff, v10
	s_mov_b32 s7, exec_lo
	v_cmpx_ne_u16_e32 0, v16
	s_cbranch_execz .LBB6_9813
; %bb.9808:                             ;   in Loop: Header=BB6_6801 Depth=2
	v_bfrev_b32_e32 v14, 1
	s_mov_b32 s29, exec_lo
	v_cmpx_ne_u16_e32 0x80, v16
	s_cbranch_execz .LBB6_9812
; %bb.9809:                             ;   in Loop: Header=BB6_6801 Depth=2
	v_and_b32_e32 v16, 0x7f, v10
	v_mov_b32_e32 v14, 0x7f800001
	s_mov_b32 s40, exec_lo
	s_delay_alu instid0(VALU_DEP_2)
	v_cmpx_ne_u32_e32 0x7f, v16
	s_cbranch_execz .LBB6_9811
; %bb.9810:                             ;   in Loop: Header=BB6_6801 Depth=2
	v_dual_lshrrev_b32 v17, 3, v16 :: v_dual_bitop2_b32 v14, 7, v10 bitop3:0x40
	v_cmp_gt_u32_e32 vcc_lo, 8, v16
	s_delay_alu instid0(VALU_DEP_2) | instskip(NEXT) | instid1(VALU_DEP_1)
	v_clz_i32_u32_e32 v14, v14
	v_min_u32_e32 v14, 32, v14
	s_delay_alu instid0(VALU_DEP_1) | instskip(NEXT) | instid1(VALU_DEP_1)
	v_subrev_nc_u32_e32 v16, 28, v14
	v_dual_sub_nc_u32 v14, 29, v14 :: v_dual_cndmask_b32 v16, 0, v16, vcc_lo
	s_delay_alu instid0(VALU_DEP_1) | instskip(NEXT) | instid1(VALU_DEP_2)
	v_cndmask_b32_e32 v14, v17, v14, vcc_lo
	v_lshlrev_b64_e32 v[16:17], v16, v[10:11]
	v_lshlrev_b32_e32 v17, 24, v10
	s_delay_alu instid0(VALU_DEP_1) | instskip(NEXT) | instid1(VALU_DEP_3)
	v_and_b32_e32 v17, 0x80000000, v17
	v_lshlrev_b32_e32 v16, 20, v16
	v_lshl_add_u32 v14, v14, 23, 0x3c000000
	s_delay_alu instid0(VALU_DEP_2) | instskip(NEXT) | instid1(VALU_DEP_1)
	v_and_b32_e32 v16, 0x700000, v16
	v_or3_b32 v14, v16, v17, v14
.LBB6_9811:                             ;   in Loop: Header=BB6_6801 Depth=2
	s_or_b32 exec_lo, exec_lo, s40
.LBB6_9812:                             ;   in Loop: Header=BB6_6801 Depth=2
	s_delay_alu instid0(SALU_CYCLE_1)
	s_or_b32 exec_lo, exec_lo, s29
.LBB6_9813:                             ;   in Loop: Header=BB6_6801 Depth=2
	s_delay_alu instid0(SALU_CYCLE_1) | instskip(NEXT) | instid1(VALU_DEP_1)
	s_or_b32 exec_lo, exec_lo, s7
	v_dual_add_f32 v14, v15, v14 :: v_dual_mov_b32 v17, v53
                                        ; implicit-def: $vgpr29
	s_mov_b32 s7, exec_lo
	s_delay_alu instid0(VALU_DEP_1) | instskip(SKIP_1) | instid1(VALU_DEP_2)
	v_and_b32_e32 v16, 0x7f800000, v14
	v_lshrrev_b32_e32 v15, 24, v14
	v_cmpx_ne_u64_e32 0x7f800000, v[16:17]
	s_xor_b32 s29, exec_lo, s7
	s_cbranch_execz .LBB6_9827
; %bb.9814:                             ;   in Loop: Header=BB6_6801 Depth=2
	v_and_b32_e32 v16, 0x7fffffff, v14
	v_mov_b32_e32 v17, v53
	v_and_b32_e32 v61, 0x80, v15
                                        ; implicit-def: $vgpr29
	s_mov_b32 s7, exec_lo
	s_delay_alu instid0(VALU_DEP_2)
	v_cmpx_gt_u64_e32 0x43e00001, v[16:17]
	s_xor_b32 s40, exec_lo, s7
	s_cbranch_execz .LBB6_9824
; %bb.9815:                             ;   in Loop: Header=BB6_6801 Depth=2
	v_mov_b32_e32 v29, 0
	s_mov_b32 s41, exec_lo
	v_cmpx_ne_u32_e32 0, v14
	s_cbranch_execz .LBB6_9823
; %bb.9816:                             ;   in Loop: Header=BB6_6801 Depth=2
	v_bfe_u32 v29, v14, 23, 8
	v_and_b32_e32 v15, 0x7fffff, v14
	s_delay_alu instid0(VALU_DEP_2) | instskip(SKIP_2) | instid1(VALU_DEP_4)
	v_cmp_gt_u32_e64 s7, 0x7a, v29
	v_sub_nc_u32_e32 v14, 0x79, v29
	v_cmp_eq_u32_e32 vcc_lo, 0, v29
	v_or_b32_e32 v16, 0x800000, v15
	s_delay_alu instid0(VALU_DEP_3) | instskip(NEXT) | instid1(VALU_DEP_1)
	v_cndmask_b32_e64 v14, 0, v14, s7
	v_cndmask_b32_e64 v73, v14, 0x78, vcc_lo
	s_delay_alu instid0(VALU_DEP_3) | instskip(NEXT) | instid1(VALU_DEP_2)
	v_dual_cndmask_b32 v14, v16, v15 :: v_dual_mov_b32 v15, v53
	v_dual_add_nc_u32 v16, 20, v73 :: v_dual_add_nc_u32 v75, 19, v73
	s_delay_alu instid0(VALU_DEP_1) | instskip(NEXT) | instid1(VALU_DEP_2)
	v_lshlrev_b64_e64 v[16:17], v16, -1
	v_lshlrev_b64_e64 v[78:79], v75, 1
	s_delay_alu instid0(VALU_DEP_2) | instskip(SKIP_1) | instid1(VALU_DEP_4)
	v_bfi_b32 v16, v16, 0, v14
	v_lshrrev_b64 v[14:15], v73, v[14:15]
	v_bfi_b32 v17, v17, 0, 0
	s_delay_alu instid0(VALU_DEP_1) | instskip(NEXT) | instid1(VALU_DEP_3)
	v_cmp_eq_u64_e64 s7, v[16:17], v[78:79]
	v_mov_b64_e32 v[16:17], v[14:15]
	s_and_saveexec_b32 s42, s7
; %bb.9817:                             ;   in Loop: Header=BB6_6801 Depth=2
	v_bfe_u32 v16, v14, 20, 1
	v_mov_b32_e32 v17, v53
	s_delay_alu instid0(VALU_DEP_1) | instskip(NEXT) | instid1(VALU_DEP_1)
	v_add_nc_u64_e32 v[16:17], v[14:15], v[16:17]
	v_add_nc_u64_e32 v[16:17], -1, v[16:17]
; %bb.9818:                             ;   in Loop: Header=BB6_6801 Depth=2
	s_or_b32 exec_lo, exec_lo, s42
	v_add_nc_u32_e32 v15, 0xffffff81, v29
	v_lshrrev_b32_e32 v17, 23, v14
	s_mov_b32 s7, exec_lo
	s_delay_alu instid0(VALU_DEP_2) | instskip(NEXT) | instid1(VALU_DEP_1)
	v_cndmask_b32_e64 v15, v15, 0xffffff82, vcc_lo
	v_add3_u32 v29, v73, v15, v17
	v_and_b32_e32 v15, 0xfffff, v16
                                        ; implicit-def: $vgpr16
	s_delay_alu instid0(VALU_DEP_1) | instskip(SKIP_1) | instid1(VALU_DEP_2)
	v_dual_add_nc_u32 v17, 6, v29 :: v_dual_add_nc_u32 v14, v15, v14
	v_mov_b32_e32 v15, v53
	v_cmpx_ne_u32_e32 0, v17
	s_xor_b32 s7, exec_lo, s7
; %bb.9819:                             ;   in Loop: Header=BB6_6801 Depth=2
	s_delay_alu instid0(VALU_DEP_2) | instskip(SKIP_1) | instid1(VALU_DEP_1)
	v_cmp_lt_u64_e32 vcc_lo, 0xffffff, v[14:15]
	v_add_nc_u32_e32 v16, 7, v29
	v_cndmask_b32_e32 v16, v17, v16, vcc_lo
	v_cndmask_b32_e64 v17, 0, 1, vcc_lo
	s_delay_alu instid0(VALU_DEP_1)
	v_lshrrev_b64 v[14:15], v17, v[14:15]
; %bb.9820:                             ;   in Loop: Header=BB6_6801 Depth=2
	s_and_not1_saveexec_b32 s7, s7
; %bb.9821:                             ;   in Loop: Header=BB6_6801 Depth=2
	s_delay_alu instid0(VALU_DEP_1)
	v_bfe_u32 v16, v14, 23, 1
; %bb.9822:                             ;   in Loop: Header=BB6_6801 Depth=2
	s_or_b32 exec_lo, exec_lo, s7
	s_delay_alu instid0(VALU_DEP_2) | instskip(NEXT) | instid1(VALU_DEP_2)
	v_lshrrev_b64 v[14:15], 20, v[14:15]
	v_cmp_gt_i32_e32 vcc_lo, 16, v16
	v_min_i32_e32 v17, 15, v16
	v_cmp_eq_u32_e64 s7, 0, v16
	s_delay_alu instid0(VALU_DEP_2) | instskip(SKIP_1) | instid1(VALU_DEP_2)
	v_dual_cndmask_b32 v15, 0, v15, vcc_lo :: v_dual_lshlrev_b32 v17, 3, v17
	v_cndmask_b32_e32 v14, 7, v14, vcc_lo
	v_and_b32_e32 v17, 0xf8, v17
	s_delay_alu instid0(VALU_DEP_2) | instskip(NEXT) | instid1(VALU_DEP_2)
	v_cmp_eq_u64_e32 vcc_lo, 0, v[14:15]
	v_and_or_b32 v14, v14, 7, v17
	s_and_b32 s7, s7, vcc_lo
	s_delay_alu instid0(VALU_DEP_1) | instid1(SALU_CYCLE_1)
	v_cndmask_b32_e64 v14, v14, 0, s7
	s_delay_alu instid0(VALU_DEP_1)
	v_or_b32_e32 v29, v14, v61
.LBB6_9823:                             ;   in Loop: Header=BB6_6801 Depth=2
	s_or_b32 exec_lo, exec_lo, s41
                                        ; implicit-def: $vgpr61
.LBB6_9824:                             ;   in Loop: Header=BB6_6801 Depth=2
	s_and_not1_saveexec_b32 s7, s40
; %bb.9825:                             ;   in Loop: Header=BB6_6801 Depth=2
	v_or_b32_e32 v29, 0x7e, v61
; %bb.9826:                             ;   in Loop: Header=BB6_6801 Depth=2
	s_or_b32 exec_lo, exec_lo, s7
                                        ; implicit-def: $vgpr15
.LBB6_9827:                             ;   in Loop: Header=BB6_6801 Depth=2
	s_and_not1_saveexec_b32 s7, s29
; %bb.9828:                             ;   in Loop: Header=BB6_6801 Depth=2
	v_or_b32_e32 v29, 0x7f, v15
; %bb.9829:                             ;   in Loop: Header=BB6_6801 Depth=2
	s_or_b32 exec_lo, exec_lo, s7
	v_lshrrev_b16 v14, 8, v118
	v_dual_mov_b32 v16, 0 :: v_dual_mov_b32 v17, 0
	s_mov_b32 s7, exec_lo
	s_delay_alu instid0(VALU_DEP_2)
	v_cmpx_ne_u16_e32 0, v14
	s_cbranch_execz .LBB6_9837
; %bb.9830:                             ;   in Loop: Header=BB6_6801 Depth=2
	v_bfrev_b32_e32 v17, 1
	s_mov_b32 s29, exec_lo
	v_cmpx_ne_u16_e32 0x80, v14
	s_cbranch_execz .LBB6_9836
; %bb.9831:                             ;   in Loop: Header=BB6_6801 Depth=2
	v_and_b32_e32 v14, 0xffff, v14
	v_mov_b32_e32 v17, 0x7f800001
	s_mov_b32 s40, exec_lo
	s_delay_alu instid0(VALU_DEP_2) | instskip(NEXT) | instid1(VALU_DEP_1)
	v_and_b32_e32 v61, 0x7f, v14
	v_cmpx_ne_u32_e32 0x7f, v61
	s_cbranch_execz .LBB6_9835
; %bb.9832:                             ;   in Loop: Header=BB6_6801 Depth=2
	v_dual_mov_b32 v15, v53 :: v_dual_bitop2_b32 v14, 7, v14 bitop3:0x40
	v_lshrrev_b32_e32 v17, 3, v61
	s_mov_b32 s41, exec_lo
	v_cmpx_gt_u32_e32 8, v61
; %bb.9833:                             ;   in Loop: Header=BB6_6801 Depth=2
	s_delay_alu instid0(VALU_DEP_3) | instskip(NEXT) | instid1(VALU_DEP_1)
	v_clz_i32_u32_e32 v17, v14
	v_min_u32_e32 v17, 32, v17
	s_delay_alu instid0(VALU_DEP_1) | instskip(NEXT) | instid1(VALU_DEP_1)
	v_subrev_nc_u32_e32 v61, 28, v17
	v_lshlrev_b64_e32 v[14:15], v61, v[14:15]
	s_delay_alu instid0(VALU_DEP_1)
	v_dual_sub_nc_u32 v17, 29, v17 :: v_dual_bitop2_b32 v14, 7, v14 bitop3:0x40
; %bb.9834:                             ;   in Loop: Header=BB6_6801 Depth=2
	s_or_b32 exec_lo, exec_lo, s41
	v_lshlrev_b32_e32 v15, 16, v118
	s_delay_alu instid0(VALU_DEP_2) | instskip(NEXT) | instid1(VALU_DEP_3)
	v_lshlrev_b32_e32 v14, 20, v14
	v_lshl_add_u32 v17, v17, 23, 0x3c000000
	s_delay_alu instid0(VALU_DEP_3) | instskip(NEXT) | instid1(VALU_DEP_1)
	v_and_b32_e32 v15, 0x80000000, v15
	v_or3_b32 v17, v14, v15, v17
.LBB6_9835:                             ;   in Loop: Header=BB6_6801 Depth=2
	s_or_b32 exec_lo, exec_lo, s40
.LBB6_9836:                             ;   in Loop: Header=BB6_6801 Depth=2
	s_delay_alu instid0(SALU_CYCLE_1)
	s_or_b32 exec_lo, exec_lo, s29
.LBB6_9837:                             ;   in Loop: Header=BB6_6801 Depth=2
	s_delay_alu instid0(SALU_CYCLE_1) | instskip(SKIP_2) | instid1(VALU_DEP_1)
	s_or_b32 exec_lo, exec_lo, s7
	v_lshrrev_b16 v14, 8, v10
	s_mov_b32 s7, exec_lo
	v_cmpx_ne_u16_e32 0, v14
	s_cbranch_execz .LBB6_9845
; %bb.9838:                             ;   in Loop: Header=BB6_6801 Depth=2
	v_bfrev_b32_e32 v16, 1
	s_mov_b32 s29, exec_lo
	v_cmpx_ne_u16_e32 0x80, v14
	s_cbranch_execz .LBB6_9844
; %bb.9839:                             ;   in Loop: Header=BB6_6801 Depth=2
	v_and_b32_e32 v14, 0xffff, v14
	v_mov_b32_e32 v16, 0x7f800001
	s_mov_b32 s40, exec_lo
	s_delay_alu instid0(VALU_DEP_2) | instskip(NEXT) | instid1(VALU_DEP_1)
	v_and_b32_e32 v118, 0x7f, v14
	v_cmpx_ne_u32_e32 0x7f, v118
	s_cbranch_execz .LBB6_9843
; %bb.9840:                             ;   in Loop: Header=BB6_6801 Depth=2
	v_dual_mov_b32 v15, v53 :: v_dual_bitop2_b32 v14, 7, v14 bitop3:0x40
	v_lshrrev_b32_e32 v16, 3, v118
	s_mov_b32 s41, exec_lo
	v_cmpx_gt_u32_e32 8, v118
; %bb.9841:                             ;   in Loop: Header=BB6_6801 Depth=2
	s_delay_alu instid0(VALU_DEP_3) | instskip(NEXT) | instid1(VALU_DEP_1)
	v_clz_i32_u32_e32 v16, v14
	v_min_u32_e32 v16, 32, v16
	s_delay_alu instid0(VALU_DEP_1) | instskip(NEXT) | instid1(VALU_DEP_1)
	v_subrev_nc_u32_e32 v118, 28, v16
	v_lshlrev_b64_e32 v[14:15], v118, v[14:15]
	s_delay_alu instid0(VALU_DEP_1)
	v_dual_sub_nc_u32 v16, 29, v16 :: v_dual_bitop2_b32 v14, 7, v14 bitop3:0x40
; %bb.9842:                             ;   in Loop: Header=BB6_6801 Depth=2
	s_or_b32 exec_lo, exec_lo, s41
	v_lshlrev_b32_e32 v15, 16, v10
	s_delay_alu instid0(VALU_DEP_2) | instskip(NEXT) | instid1(VALU_DEP_3)
	v_lshlrev_b32_e32 v14, 20, v14
	v_lshl_add_u32 v16, v16, 23, 0x3c000000
	s_delay_alu instid0(VALU_DEP_3) | instskip(NEXT) | instid1(VALU_DEP_1)
	v_and_b32_e32 v15, 0x80000000, v15
	v_or3_b32 v16, v14, v15, v16
.LBB6_9843:                             ;   in Loop: Header=BB6_6801 Depth=2
	s_or_b32 exec_lo, exec_lo, s40
.LBB6_9844:                             ;   in Loop: Header=BB6_6801 Depth=2
	s_delay_alu instid0(SALU_CYCLE_1)
	s_or_b32 exec_lo, exec_lo, s29
.LBB6_9845:                             ;   in Loop: Header=BB6_6801 Depth=2
	s_delay_alu instid0(SALU_CYCLE_1) | instskip(NEXT) | instid1(VALU_DEP_1)
	s_or_b32 exec_lo, exec_lo, s7
	v_add_f32_e32 v14, v17, v16
	v_mov_b32_e32 v17, v53
                                        ; implicit-def: $vgpr118
	s_mov_b32 s7, exec_lo
	s_delay_alu instid0(VALU_DEP_2) | instskip(SKIP_1) | instid1(VALU_DEP_2)
	v_and_b32_e32 v16, 0x7f800000, v14
	v_lshrrev_b32_e32 v15, 24, v14
	v_cmpx_ne_u64_e32 0x7f800000, v[16:17]
	s_xor_b32 s29, exec_lo, s7
	s_cbranch_execz .LBB6_9859
; %bb.9846:                             ;   in Loop: Header=BB6_6801 Depth=2
	v_and_b32_e32 v16, 0x7fffffff, v14
	v_mov_b32_e32 v17, v53
	v_and_b32_e32 v61, 0x80, v15
                                        ; implicit-def: $vgpr118
	s_mov_b32 s7, exec_lo
	s_delay_alu instid0(VALU_DEP_2)
	v_cmpx_gt_u64_e32 0x43e00001, v[16:17]
	s_xor_b32 s40, exec_lo, s7
	s_cbranch_execz .LBB6_9856
; %bb.9847:                             ;   in Loop: Header=BB6_6801 Depth=2
	v_mov_b32_e32 v118, 0
	s_mov_b32 s41, exec_lo
	v_cmpx_ne_u32_e32 0, v14
	s_cbranch_execz .LBB6_9855
; %bb.9848:                             ;   in Loop: Header=BB6_6801 Depth=2
	v_bfe_u32 v118, v14, 23, 8
	v_and_b32_e32 v15, 0x7fffff, v14
	s_delay_alu instid0(VALU_DEP_2) | instskip(SKIP_2) | instid1(VALU_DEP_4)
	v_cmp_gt_u32_e64 s7, 0x7a, v118
	v_sub_nc_u32_e32 v14, 0x79, v118
	v_cmp_eq_u32_e32 vcc_lo, 0, v118
	v_or_b32_e32 v16, 0x800000, v15
	s_delay_alu instid0(VALU_DEP_3) | instskip(NEXT) | instid1(VALU_DEP_1)
	v_cndmask_b32_e64 v14, 0, v14, s7
	v_cndmask_b32_e64 v73, v14, 0x78, vcc_lo
	s_delay_alu instid0(VALU_DEP_3) | instskip(NEXT) | instid1(VALU_DEP_2)
	v_dual_cndmask_b32 v14, v16, v15 :: v_dual_mov_b32 v15, v53
	v_dual_add_nc_u32 v16, 20, v73 :: v_dual_add_nc_u32 v75, 19, v73
	s_delay_alu instid0(VALU_DEP_1) | instskip(NEXT) | instid1(VALU_DEP_2)
	v_lshlrev_b64_e64 v[16:17], v16, -1
	v_lshlrev_b64_e64 v[78:79], v75, 1
	s_delay_alu instid0(VALU_DEP_2) | instskip(SKIP_1) | instid1(VALU_DEP_4)
	v_bfi_b32 v16, v16, 0, v14
	v_lshrrev_b64 v[14:15], v73, v[14:15]
	v_bfi_b32 v17, v17, 0, 0
	s_delay_alu instid0(VALU_DEP_1) | instskip(NEXT) | instid1(VALU_DEP_3)
	v_cmp_eq_u64_e64 s7, v[16:17], v[78:79]
	v_mov_b64_e32 v[16:17], v[14:15]
	s_and_saveexec_b32 s42, s7
; %bb.9849:                             ;   in Loop: Header=BB6_6801 Depth=2
	v_bfe_u32 v16, v14, 20, 1
	v_mov_b32_e32 v17, v53
	s_delay_alu instid0(VALU_DEP_1) | instskip(NEXT) | instid1(VALU_DEP_1)
	v_add_nc_u64_e32 v[16:17], v[14:15], v[16:17]
	v_add_nc_u64_e32 v[16:17], -1, v[16:17]
; %bb.9850:                             ;   in Loop: Header=BB6_6801 Depth=2
	s_or_b32 exec_lo, exec_lo, s42
	v_add_nc_u32_e32 v15, 0xffffff81, v118
	v_lshrrev_b32_e32 v17, 23, v14
	s_mov_b32 s7, exec_lo
	s_delay_alu instid0(VALU_DEP_2) | instskip(NEXT) | instid1(VALU_DEP_1)
	v_cndmask_b32_e64 v15, v15, 0xffffff82, vcc_lo
	v_add3_u32 v118, v73, v15, v17
	v_and_b32_e32 v15, 0xfffff, v16
                                        ; implicit-def: $vgpr16
	s_delay_alu instid0(VALU_DEP_2) | instskip(NEXT) | instid1(VALU_DEP_2)
	v_add_nc_u32_e32 v17, 6, v118
	v_dual_mov_b32 v15, v53 :: v_dual_add_nc_u32 v14, v15, v14
	s_delay_alu instid0(VALU_DEP_2)
	v_cmpx_ne_u32_e32 0, v17
	s_xor_b32 s7, exec_lo, s7
; %bb.9851:                             ;   in Loop: Header=BB6_6801 Depth=2
	s_delay_alu instid0(VALU_DEP_2) | instskip(SKIP_1) | instid1(VALU_DEP_1)
	v_cmp_lt_u64_e32 vcc_lo, 0xffffff, v[14:15]
	v_add_nc_u32_e32 v16, 7, v118
	v_cndmask_b32_e32 v16, v17, v16, vcc_lo
	v_cndmask_b32_e64 v17, 0, 1, vcc_lo
	s_delay_alu instid0(VALU_DEP_1)
	v_lshrrev_b64 v[14:15], v17, v[14:15]
; %bb.9852:                             ;   in Loop: Header=BB6_6801 Depth=2
	s_and_not1_saveexec_b32 s7, s7
; %bb.9853:                             ;   in Loop: Header=BB6_6801 Depth=2
	s_delay_alu instid0(VALU_DEP_1)
	v_bfe_u32 v16, v14, 23, 1
; %bb.9854:                             ;   in Loop: Header=BB6_6801 Depth=2
	s_or_b32 exec_lo, exec_lo, s7
	s_delay_alu instid0(VALU_DEP_2) | instskip(NEXT) | instid1(VALU_DEP_2)
	v_lshrrev_b64 v[14:15], 20, v[14:15]
	v_cmp_gt_i32_e32 vcc_lo, 16, v16
	v_min_i32_e32 v17, 15, v16
	v_cmp_eq_u32_e64 s7, 0, v16
	s_delay_alu instid0(VALU_DEP_2) | instskip(SKIP_1) | instid1(VALU_DEP_2)
	v_dual_cndmask_b32 v15, 0, v15, vcc_lo :: v_dual_lshlrev_b32 v17, 3, v17
	v_cndmask_b32_e32 v14, 7, v14, vcc_lo
	v_and_b32_e32 v17, 0xf8, v17
	s_delay_alu instid0(VALU_DEP_2) | instskip(NEXT) | instid1(VALU_DEP_2)
	v_cmp_eq_u64_e32 vcc_lo, 0, v[14:15]
	v_and_or_b32 v14, v14, 7, v17
	s_and_b32 s7, s7, vcc_lo
	s_delay_alu instid0(VALU_DEP_1) | instid1(SALU_CYCLE_1)
	v_cndmask_b32_e64 v14, v14, 0, s7
	s_delay_alu instid0(VALU_DEP_1)
	v_or_b32_e32 v118, v14, v61
.LBB6_9855:                             ;   in Loop: Header=BB6_6801 Depth=2
	s_or_b32 exec_lo, exec_lo, s41
                                        ; implicit-def: $vgpr61
.LBB6_9856:                             ;   in Loop: Header=BB6_6801 Depth=2
	s_and_not1_saveexec_b32 s7, s40
; %bb.9857:                             ;   in Loop: Header=BB6_6801 Depth=2
	v_or_b32_e32 v118, 0x7e, v61
; %bb.9858:                             ;   in Loop: Header=BB6_6801 Depth=2
	s_or_b32 exec_lo, exec_lo, s7
                                        ; implicit-def: $vgpr15
.LBB6_9859:                             ;   in Loop: Header=BB6_6801 Depth=2
	s_and_not1_saveexec_b32 s7, s29
; %bb.9860:                             ;   in Loop: Header=BB6_6801 Depth=2
	v_or_b32_e32 v118, 0x7f, v15
; %bb.9861:                             ;   in Loop: Header=BB6_6801 Depth=2
	s_or_b32 exec_lo, exec_lo, s7
	v_dual_mov_b32 v16, 0 :: v_dual_lshrrev_b32 v61, 16, v52
	v_mov_b32_e32 v17, 0
	s_mov_b32 s7, exec_lo
	s_delay_alu instid0(VALU_DEP_2) | instskip(NEXT) | instid1(VALU_DEP_1)
	v_and_b32_e32 v14, 0xff, v61
	v_cmpx_ne_u16_e32 0, v14
	s_cbranch_execz .LBB6_9869
; %bb.9862:                             ;   in Loop: Header=BB6_6801 Depth=2
	v_bfrev_b32_e32 v17, 1
	s_mov_b32 s29, exec_lo
	v_cmpx_ne_u16_e32 0x80, v14
	s_cbranch_execz .LBB6_9868
; %bb.9863:                             ;   in Loop: Header=BB6_6801 Depth=2
	v_bfe_u32 v73, v52, 16, 7
	v_mov_b32_e32 v17, 0x7f800001
	s_mov_b32 s40, exec_lo
	s_delay_alu instid0(VALU_DEP_2)
	v_cmpx_ne_u32_e32 0x7f, v73
	s_cbranch_execz .LBB6_9867
; %bb.9864:                             ;   in Loop: Header=BB6_6801 Depth=2
	v_dual_mov_b32 v15, v53 :: v_dual_bitop2_b32 v14, 7, v61 bitop3:0x40
	v_lshrrev_b32_e32 v17, 3, v73
	s_mov_b32 s41, exec_lo
	v_cmpx_gt_u32_e32 8, v73
; %bb.9865:                             ;   in Loop: Header=BB6_6801 Depth=2
	s_delay_alu instid0(VALU_DEP_3) | instskip(NEXT) | instid1(VALU_DEP_1)
	v_clz_i32_u32_e32 v17, v14
	v_min_u32_e32 v17, 32, v17
	s_delay_alu instid0(VALU_DEP_1) | instskip(NEXT) | instid1(VALU_DEP_1)
	v_subrev_nc_u32_e32 v73, 28, v17
	v_lshlrev_b64_e32 v[14:15], v73, v[14:15]
	s_delay_alu instid0(VALU_DEP_1)
	v_dual_sub_nc_u32 v17, 29, v17 :: v_dual_bitop2_b32 v14, 7, v14 bitop3:0x40
; %bb.9866:                             ;   in Loop: Header=BB6_6801 Depth=2
	s_or_b32 exec_lo, exec_lo, s41
	s_delay_alu instid0(VALU_DEP_1) | instskip(NEXT) | instid1(VALU_DEP_2)
	v_dual_lshlrev_b32 v15, 24, v61 :: v_dual_lshlrev_b32 v14, 20, v14
	v_lshl_add_u32 v17, v17, 23, 0x3c000000
	s_delay_alu instid0(VALU_DEP_2) | instskip(NEXT) | instid1(VALU_DEP_1)
	v_and_b32_e32 v15, 0x80000000, v15
	v_or3_b32 v17, v14, v15, v17
.LBB6_9867:                             ;   in Loop: Header=BB6_6801 Depth=2
	s_or_b32 exec_lo, exec_lo, s40
.LBB6_9868:                             ;   in Loop: Header=BB6_6801 Depth=2
	s_delay_alu instid0(SALU_CYCLE_1)
	s_or_b32 exec_lo, exec_lo, s29
.LBB6_9869:                             ;   in Loop: Header=BB6_6801 Depth=2
	s_delay_alu instid0(SALU_CYCLE_1) | instskip(SKIP_2) | instid1(VALU_DEP_1)
	s_or_b32 exec_lo, exec_lo, s7
	v_lshrrev_b32_e32 v14, 16, v10
	s_mov_b32 s7, exec_lo
	v_and_b32_e32 v15, 0xff, v14
	s_delay_alu instid0(VALU_DEP_1)
	v_cmpx_ne_u16_e32 0, v15
	s_cbranch_execz .LBB6_9877
; %bb.9870:                             ;   in Loop: Header=BB6_6801 Depth=2
	v_bfrev_b32_e32 v16, 1
	s_mov_b32 s29, exec_lo
	v_cmpx_ne_u16_e32 0x80, v15
	s_cbranch_execz .LBB6_9876
; %bb.9871:                             ;   in Loop: Header=BB6_6801 Depth=2
	v_bfe_u32 v61, v10, 16, 7
	v_mov_b32_e32 v16, 0x7f800001
	s_mov_b32 s40, exec_lo
	s_delay_alu instid0(VALU_DEP_2)
	v_cmpx_ne_u32_e32 0x7f, v61
	s_cbranch_execz .LBB6_9875
; %bb.9872:                             ;   in Loop: Header=BB6_6801 Depth=2
	v_dual_mov_b32 v15, v53 :: v_dual_bitop2_b32 v14, 7, v14 bitop3:0x40
	v_lshrrev_b32_e32 v16, 3, v61
	s_mov_b32 s41, exec_lo
	v_cmpx_gt_u32_e32 8, v61
; %bb.9873:                             ;   in Loop: Header=BB6_6801 Depth=2
	s_delay_alu instid0(VALU_DEP_3) | instskip(NEXT) | instid1(VALU_DEP_1)
	v_clz_i32_u32_e32 v16, v14
	v_min_u32_e32 v16, 32, v16
	s_delay_alu instid0(VALU_DEP_1) | instskip(NEXT) | instid1(VALU_DEP_1)
	v_subrev_nc_u32_e32 v61, 28, v16
	v_lshlrev_b64_e32 v[14:15], v61, v[14:15]
	s_delay_alu instid0(VALU_DEP_1)
	v_dual_sub_nc_u32 v16, 29, v16 :: v_dual_bitop2_b32 v14, 7, v14 bitop3:0x40
; %bb.9874:                             ;   in Loop: Header=BB6_6801 Depth=2
	s_or_b32 exec_lo, exec_lo, s41
	v_lshlrev_b32_e32 v15, 8, v10
	s_delay_alu instid0(VALU_DEP_2) | instskip(NEXT) | instid1(VALU_DEP_3)
	v_lshlrev_b32_e32 v14, 20, v14
	v_lshl_add_u32 v16, v16, 23, 0x3c000000
	s_delay_alu instid0(VALU_DEP_3) | instskip(NEXT) | instid1(VALU_DEP_1)
	v_and_b32_e32 v15, 0x80000000, v15
	v_or3_b32 v16, v14, v15, v16
.LBB6_9875:                             ;   in Loop: Header=BB6_6801 Depth=2
	s_or_b32 exec_lo, exec_lo, s40
.LBB6_9876:                             ;   in Loop: Header=BB6_6801 Depth=2
	s_delay_alu instid0(SALU_CYCLE_1)
	s_or_b32 exec_lo, exec_lo, s29
.LBB6_9877:                             ;   in Loop: Header=BB6_6801 Depth=2
	s_delay_alu instid0(SALU_CYCLE_1) | instskip(NEXT) | instid1(VALU_DEP_1)
	s_or_b32 exec_lo, exec_lo, s7
	v_add_f32_e32 v14, v17, v16
	v_mov_b32_e32 v17, v53
                                        ; implicit-def: $vgpr61
	s_mov_b32 s7, exec_lo
	s_delay_alu instid0(VALU_DEP_2) | instskip(SKIP_1) | instid1(VALU_DEP_2)
	v_and_b32_e32 v16, 0x7f800000, v14
	v_lshrrev_b32_e32 v15, 24, v14
	v_cmpx_ne_u64_e32 0x7f800000, v[16:17]
	s_xor_b32 s29, exec_lo, s7
	s_cbranch_execz .LBB6_9891
; %bb.9878:                             ;   in Loop: Header=BB6_6801 Depth=2
	v_and_b32_e32 v16, 0x7fffffff, v14
	v_mov_b32_e32 v17, v53
	v_and_b32_e32 v73, 0x80, v15
                                        ; implicit-def: $vgpr61
	s_mov_b32 s7, exec_lo
	s_delay_alu instid0(VALU_DEP_2)
	v_cmpx_gt_u64_e32 0x43e00001, v[16:17]
	s_xor_b32 s40, exec_lo, s7
	s_cbranch_execz .LBB6_9888
; %bb.9879:                             ;   in Loop: Header=BB6_6801 Depth=2
	v_mov_b32_e32 v61, 0
	s_mov_b32 s41, exec_lo
	v_cmpx_ne_u32_e32 0, v14
	s_cbranch_execz .LBB6_9887
; %bb.9880:                             ;   in Loop: Header=BB6_6801 Depth=2
	v_bfe_u32 v61, v14, 23, 8
	v_and_b32_e32 v15, 0x7fffff, v14
	s_delay_alu instid0(VALU_DEP_2) | instskip(SKIP_2) | instid1(VALU_DEP_4)
	v_cmp_gt_u32_e64 s7, 0x7a, v61
	v_sub_nc_u32_e32 v14, 0x79, v61
	v_cmp_eq_u32_e32 vcc_lo, 0, v61
	v_or_b32_e32 v16, 0x800000, v15
	s_delay_alu instid0(VALU_DEP_3) | instskip(NEXT) | instid1(VALU_DEP_1)
	v_cndmask_b32_e64 v14, 0, v14, s7
	v_cndmask_b32_e64 v75, v14, 0x78, vcc_lo
	s_delay_alu instid0(VALU_DEP_3) | instskip(NEXT) | instid1(VALU_DEP_2)
	v_dual_cndmask_b32 v14, v16, v15 :: v_dual_mov_b32 v15, v53
	v_dual_add_nc_u32 v16, 20, v75 :: v_dual_add_nc_u32 v76, 19, v75
	s_delay_alu instid0(VALU_DEP_1) | instskip(NEXT) | instid1(VALU_DEP_2)
	v_lshlrev_b64_e64 v[16:17], v16, -1
	v_lshlrev_b64_e64 v[78:79], v76, 1
	s_delay_alu instid0(VALU_DEP_2) | instskip(SKIP_1) | instid1(VALU_DEP_4)
	v_bfi_b32 v16, v16, 0, v14
	v_lshrrev_b64 v[14:15], v75, v[14:15]
	v_bfi_b32 v17, v17, 0, 0
	s_delay_alu instid0(VALU_DEP_1) | instskip(NEXT) | instid1(VALU_DEP_3)
	v_cmp_eq_u64_e64 s7, v[16:17], v[78:79]
	v_mov_b64_e32 v[16:17], v[14:15]
	s_and_saveexec_b32 s42, s7
; %bb.9881:                             ;   in Loop: Header=BB6_6801 Depth=2
	v_bfe_u32 v16, v14, 20, 1
	v_mov_b32_e32 v17, v53
	s_delay_alu instid0(VALU_DEP_1) | instskip(NEXT) | instid1(VALU_DEP_1)
	v_add_nc_u64_e32 v[16:17], v[14:15], v[16:17]
	v_add_nc_u64_e32 v[16:17], -1, v[16:17]
; %bb.9882:                             ;   in Loop: Header=BB6_6801 Depth=2
	s_or_b32 exec_lo, exec_lo, s42
	v_add_nc_u32_e32 v15, 0xffffff81, v61
	v_lshrrev_b32_e32 v17, 23, v14
	s_mov_b32 s7, exec_lo
	s_delay_alu instid0(VALU_DEP_2) | instskip(NEXT) | instid1(VALU_DEP_1)
	v_cndmask_b32_e64 v15, v15, 0xffffff82, vcc_lo
	v_add3_u32 v61, v75, v15, v17
	v_and_b32_e32 v15, 0xfffff, v16
                                        ; implicit-def: $vgpr16
	s_delay_alu instid0(VALU_DEP_1) | instskip(SKIP_1) | instid1(VALU_DEP_2)
	v_dual_add_nc_u32 v17, 6, v61 :: v_dual_add_nc_u32 v14, v15, v14
	v_mov_b32_e32 v15, v53
	v_cmpx_ne_u32_e32 0, v17
	s_xor_b32 s7, exec_lo, s7
; %bb.9883:                             ;   in Loop: Header=BB6_6801 Depth=2
	s_delay_alu instid0(VALU_DEP_2) | instskip(SKIP_1) | instid1(VALU_DEP_1)
	v_cmp_lt_u64_e32 vcc_lo, 0xffffff, v[14:15]
	v_add_nc_u32_e32 v16, 7, v61
	v_cndmask_b32_e32 v16, v17, v16, vcc_lo
	v_cndmask_b32_e64 v17, 0, 1, vcc_lo
	s_delay_alu instid0(VALU_DEP_1)
	v_lshrrev_b64 v[14:15], v17, v[14:15]
; %bb.9884:                             ;   in Loop: Header=BB6_6801 Depth=2
	s_and_not1_saveexec_b32 s7, s7
; %bb.9885:                             ;   in Loop: Header=BB6_6801 Depth=2
	s_delay_alu instid0(VALU_DEP_1)
	v_bfe_u32 v16, v14, 23, 1
; %bb.9886:                             ;   in Loop: Header=BB6_6801 Depth=2
	s_or_b32 exec_lo, exec_lo, s7
	s_delay_alu instid0(VALU_DEP_2) | instskip(NEXT) | instid1(VALU_DEP_2)
	v_lshrrev_b64 v[14:15], 20, v[14:15]
	v_cmp_gt_i32_e32 vcc_lo, 16, v16
	v_min_i32_e32 v17, 15, v16
	v_cmp_eq_u32_e64 s7, 0, v16
	s_delay_alu instid0(VALU_DEP_2) | instskip(SKIP_1) | instid1(VALU_DEP_2)
	v_dual_cndmask_b32 v15, 0, v15, vcc_lo :: v_dual_lshlrev_b32 v17, 3, v17
	v_cndmask_b32_e32 v14, 7, v14, vcc_lo
	v_and_b32_e32 v17, 0xf8, v17
	s_delay_alu instid0(VALU_DEP_2) | instskip(NEXT) | instid1(VALU_DEP_2)
	v_cmp_eq_u64_e32 vcc_lo, 0, v[14:15]
	v_and_or_b32 v14, v14, 7, v17
	s_and_b32 s7, s7, vcc_lo
	s_delay_alu instid0(VALU_DEP_1) | instid1(SALU_CYCLE_1)
	v_cndmask_b32_e64 v14, v14, 0, s7
	s_delay_alu instid0(VALU_DEP_1)
	v_or_b32_e32 v61, v14, v73
.LBB6_9887:                             ;   in Loop: Header=BB6_6801 Depth=2
	s_or_b32 exec_lo, exec_lo, s41
                                        ; implicit-def: $vgpr73
.LBB6_9888:                             ;   in Loop: Header=BB6_6801 Depth=2
	s_and_not1_saveexec_b32 s7, s40
; %bb.9889:                             ;   in Loop: Header=BB6_6801 Depth=2
	v_or_b32_e32 v61, 0x7e, v73
; %bb.9890:                             ;   in Loop: Header=BB6_6801 Depth=2
	s_or_b32 exec_lo, exec_lo, s7
                                        ; implicit-def: $vgpr15
.LBB6_9891:                             ;   in Loop: Header=BB6_6801 Depth=2
	s_and_not1_saveexec_b32 s7, s29
; %bb.9892:                             ;   in Loop: Header=BB6_6801 Depth=2
	v_or_b32_e32 v61, 0x7f, v15
; %bb.9893:                             ;   in Loop: Header=BB6_6801 Depth=2
	s_or_b32 exec_lo, exec_lo, s7
	v_dual_mov_b32 v16, 0 :: v_dual_mov_b32 v17, 0
	s_mov_b32 s7, exec_lo
	v_cmpx_lt_u32_e32 0xffffff, v52
	s_cbranch_execz .LBB6_9901
; %bb.9894:                             ;   in Loop: Header=BB6_6801 Depth=2
	v_lshrrev_b32_e32 v73, 24, v52
	v_bfrev_b32_e32 v17, 1
	s_mov_b32 s29, exec_lo
	s_delay_alu instid0(VALU_DEP_2)
	v_cmpx_ne_u32_e32 0x80, v73
	s_cbranch_execz .LBB6_9900
; %bb.9895:                             ;   in Loop: Header=BB6_6801 Depth=2
	v_bfe_u32 v14, v52, 24, 7
	v_mov_b32_e32 v17, 0x7f800001
	s_mov_b32 s40, exec_lo
	s_delay_alu instid0(VALU_DEP_2)
	v_cmpx_ne_u32_e32 0x7f, v14
	s_cbranch_execz .LBB6_9899
; %bb.9896:                             ;   in Loop: Header=BB6_6801 Depth=2
	v_dual_lshrrev_b32 v17, 3, v14 :: v_dual_bitop2_b32 v52, 7, v73 bitop3:0x40
	v_cmp_gt_u32_e32 vcc_lo, 8, v14
	s_delay_alu instid0(VALU_DEP_2)
	v_mov_b64_e32 v[14:15], v[52:53]
	s_and_saveexec_b32 s41, vcc_lo
; %bb.9897:                             ;   in Loop: Header=BB6_6801 Depth=2
	v_clz_i32_u32_e32 v14, v52
	s_delay_alu instid0(VALU_DEP_1) | instskip(NEXT) | instid1(VALU_DEP_1)
	v_min_u32_e32 v17, 32, v14
	v_subrev_nc_u32_e32 v14, 28, v17
	s_delay_alu instid0(VALU_DEP_1) | instskip(NEXT) | instid1(VALU_DEP_1)
	v_lshlrev_b64_e32 v[14:15], v14, v[52:53]
	v_dual_sub_nc_u32 v17, 29, v17 :: v_dual_bitop2_b32 v14, 7, v14 bitop3:0x40
; %bb.9898:                             ;   in Loop: Header=BB6_6801 Depth=2
	s_or_b32 exec_lo, exec_lo, s41
	s_delay_alu instid0(VALU_DEP_1) | instskip(NEXT) | instid1(VALU_DEP_2)
	v_dual_lshlrev_b32 v15, 24, v73 :: v_dual_lshlrev_b32 v14, 20, v14
	v_lshl_add_u32 v17, v17, 23, 0x3c000000
	s_delay_alu instid0(VALU_DEP_2) | instskip(NEXT) | instid1(VALU_DEP_1)
	v_and_b32_e32 v15, 0x80000000, v15
	v_or3_b32 v17, v14, v15, v17
.LBB6_9899:                             ;   in Loop: Header=BB6_6801 Depth=2
	s_or_b32 exec_lo, exec_lo, s40
.LBB6_9900:                             ;   in Loop: Header=BB6_6801 Depth=2
	s_delay_alu instid0(SALU_CYCLE_1)
	s_or_b32 exec_lo, exec_lo, s29
.LBB6_9901:                             ;   in Loop: Header=BB6_6801 Depth=2
	s_delay_alu instid0(SALU_CYCLE_1) | instskip(NEXT) | instid1(SALU_CYCLE_1)
	s_or_b32 exec_lo, exec_lo, s7
	s_mov_b32 s7, exec_lo
	v_cmpx_lt_u32_e32 0xffffff, v10
	s_cbranch_execz .LBB6_9909
; %bb.9902:                             ;   in Loop: Header=BB6_6801 Depth=2
	v_lshrrev_b32_e32 v73, 24, v10
	v_bfrev_b32_e32 v16, 1
	s_mov_b32 s29, exec_lo
	s_delay_alu instid0(VALU_DEP_2)
	v_cmpx_ne_u32_e32 0x80, v73
	s_cbranch_execz .LBB6_9908
; %bb.9903:                             ;   in Loop: Header=BB6_6801 Depth=2
	v_bfe_u32 v14, v10, 24, 7
	v_mov_b32_e32 v16, 0x7f800001
	s_mov_b32 s40, exec_lo
	s_delay_alu instid0(VALU_DEP_2)
	v_cmpx_ne_u32_e32 0x7f, v14
	s_cbranch_execz .LBB6_9907
; %bb.9904:                             ;   in Loop: Header=BB6_6801 Depth=2
	v_dual_lshrrev_b32 v16, 3, v14 :: v_dual_bitop2_b32 v52, 7, v73 bitop3:0x40
	v_cmp_gt_u32_e32 vcc_lo, 8, v14
	s_delay_alu instid0(VALU_DEP_2)
	v_mov_b64_e32 v[14:15], v[52:53]
	s_and_saveexec_b32 s41, vcc_lo
; %bb.9905:                             ;   in Loop: Header=BB6_6801 Depth=2
	v_clz_i32_u32_e32 v14, v52
	s_delay_alu instid0(VALU_DEP_1) | instskip(NEXT) | instid1(VALU_DEP_1)
	v_min_u32_e32 v16, 32, v14
	v_subrev_nc_u32_e32 v14, 28, v16
	s_delay_alu instid0(VALU_DEP_1) | instskip(NEXT) | instid1(VALU_DEP_1)
	v_lshlrev_b64_e32 v[14:15], v14, v[52:53]
	v_dual_sub_nc_u32 v16, 29, v16 :: v_dual_bitop2_b32 v14, 7, v14 bitop3:0x40
; %bb.9906:                             ;   in Loop: Header=BB6_6801 Depth=2
	s_or_b32 exec_lo, exec_lo, s41
	s_delay_alu instid0(VALU_DEP_1) | instskip(NEXT) | instid1(VALU_DEP_2)
	v_dual_lshlrev_b32 v15, 24, v73 :: v_dual_lshlrev_b32 v14, 20, v14
	v_lshl_add_u32 v16, v16, 23, 0x3c000000
	s_delay_alu instid0(VALU_DEP_2) | instskip(NEXT) | instid1(VALU_DEP_1)
	v_and_b32_e32 v15, 0x80000000, v15
	v_or3_b32 v16, v14, v15, v16
.LBB6_9907:                             ;   in Loop: Header=BB6_6801 Depth=2
	s_or_b32 exec_lo, exec_lo, s40
.LBB6_9908:                             ;   in Loop: Header=BB6_6801 Depth=2
	s_delay_alu instid0(SALU_CYCLE_1)
	s_or_b32 exec_lo, exec_lo, s29
.LBB6_9909:                             ;   in Loop: Header=BB6_6801 Depth=2
	s_delay_alu instid0(SALU_CYCLE_1) | instskip(NEXT) | instid1(VALU_DEP_1)
	s_or_b32 exec_lo, exec_lo, s7
	v_add_f32_e32 v14, v17, v16
                                        ; implicit-def: $vgpr73
	s_mov_b32 s7, exec_lo
	s_delay_alu instid0(VALU_DEP_1) | instskip(SKIP_1) | instid1(VALU_DEP_2)
	v_and_b32_e32 v52, 0x7f800000, v14
	v_lshrrev_b32_e32 v15, 24, v14
	v_cmpx_ne_u64_e32 0x7f800000, v[52:53]
	s_xor_b32 s29, exec_lo, s7
	s_cbranch_execz .LBB6_9923
; %bb.9910:                             ;   in Loop: Header=BB6_6801 Depth=2
	v_and_b32_e32 v52, 0x7fffffff, v14
	v_and_b32_e32 v75, 0x80, v15
                                        ; implicit-def: $vgpr73
	s_mov_b32 s7, exec_lo
	s_delay_alu instid0(VALU_DEP_2)
	v_cmpx_gt_u64_e32 0x43e00001, v[52:53]
	s_xor_b32 s40, exec_lo, s7
	s_cbranch_execz .LBB6_9920
; %bb.9911:                             ;   in Loop: Header=BB6_6801 Depth=2
	v_mov_b32_e32 v73, 0
	s_mov_b32 s41, exec_lo
	v_cmpx_ne_u32_e32 0, v14
	s_cbranch_execz .LBB6_9919
; %bb.9912:                             ;   in Loop: Header=BB6_6801 Depth=2
	v_bfe_u32 v73, v14, 23, 8
	v_and_b32_e32 v15, 0x7fffff, v14
	s_delay_alu instid0(VALU_DEP_2) | instskip(SKIP_2) | instid1(VALU_DEP_4)
	v_cmp_gt_u32_e64 s7, 0x7a, v73
	v_sub_nc_u32_e32 v14, 0x79, v73
	v_cmp_eq_u32_e32 vcc_lo, 0, v73
	v_or_b32_e32 v16, 0x800000, v15
	s_delay_alu instid0(VALU_DEP_1) | instskip(NEXT) | instid1(VALU_DEP_1)
	v_dual_cndmask_b32 v14, 0, v14, s7 :: v_dual_cndmask_b32 v52, v16, v15, vcc_lo
	v_cndmask_b32_e64 v76, v14, 0x78, vcc_lo
	s_delay_alu instid0(VALU_DEP_1) | instskip(NEXT) | instid1(VALU_DEP_1)
	v_dual_add_nc_u32 v14, 20, v76 :: v_dual_add_nc_u32 v16, 19, v76
	v_lshlrev_b64_e64 v[14:15], v14, -1
	s_delay_alu instid0(VALU_DEP_2) | instskip(NEXT) | instid1(VALU_DEP_2)
	v_lshlrev_b64_e64 v[16:17], v16, 1
	v_bfi_b32 v15, v15, 0, 0
	s_delay_alu instid0(VALU_DEP_3) | instskip(NEXT) | instid1(VALU_DEP_1)
	v_bfi_b32 v14, v14, 0, v52
	v_cmp_eq_u64_e64 s7, v[14:15], v[16:17]
	v_lshrrev_b64 v[14:15], v76, v[52:53]
	s_delay_alu instid0(VALU_DEP_1)
	v_mov_b64_e32 v[16:17], v[14:15]
	s_and_saveexec_b32 s42, s7
; %bb.9913:                             ;   in Loop: Header=BB6_6801 Depth=2
	v_bfe_u32 v52, v14, 20, 1
	s_delay_alu instid0(VALU_DEP_1) | instskip(NEXT) | instid1(VALU_DEP_1)
	v_add_nc_u64_e32 v[16:17], v[14:15], v[52:53]
	v_add_nc_u64_e32 v[16:17], -1, v[16:17]
; %bb.9914:                             ;   in Loop: Header=BB6_6801 Depth=2
	s_or_b32 exec_lo, exec_lo, s42
	v_add_nc_u32_e32 v15, 0xffffff81, v73
	v_lshrrev_b32_e32 v17, 23, v14
	s_mov_b32 s7, exec_lo
	s_delay_alu instid0(VALU_DEP_2) | instskip(NEXT) | instid1(VALU_DEP_1)
	v_cndmask_b32_e64 v15, v15, 0xffffff82, vcc_lo
	v_add3_u32 v73, v76, v15, v17
	v_and_b32_e32 v15, 0xfffff, v16
                                        ; implicit-def: $vgpr16
	s_delay_alu instid0(VALU_DEP_1) | instskip(NEXT) | instid1(VALU_DEP_1)
	v_dual_add_nc_u32 v17, 6, v73 :: v_dual_add_nc_u32 v52, v15, v14
                                        ; implicit-def: $vgpr14_vgpr15
	v_cmpx_ne_u32_e32 0, v17
	s_xor_b32 s7, exec_lo, s7
; %bb.9915:                             ;   in Loop: Header=BB6_6801 Depth=2
	s_delay_alu instid0(VALU_DEP_2) | instskip(SKIP_1) | instid1(VALU_DEP_1)
	v_cmp_lt_u64_e32 vcc_lo, 0xffffff, v[52:53]
	v_add_nc_u32_e32 v14, 7, v73
	v_cndmask_b32_e32 v16, v17, v14, vcc_lo
	v_cndmask_b32_e64 v14, 0, 1, vcc_lo
	s_delay_alu instid0(VALU_DEP_1)
	v_lshrrev_b64 v[14:15], v14, v[52:53]
; %bb.9916:                             ;   in Loop: Header=BB6_6801 Depth=2
	s_and_not1_saveexec_b32 s7, s7
; %bb.9917:                             ;   in Loop: Header=BB6_6801 Depth=2
	v_mov_b64_e32 v[14:15], v[52:53]
	v_bfe_u32 v16, v52, 23, 1
; %bb.9918:                             ;   in Loop: Header=BB6_6801 Depth=2
	s_or_b32 exec_lo, exec_lo, s7
	s_delay_alu instid0(VALU_DEP_2) | instskip(NEXT) | instid1(VALU_DEP_2)
	v_lshrrev_b64 v[14:15], 20, v[14:15]
	v_cmp_gt_i32_e32 vcc_lo, 16, v16
	v_min_i32_e32 v17, 15, v16
	v_cmp_eq_u32_e64 s7, 0, v16
	s_delay_alu instid0(VALU_DEP_2) | instskip(SKIP_1) | instid1(VALU_DEP_2)
	v_dual_cndmask_b32 v15, 0, v15, vcc_lo :: v_dual_lshlrev_b32 v17, 3, v17
	v_cndmask_b32_e32 v14, 7, v14, vcc_lo
	v_and_b32_e32 v17, 0xf8, v17
	s_delay_alu instid0(VALU_DEP_2) | instskip(NEXT) | instid1(VALU_DEP_2)
	v_cmp_eq_u64_e32 vcc_lo, 0, v[14:15]
	v_and_or_b32 v14, v14, 7, v17
	s_and_b32 s7, s7, vcc_lo
	s_delay_alu instid0(VALU_DEP_1) | instid1(SALU_CYCLE_1)
	v_cndmask_b32_e64 v14, v14, 0, s7
	s_delay_alu instid0(VALU_DEP_1)
	v_or_b32_e32 v73, v14, v75
.LBB6_9919:                             ;   in Loop: Header=BB6_6801 Depth=2
	s_or_b32 exec_lo, exec_lo, s41
                                        ; implicit-def: $vgpr75
.LBB6_9920:                             ;   in Loop: Header=BB6_6801 Depth=2
	s_and_not1_saveexec_b32 s7, s40
; %bb.9921:                             ;   in Loop: Header=BB6_6801 Depth=2
	v_or_b32_e32 v73, 0x7e, v75
; %bb.9922:                             ;   in Loop: Header=BB6_6801 Depth=2
	s_or_b32 exec_lo, exec_lo, s7
                                        ; implicit-def: $vgpr15
.LBB6_9923:                             ;   in Loop: Header=BB6_6801 Depth=2
	s_and_not1_saveexec_b32 s7, s29
; %bb.9924:                             ;   in Loop: Header=BB6_6801 Depth=2
	v_or_b32_e32 v73, 0x7f, v15
; %bb.9925:                             ;   in Loop: Header=BB6_6801 Depth=2
	s_or_b32 exec_lo, exec_lo, s7
	v_lshl_or_b32 v60, v60, 8, v57
	v_dual_lshlrev_b32 v14, 16, v63 :: v_dual_lshlrev_b32 v15, 24, v74
	s_mov_b32 s7, exec_lo
	s_delay_alu instid0(VALU_DEP_1)
	v_or3_b32 v52, v14, v15, v60
	v_dual_mov_b32 v14, 0 :: v_dual_mov_b32 v15, 0
	v_cmpx_ne_u32_e32 0, v57
	s_cbranch_execz .LBB6_9931
; %bb.9926:                             ;   in Loop: Header=BB6_6801 Depth=2
	v_bfrev_b32_e32 v15, 1
	s_mov_b32 s29, exec_lo
	v_cmpx_ne_u32_e32 0x80, v57
	s_cbranch_execz .LBB6_9930
; %bb.9927:                             ;   in Loop: Header=BB6_6801 Depth=2
	v_and_b32_e32 v16, 0x7f, v57
	v_mov_b32_e32 v15, 0x7f800001
	s_mov_b32 s40, exec_lo
	s_delay_alu instid0(VALU_DEP_2)
	v_cmpx_ne_u32_e32 0x7f, v16
	s_cbranch_execz .LBB6_9929
; %bb.9928:                             ;   in Loop: Header=BB6_6801 Depth=2
	v_dual_lshrrev_b32 v17, 3, v16 :: v_dual_bitop2_b32 v15, 7, v57 bitop3:0x40
	v_cmp_gt_u32_e32 vcc_lo, 8, v16
	s_delay_alu instid0(VALU_DEP_2) | instskip(NEXT) | instid1(VALU_DEP_1)
	v_clz_i32_u32_e32 v15, v15
	v_min_u32_e32 v15, 32, v15
	s_delay_alu instid0(VALU_DEP_1) | instskip(NEXT) | instid1(VALU_DEP_1)
	v_subrev_nc_u32_e32 v16, 28, v15
	v_dual_cndmask_b32 v16, 0, v16 :: v_dual_sub_nc_u32 v15, 29, v15
	s_delay_alu instid0(VALU_DEP_1) | instskip(NEXT) | instid1(VALU_DEP_2)
	v_cndmask_b32_e32 v15, v17, v15, vcc_lo
	v_lshlrev_b64_e32 v[16:17], v16, v[52:53]
	v_lshlrev_b32_e32 v17, 24, v52
	s_delay_alu instid0(VALU_DEP_1) | instskip(NEXT) | instid1(VALU_DEP_3)
	v_and_b32_e32 v17, 0x80000000, v17
	v_lshlrev_b32_e32 v16, 20, v16
	v_lshl_add_u32 v15, v15, 23, 0x3c000000
	s_delay_alu instid0(VALU_DEP_2) | instskip(NEXT) | instid1(VALU_DEP_1)
	v_and_b32_e32 v16, 0x700000, v16
	v_or3_b32 v15, v16, v17, v15
.LBB6_9929:                             ;   in Loop: Header=BB6_6801 Depth=2
	s_or_b32 exec_lo, exec_lo, s40
.LBB6_9930:                             ;   in Loop: Header=BB6_6801 Depth=2
	s_delay_alu instid0(SALU_CYCLE_1)
	s_or_b32 exec_lo, exec_lo, s29
.LBB6_9931:                             ;   in Loop: Header=BB6_6801 Depth=2
	s_delay_alu instid0(SALU_CYCLE_1) | instskip(SKIP_2) | instid1(VALU_DEP_1)
	s_or_b32 exec_lo, exec_lo, s7
	v_and_b32_e32 v16, 0xff, v11
	s_mov_b32 s7, exec_lo
	v_cmpx_ne_u16_e32 0, v16
	s_cbranch_execz .LBB6_9937
; %bb.9932:                             ;   in Loop: Header=BB6_6801 Depth=2
	v_bfrev_b32_e32 v14, 1
	s_mov_b32 s29, exec_lo
	v_cmpx_ne_u16_e32 0x80, v16
	s_cbranch_execz .LBB6_9936
; %bb.9933:                             ;   in Loop: Header=BB6_6801 Depth=2
	v_and_b32_e32 v16, 0x7f, v11
	v_mov_b32_e32 v14, 0x7f800001
	s_mov_b32 s40, exec_lo
	s_delay_alu instid0(VALU_DEP_2)
	v_cmpx_ne_u32_e32 0x7f, v16
	s_cbranch_execz .LBB6_9935
; %bb.9934:                             ;   in Loop: Header=BB6_6801 Depth=2
	v_dual_lshrrev_b32 v57, 3, v16 :: v_dual_bitop2_b32 v14, 7, v11 bitop3:0x40
	v_cmp_gt_u32_e32 vcc_lo, 8, v16
	v_mov_b32_e32 v16, v11
	s_delay_alu instid0(VALU_DEP_3) | instskip(NEXT) | instid1(VALU_DEP_1)
	v_clz_i32_u32_e32 v14, v14
	v_min_u32_e32 v14, 32, v14
	s_delay_alu instid0(VALU_DEP_1) | instskip(SKIP_2) | instid1(VALU_DEP_2)
	v_sub_nc_u32_e32 v63, 29, v14
	v_subrev_nc_u32_e32 v14, 28, v14
	v_mov_b32_e32 v17, v53
	v_dual_cndmask_b32 v57, v57, v63 :: v_dual_cndmask_b32 v14, 0, v14
	s_delay_alu instid0(VALU_DEP_1) | instskip(SKIP_1) | instid1(VALU_DEP_3)
	v_lshlrev_b64_e32 v[74:75], v14, v[16:17]
	v_lshlrev_b32_e32 v14, 24, v16
	v_lshl_add_u32 v17, v57, 23, 0x3c000000
	s_delay_alu instid0(VALU_DEP_2) | instskip(NEXT) | instid1(VALU_DEP_4)
	v_and_b32_e32 v14, 0x80000000, v14
	v_lshlrev_b32_e32 v16, 20, v74
	s_delay_alu instid0(VALU_DEP_1) | instskip(NEXT) | instid1(VALU_DEP_1)
	v_and_b32_e32 v16, 0x700000, v16
	v_or3_b32 v14, v16, v14, v17
.LBB6_9935:                             ;   in Loop: Header=BB6_6801 Depth=2
	s_or_b32 exec_lo, exec_lo, s40
.LBB6_9936:                             ;   in Loop: Header=BB6_6801 Depth=2
	s_delay_alu instid0(SALU_CYCLE_1)
	s_or_b32 exec_lo, exec_lo, s29
.LBB6_9937:                             ;   in Loop: Header=BB6_6801 Depth=2
	s_delay_alu instid0(SALU_CYCLE_1) | instskip(NEXT) | instid1(VALU_DEP_1)
	s_or_b32 exec_lo, exec_lo, s7
	v_dual_add_f32 v14, v15, v14 :: v_dual_mov_b32 v17, v53
                                        ; implicit-def: $vgpr57
	s_mov_b32 s7, exec_lo
	s_delay_alu instid0(VALU_DEP_1) | instskip(SKIP_1) | instid1(VALU_DEP_2)
	v_and_b32_e32 v16, 0x7f800000, v14
	v_lshrrev_b32_e32 v15, 24, v14
	v_cmpx_ne_u64_e32 0x7f800000, v[16:17]
	s_xor_b32 s29, exec_lo, s7
	s_cbranch_execz .LBB6_9951
; %bb.9938:                             ;   in Loop: Header=BB6_6801 Depth=2
	v_and_b32_e32 v16, 0x7fffffff, v14
	v_mov_b32_e32 v17, v53
	v_and_b32_e32 v63, 0x80, v15
                                        ; implicit-def: $vgpr57
	s_mov_b32 s7, exec_lo
	s_delay_alu instid0(VALU_DEP_2)
	v_cmpx_gt_u64_e32 0x43e00001, v[16:17]
	s_xor_b32 s40, exec_lo, s7
	s_cbranch_execz .LBB6_9948
; %bb.9939:                             ;   in Loop: Header=BB6_6801 Depth=2
	v_mov_b32_e32 v57, 0
	s_mov_b32 s41, exec_lo
	v_cmpx_ne_u32_e32 0, v14
	s_cbranch_execz .LBB6_9947
; %bb.9940:                             ;   in Loop: Header=BB6_6801 Depth=2
	v_bfe_u32 v57, v14, 23, 8
	v_and_b32_e32 v15, 0x7fffff, v14
	s_delay_alu instid0(VALU_DEP_2) | instskip(SKIP_2) | instid1(VALU_DEP_4)
	v_cmp_gt_u32_e64 s7, 0x7a, v57
	v_sub_nc_u32_e32 v14, 0x79, v57
	v_cmp_eq_u32_e32 vcc_lo, 0, v57
	v_or_b32_e32 v16, 0x800000, v15
	s_delay_alu instid0(VALU_DEP_3) | instskip(NEXT) | instid1(VALU_DEP_1)
	v_cndmask_b32_e64 v14, 0, v14, s7
	v_cndmask_b32_e64 v74, v14, 0x78, vcc_lo
	s_delay_alu instid0(VALU_DEP_3) | instskip(NEXT) | instid1(VALU_DEP_2)
	v_dual_cndmask_b32 v14, v16, v15 :: v_dual_mov_b32 v15, v53
	v_dual_add_nc_u32 v16, 20, v74 :: v_dual_add_nc_u32 v75, 19, v74
	s_delay_alu instid0(VALU_DEP_1) | instskip(NEXT) | instid1(VALU_DEP_2)
	v_lshlrev_b64_e64 v[16:17], v16, -1
	v_lshlrev_b64_e64 v[78:79], v75, 1
	s_delay_alu instid0(VALU_DEP_2) | instskip(SKIP_1) | instid1(VALU_DEP_4)
	v_bfi_b32 v16, v16, 0, v14
	v_lshrrev_b64 v[14:15], v74, v[14:15]
	v_bfi_b32 v17, v17, 0, 0
	s_delay_alu instid0(VALU_DEP_1) | instskip(NEXT) | instid1(VALU_DEP_3)
	v_cmp_eq_u64_e64 s7, v[16:17], v[78:79]
	v_mov_b64_e32 v[16:17], v[14:15]
	s_and_saveexec_b32 s42, s7
; %bb.9941:                             ;   in Loop: Header=BB6_6801 Depth=2
	v_bfe_u32 v16, v14, 20, 1
	v_mov_b32_e32 v17, v53
	s_delay_alu instid0(VALU_DEP_1) | instskip(NEXT) | instid1(VALU_DEP_1)
	v_add_nc_u64_e32 v[16:17], v[14:15], v[16:17]
	v_add_nc_u64_e32 v[16:17], -1, v[16:17]
; %bb.9942:                             ;   in Loop: Header=BB6_6801 Depth=2
	s_or_b32 exec_lo, exec_lo, s42
	v_add_nc_u32_e32 v15, 0xffffff81, v57
	v_lshrrev_b32_e32 v17, 23, v14
	s_mov_b32 s7, exec_lo
	s_delay_alu instid0(VALU_DEP_2) | instskip(NEXT) | instid1(VALU_DEP_1)
	v_cndmask_b32_e64 v15, v15, 0xffffff82, vcc_lo
	v_add3_u32 v57, v74, v15, v17
	v_and_b32_e32 v15, 0xfffff, v16
                                        ; implicit-def: $vgpr16
	s_delay_alu instid0(VALU_DEP_1) | instskip(SKIP_1) | instid1(VALU_DEP_2)
	v_dual_add_nc_u32 v17, 6, v57 :: v_dual_add_nc_u32 v14, v15, v14
	v_mov_b32_e32 v15, v53
	v_cmpx_ne_u32_e32 0, v17
	s_xor_b32 s7, exec_lo, s7
; %bb.9943:                             ;   in Loop: Header=BB6_6801 Depth=2
	s_delay_alu instid0(VALU_DEP_2) | instskip(SKIP_1) | instid1(VALU_DEP_1)
	v_cmp_lt_u64_e32 vcc_lo, 0xffffff, v[14:15]
	v_add_nc_u32_e32 v16, 7, v57
	v_cndmask_b32_e32 v16, v17, v16, vcc_lo
	v_cndmask_b32_e64 v17, 0, 1, vcc_lo
	s_delay_alu instid0(VALU_DEP_1)
	v_lshrrev_b64 v[14:15], v17, v[14:15]
; %bb.9944:                             ;   in Loop: Header=BB6_6801 Depth=2
	s_and_not1_saveexec_b32 s7, s7
; %bb.9945:                             ;   in Loop: Header=BB6_6801 Depth=2
	s_delay_alu instid0(VALU_DEP_1)
	v_bfe_u32 v16, v14, 23, 1
; %bb.9946:                             ;   in Loop: Header=BB6_6801 Depth=2
	s_or_b32 exec_lo, exec_lo, s7
	s_delay_alu instid0(VALU_DEP_2) | instskip(NEXT) | instid1(VALU_DEP_2)
	v_lshrrev_b64 v[14:15], 20, v[14:15]
	v_cmp_gt_i32_e32 vcc_lo, 16, v16
	v_min_i32_e32 v17, 15, v16
	v_cmp_eq_u32_e64 s7, 0, v16
	s_delay_alu instid0(VALU_DEP_2) | instskip(SKIP_1) | instid1(VALU_DEP_2)
	v_dual_cndmask_b32 v15, 0, v15, vcc_lo :: v_dual_lshlrev_b32 v17, 3, v17
	v_cndmask_b32_e32 v14, 7, v14, vcc_lo
	v_and_b32_e32 v17, 0xf8, v17
	s_delay_alu instid0(VALU_DEP_2) | instskip(NEXT) | instid1(VALU_DEP_2)
	v_cmp_eq_u64_e32 vcc_lo, 0, v[14:15]
	v_and_or_b32 v14, v14, 7, v17
	s_and_b32 s7, s7, vcc_lo
	s_delay_alu instid0(VALU_DEP_1) | instid1(SALU_CYCLE_1)
	v_cndmask_b32_e64 v14, v14, 0, s7
	s_delay_alu instid0(VALU_DEP_1)
	v_or_b32_e32 v57, v14, v63
.LBB6_9947:                             ;   in Loop: Header=BB6_6801 Depth=2
	s_or_b32 exec_lo, exec_lo, s41
                                        ; implicit-def: $vgpr63
.LBB6_9948:                             ;   in Loop: Header=BB6_6801 Depth=2
	s_and_not1_saveexec_b32 s7, s40
; %bb.9949:                             ;   in Loop: Header=BB6_6801 Depth=2
	v_or_b32_e32 v57, 0x7e, v63
; %bb.9950:                             ;   in Loop: Header=BB6_6801 Depth=2
	s_or_b32 exec_lo, exec_lo, s7
                                        ; implicit-def: $vgpr15
.LBB6_9951:                             ;   in Loop: Header=BB6_6801 Depth=2
	s_and_not1_saveexec_b32 s7, s29
; %bb.9952:                             ;   in Loop: Header=BB6_6801 Depth=2
	v_or_b32_e32 v57, 0x7f, v15
; %bb.9953:                             ;   in Loop: Header=BB6_6801 Depth=2
	s_or_b32 exec_lo, exec_lo, s7
	v_lshrrev_b16 v14, 8, v60
	v_dual_mov_b32 v16, 0 :: v_dual_mov_b32 v17, 0
	s_mov_b32 s7, exec_lo
	s_delay_alu instid0(VALU_DEP_2)
	v_cmpx_ne_u16_e32 0, v14
	s_cbranch_execz .LBB6_9961
; %bb.9954:                             ;   in Loop: Header=BB6_6801 Depth=2
	v_bfrev_b32_e32 v17, 1
	s_mov_b32 s29, exec_lo
	v_cmpx_ne_u16_e32 0x80, v14
	s_cbranch_execz .LBB6_9960
; %bb.9955:                             ;   in Loop: Header=BB6_6801 Depth=2
	v_and_b32_e32 v14, 0xffff, v14
	v_mov_b32_e32 v17, 0x7f800001
	s_mov_b32 s40, exec_lo
	s_delay_alu instid0(VALU_DEP_2) | instskip(NEXT) | instid1(VALU_DEP_1)
	v_and_b32_e32 v63, 0x7f, v14
	v_cmpx_ne_u32_e32 0x7f, v63
	s_cbranch_execz .LBB6_9959
; %bb.9956:                             ;   in Loop: Header=BB6_6801 Depth=2
	v_dual_mov_b32 v15, v53 :: v_dual_bitop2_b32 v14, 7, v14 bitop3:0x40
	v_lshrrev_b32_e32 v17, 3, v63
	s_mov_b32 s41, exec_lo
	v_cmpx_gt_u32_e32 8, v63
; %bb.9957:                             ;   in Loop: Header=BB6_6801 Depth=2
	s_delay_alu instid0(VALU_DEP_3) | instskip(NEXT) | instid1(VALU_DEP_1)
	v_clz_i32_u32_e32 v17, v14
	v_min_u32_e32 v17, 32, v17
	s_delay_alu instid0(VALU_DEP_1) | instskip(NEXT) | instid1(VALU_DEP_1)
	v_subrev_nc_u32_e32 v63, 28, v17
	v_lshlrev_b64_e32 v[14:15], v63, v[14:15]
	s_delay_alu instid0(VALU_DEP_1)
	v_dual_sub_nc_u32 v17, 29, v17 :: v_dual_bitop2_b32 v14, 7, v14 bitop3:0x40
; %bb.9958:                             ;   in Loop: Header=BB6_6801 Depth=2
	s_or_b32 exec_lo, exec_lo, s41
	s_delay_alu instid0(VALU_DEP_1) | instskip(NEXT) | instid1(VALU_DEP_2)
	v_dual_lshlrev_b32 v15, 16, v60 :: v_dual_lshlrev_b32 v14, 20, v14
	v_lshl_add_u32 v17, v17, 23, 0x3c000000
	s_delay_alu instid0(VALU_DEP_2) | instskip(NEXT) | instid1(VALU_DEP_1)
	v_and_b32_e32 v15, 0x80000000, v15
	v_or3_b32 v17, v14, v15, v17
.LBB6_9959:                             ;   in Loop: Header=BB6_6801 Depth=2
	s_or_b32 exec_lo, exec_lo, s40
.LBB6_9960:                             ;   in Loop: Header=BB6_6801 Depth=2
	s_delay_alu instid0(SALU_CYCLE_1)
	s_or_b32 exec_lo, exec_lo, s29
.LBB6_9961:                             ;   in Loop: Header=BB6_6801 Depth=2
	s_delay_alu instid0(SALU_CYCLE_1) | instskip(SKIP_2) | instid1(VALU_DEP_1)
	s_or_b32 exec_lo, exec_lo, s7
	v_lshrrev_b16 v14, 8, v11
	s_mov_b32 s7, exec_lo
	v_cmpx_ne_u16_e32 0, v14
	s_cbranch_execz .LBB6_9969
; %bb.9962:                             ;   in Loop: Header=BB6_6801 Depth=2
	v_bfrev_b32_e32 v16, 1
	s_mov_b32 s29, exec_lo
	v_cmpx_ne_u16_e32 0x80, v14
	s_cbranch_execz .LBB6_9968
; %bb.9963:                             ;   in Loop: Header=BB6_6801 Depth=2
	v_and_b32_e32 v14, 0xffff, v14
	v_mov_b32_e32 v16, 0x7f800001
	s_mov_b32 s40, exec_lo
	s_delay_alu instid0(VALU_DEP_2) | instskip(NEXT) | instid1(VALU_DEP_1)
	v_and_b32_e32 v60, 0x7f, v14
	v_cmpx_ne_u32_e32 0x7f, v60
	s_cbranch_execz .LBB6_9967
; %bb.9964:                             ;   in Loop: Header=BB6_6801 Depth=2
	v_dual_mov_b32 v15, v53 :: v_dual_bitop2_b32 v14, 7, v14 bitop3:0x40
	v_lshrrev_b32_e32 v16, 3, v60
	s_mov_b32 s41, exec_lo
	v_cmpx_gt_u32_e32 8, v60
; %bb.9965:                             ;   in Loop: Header=BB6_6801 Depth=2
	s_delay_alu instid0(VALU_DEP_3) | instskip(NEXT) | instid1(VALU_DEP_1)
	v_clz_i32_u32_e32 v16, v14
	v_min_u32_e32 v16, 32, v16
	s_delay_alu instid0(VALU_DEP_1) | instskip(NEXT) | instid1(VALU_DEP_1)
	v_subrev_nc_u32_e32 v60, 28, v16
	v_lshlrev_b64_e32 v[14:15], v60, v[14:15]
	s_delay_alu instid0(VALU_DEP_1)
	v_dual_sub_nc_u32 v16, 29, v16 :: v_dual_bitop2_b32 v14, 7, v14 bitop3:0x40
; %bb.9966:                             ;   in Loop: Header=BB6_6801 Depth=2
	s_or_b32 exec_lo, exec_lo, s41
	s_delay_alu instid0(VALU_DEP_1) | instskip(NEXT) | instid1(VALU_DEP_2)
	v_dual_lshlrev_b32 v15, 16, v11 :: v_dual_lshlrev_b32 v14, 20, v14
	v_lshl_add_u32 v16, v16, 23, 0x3c000000
	s_delay_alu instid0(VALU_DEP_2) | instskip(NEXT) | instid1(VALU_DEP_1)
	v_and_b32_e32 v15, 0x80000000, v15
	v_or3_b32 v16, v14, v15, v16
.LBB6_9967:                             ;   in Loop: Header=BB6_6801 Depth=2
	s_or_b32 exec_lo, exec_lo, s40
.LBB6_9968:                             ;   in Loop: Header=BB6_6801 Depth=2
	s_delay_alu instid0(SALU_CYCLE_1)
	s_or_b32 exec_lo, exec_lo, s29
.LBB6_9969:                             ;   in Loop: Header=BB6_6801 Depth=2
	s_delay_alu instid0(SALU_CYCLE_1) | instskip(NEXT) | instid1(VALU_DEP_1)
	s_or_b32 exec_lo, exec_lo, s7
	v_add_f32_e32 v14, v17, v16
	v_mov_b32_e32 v17, v53
                                        ; implicit-def: $vgpr60
	s_mov_b32 s7, exec_lo
	s_delay_alu instid0(VALU_DEP_2) | instskip(SKIP_1) | instid1(VALU_DEP_2)
	v_and_b32_e32 v16, 0x7f800000, v14
	v_lshrrev_b32_e32 v15, 24, v14
	v_cmpx_ne_u64_e32 0x7f800000, v[16:17]
	s_xor_b32 s29, exec_lo, s7
	s_cbranch_execz .LBB6_9983
; %bb.9970:                             ;   in Loop: Header=BB6_6801 Depth=2
	v_and_b32_e32 v16, 0x7fffffff, v14
	v_mov_b32_e32 v17, v53
	v_and_b32_e32 v63, 0x80, v15
                                        ; implicit-def: $vgpr60
	s_mov_b32 s7, exec_lo
	s_delay_alu instid0(VALU_DEP_2)
	v_cmpx_gt_u64_e32 0x43e00001, v[16:17]
	s_xor_b32 s40, exec_lo, s7
	s_cbranch_execz .LBB6_9980
; %bb.9971:                             ;   in Loop: Header=BB6_6801 Depth=2
	v_mov_b32_e32 v60, 0
	s_mov_b32 s41, exec_lo
	v_cmpx_ne_u32_e32 0, v14
	s_cbranch_execz .LBB6_9979
; %bb.9972:                             ;   in Loop: Header=BB6_6801 Depth=2
	v_bfe_u32 v60, v14, 23, 8
	v_and_b32_e32 v15, 0x7fffff, v14
	s_delay_alu instid0(VALU_DEP_2) | instskip(SKIP_2) | instid1(VALU_DEP_4)
	v_cmp_gt_u32_e64 s7, 0x7a, v60
	v_sub_nc_u32_e32 v14, 0x79, v60
	v_cmp_eq_u32_e32 vcc_lo, 0, v60
	v_or_b32_e32 v16, 0x800000, v15
	s_delay_alu instid0(VALU_DEP_3) | instskip(NEXT) | instid1(VALU_DEP_1)
	v_cndmask_b32_e64 v14, 0, v14, s7
	v_cndmask_b32_e64 v74, v14, 0x78, vcc_lo
	s_delay_alu instid0(VALU_DEP_3) | instskip(NEXT) | instid1(VALU_DEP_2)
	v_dual_cndmask_b32 v14, v16, v15 :: v_dual_mov_b32 v15, v53
	v_dual_add_nc_u32 v16, 20, v74 :: v_dual_add_nc_u32 v75, 19, v74
	s_delay_alu instid0(VALU_DEP_1) | instskip(NEXT) | instid1(VALU_DEP_2)
	v_lshlrev_b64_e64 v[16:17], v16, -1
	v_lshlrev_b64_e64 v[78:79], v75, 1
	s_delay_alu instid0(VALU_DEP_2) | instskip(SKIP_1) | instid1(VALU_DEP_4)
	v_bfi_b32 v16, v16, 0, v14
	v_lshrrev_b64 v[14:15], v74, v[14:15]
	v_bfi_b32 v17, v17, 0, 0
	s_delay_alu instid0(VALU_DEP_1) | instskip(NEXT) | instid1(VALU_DEP_3)
	v_cmp_eq_u64_e64 s7, v[16:17], v[78:79]
	v_mov_b64_e32 v[16:17], v[14:15]
	s_and_saveexec_b32 s42, s7
; %bb.9973:                             ;   in Loop: Header=BB6_6801 Depth=2
	v_bfe_u32 v16, v14, 20, 1
	v_mov_b32_e32 v17, v53
	s_delay_alu instid0(VALU_DEP_1) | instskip(NEXT) | instid1(VALU_DEP_1)
	v_add_nc_u64_e32 v[16:17], v[14:15], v[16:17]
	v_add_nc_u64_e32 v[16:17], -1, v[16:17]
; %bb.9974:                             ;   in Loop: Header=BB6_6801 Depth=2
	s_or_b32 exec_lo, exec_lo, s42
	v_add_nc_u32_e32 v15, 0xffffff81, v60
	v_lshrrev_b32_e32 v17, 23, v14
	s_mov_b32 s7, exec_lo
	s_delay_alu instid0(VALU_DEP_2) | instskip(NEXT) | instid1(VALU_DEP_1)
	v_cndmask_b32_e64 v15, v15, 0xffffff82, vcc_lo
	v_add3_u32 v60, v74, v15, v17
	v_and_b32_e32 v15, 0xfffff, v16
                                        ; implicit-def: $vgpr16
	s_delay_alu instid0(VALU_DEP_1) | instskip(SKIP_1) | instid1(VALU_DEP_2)
	v_dual_add_nc_u32 v17, 6, v60 :: v_dual_add_nc_u32 v14, v15, v14
	v_mov_b32_e32 v15, v53
	v_cmpx_ne_u32_e32 0, v17
	s_xor_b32 s7, exec_lo, s7
; %bb.9975:                             ;   in Loop: Header=BB6_6801 Depth=2
	s_delay_alu instid0(VALU_DEP_2) | instskip(SKIP_1) | instid1(VALU_DEP_1)
	v_cmp_lt_u64_e32 vcc_lo, 0xffffff, v[14:15]
	v_add_nc_u32_e32 v16, 7, v60
	v_cndmask_b32_e32 v16, v17, v16, vcc_lo
	v_cndmask_b32_e64 v17, 0, 1, vcc_lo
	s_delay_alu instid0(VALU_DEP_1)
	v_lshrrev_b64 v[14:15], v17, v[14:15]
; %bb.9976:                             ;   in Loop: Header=BB6_6801 Depth=2
	s_and_not1_saveexec_b32 s7, s7
; %bb.9977:                             ;   in Loop: Header=BB6_6801 Depth=2
	s_delay_alu instid0(VALU_DEP_1)
	v_bfe_u32 v16, v14, 23, 1
; %bb.9978:                             ;   in Loop: Header=BB6_6801 Depth=2
	s_or_b32 exec_lo, exec_lo, s7
	s_delay_alu instid0(VALU_DEP_2) | instskip(NEXT) | instid1(VALU_DEP_2)
	v_lshrrev_b64 v[14:15], 20, v[14:15]
	v_cmp_gt_i32_e32 vcc_lo, 16, v16
	v_min_i32_e32 v17, 15, v16
	v_cmp_eq_u32_e64 s7, 0, v16
	s_delay_alu instid0(VALU_DEP_2) | instskip(SKIP_1) | instid1(VALU_DEP_2)
	v_dual_cndmask_b32 v15, 0, v15, vcc_lo :: v_dual_lshlrev_b32 v17, 3, v17
	v_cndmask_b32_e32 v14, 7, v14, vcc_lo
	v_and_b32_e32 v17, 0xf8, v17
	s_delay_alu instid0(VALU_DEP_2) | instskip(NEXT) | instid1(VALU_DEP_2)
	v_cmp_eq_u64_e32 vcc_lo, 0, v[14:15]
	v_and_or_b32 v14, v14, 7, v17
	s_and_b32 s7, s7, vcc_lo
	s_delay_alu instid0(VALU_DEP_1) | instid1(SALU_CYCLE_1)
	v_cndmask_b32_e64 v14, v14, 0, s7
	s_delay_alu instid0(VALU_DEP_1)
	v_or_b32_e32 v60, v14, v63
.LBB6_9979:                             ;   in Loop: Header=BB6_6801 Depth=2
	s_or_b32 exec_lo, exec_lo, s41
                                        ; implicit-def: $vgpr63
.LBB6_9980:                             ;   in Loop: Header=BB6_6801 Depth=2
	s_and_not1_saveexec_b32 s7, s40
; %bb.9981:                             ;   in Loop: Header=BB6_6801 Depth=2
	v_or_b32_e32 v60, 0x7e, v63
; %bb.9982:                             ;   in Loop: Header=BB6_6801 Depth=2
	s_or_b32 exec_lo, exec_lo, s7
                                        ; implicit-def: $vgpr15
.LBB6_9983:                             ;   in Loop: Header=BB6_6801 Depth=2
	s_and_not1_saveexec_b32 s7, s29
; %bb.9984:                             ;   in Loop: Header=BB6_6801 Depth=2
	v_or_b32_e32 v60, 0x7f, v15
; %bb.9985:                             ;   in Loop: Header=BB6_6801 Depth=2
	s_or_b32 exec_lo, exec_lo, s7
	v_dual_mov_b32 v16, 0 :: v_dual_lshrrev_b32 v63, 16, v52
	v_mov_b32_e32 v17, 0
	s_mov_b32 s7, exec_lo
	s_delay_alu instid0(VALU_DEP_2) | instskip(NEXT) | instid1(VALU_DEP_1)
	v_and_b32_e32 v14, 0xff, v63
	v_cmpx_ne_u16_e32 0, v14
	s_cbranch_execz .LBB6_9993
; %bb.9986:                             ;   in Loop: Header=BB6_6801 Depth=2
	v_bfrev_b32_e32 v17, 1
	s_mov_b32 s29, exec_lo
	v_cmpx_ne_u16_e32 0x80, v14
	s_cbranch_execz .LBB6_9992
; %bb.9987:                             ;   in Loop: Header=BB6_6801 Depth=2
	v_bfe_u32 v74, v52, 16, 7
	v_mov_b32_e32 v17, 0x7f800001
	s_mov_b32 s40, exec_lo
	s_delay_alu instid0(VALU_DEP_2)
	v_cmpx_ne_u32_e32 0x7f, v74
	s_cbranch_execz .LBB6_9991
; %bb.9988:                             ;   in Loop: Header=BB6_6801 Depth=2
	v_dual_mov_b32 v15, v53 :: v_dual_bitop2_b32 v14, 7, v63 bitop3:0x40
	v_lshrrev_b32_e32 v17, 3, v74
	s_mov_b32 s41, exec_lo
	v_cmpx_gt_u32_e32 8, v74
; %bb.9989:                             ;   in Loop: Header=BB6_6801 Depth=2
	s_delay_alu instid0(VALU_DEP_3) | instskip(NEXT) | instid1(VALU_DEP_1)
	v_clz_i32_u32_e32 v17, v14
	v_min_u32_e32 v17, 32, v17
	s_delay_alu instid0(VALU_DEP_1) | instskip(NEXT) | instid1(VALU_DEP_1)
	v_subrev_nc_u32_e32 v74, 28, v17
	v_lshlrev_b64_e32 v[14:15], v74, v[14:15]
	s_delay_alu instid0(VALU_DEP_1)
	v_dual_sub_nc_u32 v17, 29, v17 :: v_dual_bitop2_b32 v14, 7, v14 bitop3:0x40
; %bb.9990:                             ;   in Loop: Header=BB6_6801 Depth=2
	s_or_b32 exec_lo, exec_lo, s41
	s_delay_alu instid0(VALU_DEP_1) | instskip(NEXT) | instid1(VALU_DEP_2)
	v_dual_lshlrev_b32 v15, 24, v63 :: v_dual_lshlrev_b32 v14, 20, v14
	v_lshl_add_u32 v17, v17, 23, 0x3c000000
	s_delay_alu instid0(VALU_DEP_2) | instskip(NEXT) | instid1(VALU_DEP_1)
	v_and_b32_e32 v15, 0x80000000, v15
	v_or3_b32 v17, v14, v15, v17
.LBB6_9991:                             ;   in Loop: Header=BB6_6801 Depth=2
	s_or_b32 exec_lo, exec_lo, s40
.LBB6_9992:                             ;   in Loop: Header=BB6_6801 Depth=2
	s_delay_alu instid0(SALU_CYCLE_1)
	s_or_b32 exec_lo, exec_lo, s29
.LBB6_9993:                             ;   in Loop: Header=BB6_6801 Depth=2
	s_delay_alu instid0(SALU_CYCLE_1) | instskip(SKIP_2) | instid1(VALU_DEP_1)
	s_or_b32 exec_lo, exec_lo, s7
	v_lshrrev_b32_e32 v14, 16, v11
	s_mov_b32 s7, exec_lo
	v_and_b32_e32 v15, 0xff, v14
	s_delay_alu instid0(VALU_DEP_1)
	v_cmpx_ne_u16_e32 0, v15
	s_cbranch_execz .LBB6_10001
; %bb.9994:                             ;   in Loop: Header=BB6_6801 Depth=2
	v_bfrev_b32_e32 v16, 1
	s_mov_b32 s29, exec_lo
	v_cmpx_ne_u16_e32 0x80, v15
	s_cbranch_execz .LBB6_10000
; %bb.9995:                             ;   in Loop: Header=BB6_6801 Depth=2
	v_bfe_u32 v63, v11, 16, 7
	v_mov_b32_e32 v16, 0x7f800001
	s_mov_b32 s40, exec_lo
	s_delay_alu instid0(VALU_DEP_2)
	v_cmpx_ne_u32_e32 0x7f, v63
	s_cbranch_execz .LBB6_9999
; %bb.9996:                             ;   in Loop: Header=BB6_6801 Depth=2
	v_dual_mov_b32 v15, v53 :: v_dual_bitop2_b32 v14, 7, v14 bitop3:0x40
	v_lshrrev_b32_e32 v16, 3, v63
	s_mov_b32 s41, exec_lo
	v_cmpx_gt_u32_e32 8, v63
; %bb.9997:                             ;   in Loop: Header=BB6_6801 Depth=2
	s_delay_alu instid0(VALU_DEP_3) | instskip(NEXT) | instid1(VALU_DEP_1)
	v_clz_i32_u32_e32 v16, v14
	v_min_u32_e32 v16, 32, v16
	s_delay_alu instid0(VALU_DEP_1) | instskip(NEXT) | instid1(VALU_DEP_1)
	v_subrev_nc_u32_e32 v63, 28, v16
	v_lshlrev_b64_e32 v[14:15], v63, v[14:15]
	s_delay_alu instid0(VALU_DEP_1)
	v_dual_sub_nc_u32 v16, 29, v16 :: v_dual_bitop2_b32 v14, 7, v14 bitop3:0x40
; %bb.9998:                             ;   in Loop: Header=BB6_6801 Depth=2
	s_or_b32 exec_lo, exec_lo, s41
	s_delay_alu instid0(VALU_DEP_1) | instskip(NEXT) | instid1(VALU_DEP_2)
	v_dual_lshlrev_b32 v15, 8, v11 :: v_dual_lshlrev_b32 v14, 20, v14
	v_lshl_add_u32 v16, v16, 23, 0x3c000000
	s_delay_alu instid0(VALU_DEP_2) | instskip(NEXT) | instid1(VALU_DEP_1)
	v_and_b32_e32 v15, 0x80000000, v15
	v_or3_b32 v16, v14, v15, v16
.LBB6_9999:                             ;   in Loop: Header=BB6_6801 Depth=2
	s_or_b32 exec_lo, exec_lo, s40
.LBB6_10000:                            ;   in Loop: Header=BB6_6801 Depth=2
	s_delay_alu instid0(SALU_CYCLE_1)
	s_or_b32 exec_lo, exec_lo, s29
.LBB6_10001:                            ;   in Loop: Header=BB6_6801 Depth=2
	s_delay_alu instid0(SALU_CYCLE_1) | instskip(NEXT) | instid1(VALU_DEP_1)
	s_or_b32 exec_lo, exec_lo, s7
	v_add_f32_e32 v14, v17, v16
	s_delay_alu instid0(VALU_DEP_1) | instskip(SKIP_1) | instid1(VALU_DEP_1)
	v_dual_mov_b32 v17, v53 :: v_dual_lshrrev_b32 v15, 24, v14
	v_and_b32_e32 v16, 0x7f800000, v14
	v_cmp_ne_u64_e32 vcc_lo, 0x7f800000, v[16:17]
                                        ; implicit-def: $vgpr16
	s_and_saveexec_b32 s7, vcc_lo
	s_delay_alu instid0(SALU_CYCLE_1)
	s_xor_b32 s29, exec_lo, s7
	s_cbranch_execz .LBB6_10015
; %bb.10002:                            ;   in Loop: Header=BB6_6801 Depth=2
	v_and_b32_e32 v16, 0x7fffffff, v14
	v_mov_b32_e32 v17, v53
	v_and_b32_e32 v63, 0x80, v15
	s_delay_alu instid0(VALU_DEP_2) | instskip(SKIP_1) | instid1(SALU_CYCLE_1)
	v_cmp_gt_u64_e32 vcc_lo, 0x43e00001, v[16:17]
                                        ; implicit-def: $vgpr16
	s_and_saveexec_b32 s7, vcc_lo
	s_xor_b32 s40, exec_lo, s7
	s_cbranch_execz .LBB6_10012
; %bb.10003:                            ;   in Loop: Header=BB6_6801 Depth=2
	v_mov_b32_e32 v16, 0
	s_mov_b32 s41, exec_lo
	v_cmpx_ne_u32_e32 0, v14
	s_cbranch_execz .LBB6_10011
; %bb.10004:                            ;   in Loop: Header=BB6_6801 Depth=2
	v_bfe_u32 v74, v14, 23, 8
	v_and_b32_e32 v15, 0x7fffff, v14
	s_delay_alu instid0(VALU_DEP_2) | instskip(SKIP_2) | instid1(VALU_DEP_4)
	v_cmp_gt_u32_e64 s7, 0x7a, v74
	v_sub_nc_u32_e32 v14, 0x79, v74
	v_cmp_eq_u32_e32 vcc_lo, 0, v74
	v_or_b32_e32 v16, 0x800000, v15
	s_delay_alu instid0(VALU_DEP_3) | instskip(NEXT) | instid1(VALU_DEP_1)
	v_cndmask_b32_e64 v14, 0, v14, s7
	v_cndmask_b32_e64 v75, v14, 0x78, vcc_lo
	s_delay_alu instid0(VALU_DEP_3) | instskip(NEXT) | instid1(VALU_DEP_2)
	v_dual_cndmask_b32 v14, v16, v15 :: v_dual_mov_b32 v15, v53
	v_dual_add_nc_u32 v16, 20, v75 :: v_dual_add_nc_u32 v76, 19, v75
	s_delay_alu instid0(VALU_DEP_1) | instskip(NEXT) | instid1(VALU_DEP_2)
	v_lshlrev_b64_e64 v[16:17], v16, -1
	v_lshlrev_b64_e64 v[78:79], v76, 1
	s_delay_alu instid0(VALU_DEP_2) | instskip(SKIP_1) | instid1(VALU_DEP_4)
	v_bfi_b32 v16, v16, 0, v14
	v_lshrrev_b64 v[14:15], v75, v[14:15]
	v_bfi_b32 v17, v17, 0, 0
	s_delay_alu instid0(VALU_DEP_1) | instskip(NEXT) | instid1(VALU_DEP_3)
	v_cmp_eq_u64_e64 s7, v[16:17], v[78:79]
	v_mov_b64_e32 v[16:17], v[14:15]
	s_and_saveexec_b32 s42, s7
; %bb.10005:                            ;   in Loop: Header=BB6_6801 Depth=2
	v_bfe_u32 v16, v14, 20, 1
	v_mov_b32_e32 v17, v53
	s_delay_alu instid0(VALU_DEP_1) | instskip(NEXT) | instid1(VALU_DEP_1)
	v_add_nc_u64_e32 v[16:17], v[14:15], v[16:17]
	v_add_nc_u64_e32 v[16:17], -1, v[16:17]
; %bb.10006:                            ;   in Loop: Header=BB6_6801 Depth=2
	s_or_b32 exec_lo, exec_lo, s42
	v_add_nc_u32_e32 v15, 0xffffff81, v74
	v_lshrrev_b32_e32 v17, 23, v14
	s_mov_b32 s7, exec_lo
	s_delay_alu instid0(VALU_DEP_2) | instskip(NEXT) | instid1(VALU_DEP_1)
	v_cndmask_b32_e64 v15, v15, 0xffffff82, vcc_lo
	v_add3_u32 v74, v75, v15, v17
	v_and_b32_e32 v15, 0xfffff, v16
                                        ; implicit-def: $vgpr16
	s_delay_alu instid0(VALU_DEP_2) | instskip(NEXT) | instid1(VALU_DEP_2)
	v_add_nc_u32_e32 v17, 6, v74
	v_dual_mov_b32 v15, v53 :: v_dual_add_nc_u32 v14, v15, v14
	s_delay_alu instid0(VALU_DEP_2)
	v_cmpx_ne_u32_e32 0, v17
	s_xor_b32 s7, exec_lo, s7
; %bb.10007:                            ;   in Loop: Header=BB6_6801 Depth=2
	s_delay_alu instid0(VALU_DEP_2) | instskip(SKIP_1) | instid1(VALU_DEP_1)
	v_cmp_lt_u64_e32 vcc_lo, 0xffffff, v[14:15]
	v_add_nc_u32_e32 v16, 7, v74
	v_cndmask_b32_e32 v16, v17, v16, vcc_lo
	v_cndmask_b32_e64 v17, 0, 1, vcc_lo
	s_delay_alu instid0(VALU_DEP_1)
	v_lshrrev_b64 v[14:15], v17, v[14:15]
; %bb.10008:                            ;   in Loop: Header=BB6_6801 Depth=2
	s_and_not1_saveexec_b32 s7, s7
; %bb.10009:                            ;   in Loop: Header=BB6_6801 Depth=2
	s_delay_alu instid0(VALU_DEP_1)
	v_bfe_u32 v16, v14, 23, 1
; %bb.10010:                            ;   in Loop: Header=BB6_6801 Depth=2
	s_or_b32 exec_lo, exec_lo, s7
	s_delay_alu instid0(VALU_DEP_2) | instskip(NEXT) | instid1(VALU_DEP_2)
	v_lshrrev_b64 v[14:15], 20, v[14:15]
	v_cmp_gt_i32_e32 vcc_lo, 16, v16
	v_min_i32_e32 v17, 15, v16
	v_cmp_eq_u32_e64 s7, 0, v16
	s_delay_alu instid0(VALU_DEP_2) | instskip(SKIP_1) | instid1(VALU_DEP_2)
	v_dual_cndmask_b32 v15, 0, v15, vcc_lo :: v_dual_lshlrev_b32 v17, 3, v17
	v_cndmask_b32_e32 v14, 7, v14, vcc_lo
	v_and_b32_e32 v17, 0xf8, v17
	s_delay_alu instid0(VALU_DEP_2) | instskip(NEXT) | instid1(VALU_DEP_2)
	v_cmp_eq_u64_e32 vcc_lo, 0, v[14:15]
	v_and_or_b32 v14, v14, 7, v17
	s_and_b32 s7, s7, vcc_lo
	s_delay_alu instid0(VALU_DEP_1) | instid1(SALU_CYCLE_1)
	v_cndmask_b32_e64 v14, v14, 0, s7
	s_delay_alu instid0(VALU_DEP_1)
	v_or_b32_e32 v16, v14, v63
.LBB6_10011:                            ;   in Loop: Header=BB6_6801 Depth=2
	s_or_b32 exec_lo, exec_lo, s41
                                        ; implicit-def: $vgpr63
.LBB6_10012:                            ;   in Loop: Header=BB6_6801 Depth=2
	s_and_not1_saveexec_b32 s7, s40
; %bb.10013:                            ;   in Loop: Header=BB6_6801 Depth=2
	v_or_b32_e32 v16, 0x7e, v63
; %bb.10014:                            ;   in Loop: Header=BB6_6801 Depth=2
	s_or_b32 exec_lo, exec_lo, s7
                                        ; implicit-def: $vgpr15
.LBB6_10015:                            ;   in Loop: Header=BB6_6801 Depth=2
	s_and_not1_saveexec_b32 s7, s29
; %bb.10016:                            ;   in Loop: Header=BB6_6801 Depth=2
	v_or_b32_e32 v16, 0x7f, v15
; %bb.10017:                            ;   in Loop: Header=BB6_6801 Depth=2
	s_or_b32 exec_lo, exec_lo, s7
	v_dual_mov_b32 v17, 0 :: v_dual_mov_b32 v14, 0
	s_mov_b32 s7, exec_lo
	v_cmpx_lt_u32_e32 0xffffff, v52
	s_cbranch_execz .LBB6_10025
; %bb.10018:                            ;   in Loop: Header=BB6_6801 Depth=2
	v_lshrrev_b32_e32 v63, 24, v52
	v_bfrev_b32_e32 v14, 1
	s_mov_b32 s29, exec_lo
	s_delay_alu instid0(VALU_DEP_2)
	v_cmpx_ne_u32_e32 0x80, v63
	s_cbranch_execz .LBB6_10024
; %bb.10019:                            ;   in Loop: Header=BB6_6801 Depth=2
	v_bfe_u32 v15, v52, 24, 7
	v_mov_b32_e32 v14, 0x7f800001
	s_mov_b32 s40, exec_lo
	s_delay_alu instid0(VALU_DEP_2)
	v_cmpx_ne_u32_e32 0x7f, v15
	s_cbranch_execz .LBB6_10023
; %bb.10020:                            ;   in Loop: Header=BB6_6801 Depth=2
	v_and_b32_e32 v52, 7, v63
	v_lshrrev_b32_e32 v74, 3, v15
	v_cmp_gt_u32_e32 vcc_lo, 8, v15
	s_delay_alu instid0(VALU_DEP_3)
	v_mov_b64_e32 v[14:15], v[52:53]
	s_and_saveexec_b32 s41, vcc_lo
; %bb.10021:                            ;   in Loop: Header=BB6_6801 Depth=2
	v_clz_i32_u32_e32 v14, v52
	s_delay_alu instid0(VALU_DEP_1) | instskip(NEXT) | instid1(VALU_DEP_1)
	v_min_u32_e32 v74, 32, v14
	v_subrev_nc_u32_e32 v14, 28, v74
	v_sub_nc_u32_e32 v74, 29, v74
	s_delay_alu instid0(VALU_DEP_2) | instskip(NEXT) | instid1(VALU_DEP_1)
	v_lshlrev_b64_e32 v[14:15], v14, v[52:53]
	v_and_b32_e32 v14, 7, v14
; %bb.10022:                            ;   in Loop: Header=BB6_6801 Depth=2
	s_or_b32 exec_lo, exec_lo, s41
	s_delay_alu instid0(VALU_DEP_1) | instskip(SKIP_1) | instid1(VALU_DEP_2)
	v_dual_lshlrev_b32 v15, 24, v63 :: v_dual_lshlrev_b32 v14, 20, v14
	v_lshl_add_u32 v52, v74, 23, 0x3c000000
	v_and_b32_e32 v15, 0x80000000, v15
	s_delay_alu instid0(VALU_DEP_1)
	v_or3_b32 v14, v14, v15, v52
.LBB6_10023:                            ;   in Loop: Header=BB6_6801 Depth=2
	s_or_b32 exec_lo, exec_lo, s40
.LBB6_10024:                            ;   in Loop: Header=BB6_6801 Depth=2
	s_delay_alu instid0(SALU_CYCLE_1)
	s_or_b32 exec_lo, exec_lo, s29
.LBB6_10025:                            ;   in Loop: Header=BB6_6801 Depth=2
	s_delay_alu instid0(SALU_CYCLE_1) | instskip(NEXT) | instid1(SALU_CYCLE_1)
	s_or_b32 exec_lo, exec_lo, s7
	s_mov_b32 s7, exec_lo
	v_cmpx_lt_u64_e64 s[12:13], v[10:11]
	s_cbranch_execz .LBB6_10033
; %bb.10026:                            ;   in Loop: Header=BB6_6801 Depth=2
	v_lshrrev_b32_e32 v15, 24, v11
	v_bfrev_b32_e32 v17, 1
	s_mov_b32 s29, exec_lo
	s_delay_alu instid0(VALU_DEP_2)
	v_cmpx_ne_u32_e32 0x80, v15
	s_cbranch_execz .LBB6_10032
; %bb.10027:                            ;   in Loop: Header=BB6_6801 Depth=2
	v_bfe_u32 v10, v11, 24, 7
	v_mov_b32_e32 v17, 0x7f800001
	s_mov_b32 s40, exec_lo
	s_delay_alu instid0(VALU_DEP_2)
	v_cmpx_ne_u32_e32 0x7f, v10
	s_cbranch_execz .LBB6_10031
; %bb.10028:                            ;   in Loop: Header=BB6_6801 Depth=2
	v_dual_lshrrev_b32 v17, 3, v10 :: v_dual_bitop2_b32 v52, 7, v15 bitop3:0x40
	v_cmp_gt_u32_e32 vcc_lo, 8, v10
	s_delay_alu instid0(VALU_DEP_2)
	v_mov_b64_e32 v[10:11], v[52:53]
	s_and_saveexec_b32 s41, vcc_lo
; %bb.10029:                            ;   in Loop: Header=BB6_6801 Depth=2
	v_clz_i32_u32_e32 v10, v52
	s_delay_alu instid0(VALU_DEP_1) | instskip(NEXT) | instid1(VALU_DEP_1)
	v_min_u32_e32 v17, 32, v10
	v_subrev_nc_u32_e32 v10, 28, v17
	s_delay_alu instid0(VALU_DEP_1) | instskip(NEXT) | instid1(VALU_DEP_1)
	v_lshlrev_b64_e32 v[10:11], v10, v[52:53]
	v_dual_sub_nc_u32 v17, 29, v17 :: v_dual_bitop2_b32 v10, 7, v10 bitop3:0x40
; %bb.10030:                            ;   in Loop: Header=BB6_6801 Depth=2
	s_or_b32 exec_lo, exec_lo, s41
	s_delay_alu instid0(VALU_DEP_1) | instskip(NEXT) | instid1(VALU_DEP_2)
	v_dual_lshlrev_b32 v11, 24, v15 :: v_dual_lshlrev_b32 v10, 20, v10
	v_lshl_add_u32 v15, v17, 23, 0x3c000000
	s_delay_alu instid0(VALU_DEP_2) | instskip(NEXT) | instid1(VALU_DEP_1)
	v_and_b32_e32 v11, 0x80000000, v11
	v_or3_b32 v17, v10, v11, v15
.LBB6_10031:                            ;   in Loop: Header=BB6_6801 Depth=2
	s_or_b32 exec_lo, exec_lo, s40
.LBB6_10032:                            ;   in Loop: Header=BB6_6801 Depth=2
	s_delay_alu instid0(SALU_CYCLE_1)
	s_or_b32 exec_lo, exec_lo, s29
.LBB6_10033:                            ;   in Loop: Header=BB6_6801 Depth=2
	s_delay_alu instid0(SALU_CYCLE_1) | instskip(NEXT) | instid1(VALU_DEP_1)
	s_or_b32 exec_lo, exec_lo, s7
	v_add_f32_e32 v10, v14, v17
                                        ; implicit-def: $vgpr17
	s_mov_b32 s7, exec_lo
	s_delay_alu instid0(VALU_DEP_1) | instskip(SKIP_1) | instid1(VALU_DEP_2)
	v_and_b32_e32 v52, 0x7f800000, v10
	v_lshrrev_b32_e32 v11, 24, v10
	v_cmpx_ne_u64_e32 0x7f800000, v[52:53]
	s_xor_b32 s29, exec_lo, s7
	s_cbranch_execz .LBB6_10047
; %bb.10034:                            ;   in Loop: Header=BB6_6801 Depth=2
	v_and_b32_e32 v52, 0x7fffffff, v10
	v_and_b32_e32 v63, 0x80, v11
                                        ; implicit-def: $vgpr17
	s_mov_b32 s7, exec_lo
	s_delay_alu instid0(VALU_DEP_2)
	v_cmpx_gt_u64_e32 0x43e00001, v[52:53]
	s_xor_b32 s40, exec_lo, s7
	s_cbranch_execz .LBB6_10044
; %bb.10035:                            ;   in Loop: Header=BB6_6801 Depth=2
	v_mov_b32_e32 v17, 0
	s_mov_b32 s41, exec_lo
	v_cmpx_ne_u32_e32 0, v10
	s_cbranch_execz .LBB6_10043
; %bb.10036:                            ;   in Loop: Header=BB6_6801 Depth=2
	v_bfe_u32 v17, v10, 23, 8
	v_and_b32_e32 v11, 0x7fffff, v10
	s_delay_alu instid0(VALU_DEP_2) | instskip(SKIP_2) | instid1(VALU_DEP_4)
	v_cmp_gt_u32_e64 s7, 0x7a, v17
	v_sub_nc_u32_e32 v10, 0x79, v17
	v_cmp_eq_u32_e32 vcc_lo, 0, v17
	v_or_b32_e32 v14, 0x800000, v11
	s_delay_alu instid0(VALU_DEP_1) | instskip(NEXT) | instid1(VALU_DEP_1)
	v_dual_cndmask_b32 v10, 0, v10, s7 :: v_dual_cndmask_b32 v52, v14, v11, vcc_lo
	v_cndmask_b32_e64 v74, v10, 0x78, vcc_lo
	s_delay_alu instid0(VALU_DEP_1) | instskip(NEXT) | instid1(VALU_DEP_1)
	v_dual_add_nc_u32 v10, 20, v74 :: v_dual_add_nc_u32 v14, 19, v74
	v_lshlrev_b64_e64 v[10:11], v10, -1
	s_delay_alu instid0(VALU_DEP_2) | instskip(NEXT) | instid1(VALU_DEP_2)
	v_lshlrev_b64_e64 v[14:15], v14, 1
	v_bfi_b32 v11, v11, 0, 0
	s_delay_alu instid0(VALU_DEP_3) | instskip(NEXT) | instid1(VALU_DEP_1)
	v_bfi_b32 v10, v10, 0, v52
	v_cmp_eq_u64_e64 s7, v[10:11], v[14:15]
	v_lshrrev_b64 v[10:11], v74, v[52:53]
	s_delay_alu instid0(VALU_DEP_1)
	v_mov_b64_e32 v[14:15], v[10:11]
	s_and_saveexec_b32 s42, s7
; %bb.10037:                            ;   in Loop: Header=BB6_6801 Depth=2
	v_bfe_u32 v52, v10, 20, 1
	s_delay_alu instid0(VALU_DEP_1) | instskip(NEXT) | instid1(VALU_DEP_1)
	v_add_nc_u64_e32 v[14:15], v[10:11], v[52:53]
	v_add_nc_u64_e32 v[14:15], -1, v[14:15]
; %bb.10038:                            ;   in Loop: Header=BB6_6801 Depth=2
	s_or_b32 exec_lo, exec_lo, s42
	v_add_nc_u32_e32 v11, 0xffffff81, v17
	v_lshrrev_b32_e32 v15, 23, v10
	s_mov_b32 s7, exec_lo
	s_delay_alu instid0(VALU_DEP_2) | instskip(NEXT) | instid1(VALU_DEP_1)
	v_cndmask_b32_e64 v11, v11, 0xffffff82, vcc_lo
	v_add3_u32 v17, v74, v11, v15
	v_and_b32_e32 v11, 0xfffff, v14
                                        ; implicit-def: $vgpr14
	s_delay_alu instid0(VALU_DEP_1) | instskip(NEXT) | instid1(VALU_DEP_1)
	v_dual_add_nc_u32 v15, 6, v17 :: v_dual_add_nc_u32 v52, v11, v10
                                        ; implicit-def: $vgpr10_vgpr11
	v_cmpx_ne_u32_e32 0, v15
	s_xor_b32 s7, exec_lo, s7
; %bb.10039:                            ;   in Loop: Header=BB6_6801 Depth=2
	s_delay_alu instid0(VALU_DEP_2) | instskip(SKIP_1) | instid1(VALU_DEP_1)
	v_cmp_lt_u64_e32 vcc_lo, 0xffffff, v[52:53]
	v_add_nc_u32_e32 v10, 7, v17
	v_cndmask_b32_e32 v14, v15, v10, vcc_lo
	v_cndmask_b32_e64 v10, 0, 1, vcc_lo
	s_delay_alu instid0(VALU_DEP_1)
	v_lshrrev_b64 v[10:11], v10, v[52:53]
; %bb.10040:                            ;   in Loop: Header=BB6_6801 Depth=2
	s_and_not1_saveexec_b32 s7, s7
; %bb.10041:                            ;   in Loop: Header=BB6_6801 Depth=2
	v_mov_b64_e32 v[10:11], v[52:53]
	v_bfe_u32 v14, v52, 23, 1
; %bb.10042:                            ;   in Loop: Header=BB6_6801 Depth=2
	s_or_b32 exec_lo, exec_lo, s7
	s_delay_alu instid0(VALU_DEP_2) | instskip(NEXT) | instid1(VALU_DEP_2)
	v_lshrrev_b64 v[10:11], 20, v[10:11]
	v_cmp_gt_i32_e32 vcc_lo, 16, v14
	v_min_i32_e32 v15, 15, v14
	v_cmp_eq_u32_e64 s7, 0, v14
	s_delay_alu instid0(VALU_DEP_4) | instskip(NEXT) | instid1(VALU_DEP_3)
	v_cndmask_b32_e32 v11, 0, v11, vcc_lo
	v_dual_cndmask_b32 v10, 7, v10 :: v_dual_lshlrev_b32 v15, 3, v15
	s_delay_alu instid0(VALU_DEP_1) | instskip(NEXT) | instid1(VALU_DEP_2)
	v_and_b32_e32 v15, 0xf8, v15
	v_cmp_eq_u64_e32 vcc_lo, 0, v[10:11]
	s_delay_alu instid0(VALU_DEP_2)
	v_and_or_b32 v10, v10, 7, v15
	s_and_b32 s7, s7, vcc_lo
	s_delay_alu instid0(VALU_DEP_1) | instid1(SALU_CYCLE_1)
	v_cndmask_b32_e64 v10, v10, 0, s7
	s_delay_alu instid0(VALU_DEP_1)
	v_or_b32_e32 v17, v10, v63
.LBB6_10043:                            ;   in Loop: Header=BB6_6801 Depth=2
	s_or_b32 exec_lo, exec_lo, s41
                                        ; implicit-def: $vgpr63
.LBB6_10044:                            ;   in Loop: Header=BB6_6801 Depth=2
	s_and_not1_saveexec_b32 s7, s40
; %bb.10045:                            ;   in Loop: Header=BB6_6801 Depth=2
	v_or_b32_e32 v17, 0x7e, v63
; %bb.10046:                            ;   in Loop: Header=BB6_6801 Depth=2
	s_or_b32 exec_lo, exec_lo, s7
                                        ; implicit-def: $vgpr11
.LBB6_10047:                            ;   in Loop: Header=BB6_6801 Depth=2
	s_and_not1_saveexec_b32 s7, s29
; %bb.10048:                            ;   in Loop: Header=BB6_6801 Depth=2
	v_or_b32_e32 v17, 0x7f, v11
; %bb.10049:                            ;   in Loop: Header=BB6_6801 Depth=2
	s_or_b32 exec_lo, exec_lo, s7
	v_lshl_or_b32 v56, v56, 8, v2
	v_dual_lshlrev_b32 v10, 16, v59 :: v_dual_lshlrev_b32 v11, 24, v62
	s_mov_b32 s7, exec_lo
	s_delay_alu instid0(VALU_DEP_1)
	v_or3_b32 v52, v10, v11, v56
	v_dual_mov_b32 v10, 0 :: v_dual_mov_b32 v11, 0
	v_cmpx_ne_u32_e32 0, v2
	s_cbranch_execz .LBB6_10055
; %bb.10050:                            ;   in Loop: Header=BB6_6801 Depth=2
	v_bfrev_b32_e32 v11, 1
	s_mov_b32 s29, exec_lo
	v_cmpx_ne_u32_e32 0x80, v2
	s_cbranch_execz .LBB6_10054
; %bb.10051:                            ;   in Loop: Header=BB6_6801 Depth=2
	v_and_b32_e32 v14, 0x7f, v2
	v_mov_b32_e32 v11, 0x7f800001
	s_mov_b32 s40, exec_lo
	s_delay_alu instid0(VALU_DEP_2)
	v_cmpx_ne_u32_e32 0x7f, v14
	s_cbranch_execz .LBB6_10053
; %bb.10052:                            ;   in Loop: Header=BB6_6801 Depth=2
	v_and_b32_e32 v2, 7, v2
	v_lshrrev_b32_e32 v11, 3, v14
	v_cmp_gt_u32_e32 vcc_lo, 8, v14
	s_delay_alu instid0(VALU_DEP_3) | instskip(NEXT) | instid1(VALU_DEP_1)
	v_clz_i32_u32_e32 v2, v2
	v_min_u32_e32 v2, 32, v2
	s_delay_alu instid0(VALU_DEP_1) | instskip(SKIP_1) | instid1(VALU_DEP_1)
	v_subrev_nc_u32_e32 v14, 28, v2
	v_sub_nc_u32_e32 v2, 29, v2
	v_cndmask_b32_e32 v2, v11, v2, vcc_lo
	s_delay_alu instid0(VALU_DEP_3) | instskip(NEXT) | instid1(VALU_DEP_2)
	v_cndmask_b32_e32 v11, 0, v14, vcc_lo
	v_lshl_add_u32 v2, v2, 23, 0x3c000000
	s_delay_alu instid0(VALU_DEP_2) | instskip(NEXT) | instid1(VALU_DEP_1)
	v_lshlrev_b64_e32 v[14:15], v11, v[52:53]
	v_dual_lshlrev_b32 v11, 20, v14 :: v_dual_lshlrev_b32 v14, 24, v52
	s_delay_alu instid0(VALU_DEP_1) | instskip(NEXT) | instid1(VALU_DEP_2)
	v_and_b32_e32 v11, 0x700000, v11
	v_and_b32_e32 v14, 0x80000000, v14
	s_delay_alu instid0(VALU_DEP_1)
	v_or3_b32 v11, v11, v14, v2
.LBB6_10053:                            ;   in Loop: Header=BB6_6801 Depth=2
	s_or_b32 exec_lo, exec_lo, s40
.LBB6_10054:                            ;   in Loop: Header=BB6_6801 Depth=2
	s_delay_alu instid0(SALU_CYCLE_1)
	s_or_b32 exec_lo, exec_lo, s29
.LBB6_10055:                            ;   in Loop: Header=BB6_6801 Depth=2
	s_delay_alu instid0(SALU_CYCLE_1) | instskip(SKIP_2) | instid1(VALU_DEP_1)
	s_or_b32 exec_lo, exec_lo, s7
	v_and_b32_e32 v2, 0xff, v12
	s_mov_b32 s7, exec_lo
	v_cmpx_ne_u16_e32 0, v2
	s_cbranch_execz .LBB6_10061
; %bb.10056:                            ;   in Loop: Header=BB6_6801 Depth=2
	v_bfrev_b32_e32 v10, 1
	s_mov_b32 s29, exec_lo
	v_cmpx_ne_u16_e32 0x80, v2
	s_cbranch_execz .LBB6_10060
; %bb.10057:                            ;   in Loop: Header=BB6_6801 Depth=2
	v_and_b32_e32 v2, 0x7f, v12
	v_mov_b32_e32 v10, 0x7f800001
	s_mov_b32 s40, exec_lo
	s_delay_alu instid0(VALU_DEP_2)
	v_cmpx_ne_u32_e32 0x7f, v2
	s_cbranch_execz .LBB6_10059
; %bb.10058:                            ;   in Loop: Header=BB6_6801 Depth=2
	v_dual_lshrrev_b32 v14, 3, v2 :: v_dual_bitop2_b32 v10, 7, v12 bitop3:0x40
	v_cmp_gt_u32_e32 vcc_lo, 8, v2
	s_delay_alu instid0(VALU_DEP_2) | instskip(NEXT) | instid1(VALU_DEP_1)
	v_clz_i32_u32_e32 v2, v10
	v_min_u32_e32 v2, 32, v2
	s_delay_alu instid0(VALU_DEP_1) | instskip(SKIP_1) | instid1(VALU_DEP_2)
	v_subrev_nc_u32_e32 v10, 28, v2
	v_sub_nc_u32_e32 v2, 29, v2
	v_cndmask_b32_e32 v10, 0, v10, vcc_lo
	s_delay_alu instid0(VALU_DEP_2) | instskip(NEXT) | instid1(VALU_DEP_2)
	v_cndmask_b32_e32 v2, v14, v2, vcc_lo
	v_lshlrev_b64_e32 v[14:15], v10, v[12:13]
	s_delay_alu instid0(VALU_DEP_2) | instskip(NEXT) | instid1(VALU_DEP_2)
	v_lshl_add_u32 v2, v2, 23, 0x3c000000
	v_dual_lshlrev_b32 v10, 20, v14 :: v_dual_lshlrev_b32 v14, 24, v12
	s_delay_alu instid0(VALU_DEP_1) | instskip(NEXT) | instid1(VALU_DEP_2)
	v_and_b32_e32 v10, 0x700000, v10
	v_and_b32_e32 v14, 0x80000000, v14
	s_delay_alu instid0(VALU_DEP_1)
	v_or3_b32 v10, v10, v14, v2
.LBB6_10059:                            ;   in Loop: Header=BB6_6801 Depth=2
	s_or_b32 exec_lo, exec_lo, s40
.LBB6_10060:                            ;   in Loop: Header=BB6_6801 Depth=2
	s_delay_alu instid0(SALU_CYCLE_1)
	s_or_b32 exec_lo, exec_lo, s29
.LBB6_10061:                            ;   in Loop: Header=BB6_6801 Depth=2
	s_delay_alu instid0(SALU_CYCLE_1) | instskip(NEXT) | instid1(VALU_DEP_1)
	s_or_b32 exec_lo, exec_lo, s7
	v_dual_add_f32 v10, v11, v10 :: v_dual_mov_b32 v15, v53
                                        ; implicit-def: $vgpr2
	s_mov_b32 s7, exec_lo
	s_delay_alu instid0(VALU_DEP_1) | instskip(SKIP_1) | instid1(VALU_DEP_2)
	v_and_b32_e32 v14, 0x7f800000, v10
	v_lshrrev_b32_e32 v11, 24, v10
	v_cmpx_ne_u64_e32 0x7f800000, v[14:15]
	s_xor_b32 s29, exec_lo, s7
	s_cbranch_execz .LBB6_10075
; %bb.10062:                            ;   in Loop: Header=BB6_6801 Depth=2
	v_and_b32_e32 v14, 0x7fffffff, v10
	v_mov_b32_e32 v15, v53
	v_and_b32_e32 v59, 0x80, v11
                                        ; implicit-def: $vgpr2
	s_mov_b32 s7, exec_lo
	s_delay_alu instid0(VALU_DEP_2)
	v_cmpx_gt_u64_e32 0x43e00001, v[14:15]
	s_xor_b32 s40, exec_lo, s7
	s_cbranch_execz .LBB6_10072
; %bb.10063:                            ;   in Loop: Header=BB6_6801 Depth=2
	v_mov_b32_e32 v2, 0
	s_mov_b32 s41, exec_lo
	v_cmpx_ne_u32_e32 0, v10
	s_cbranch_execz .LBB6_10071
; %bb.10064:                            ;   in Loop: Header=BB6_6801 Depth=2
	v_bfe_u32 v2, v10, 23, 8
	v_and_b32_e32 v11, 0x7fffff, v10
	s_delay_alu instid0(VALU_DEP_2) | instskip(SKIP_2) | instid1(VALU_DEP_4)
	v_cmp_gt_u32_e64 s7, 0x7a, v2
	v_sub_nc_u32_e32 v10, 0x79, v2
	v_cmp_eq_u32_e32 vcc_lo, 0, v2
	v_or_b32_e32 v14, 0x800000, v11
	s_delay_alu instid0(VALU_DEP_3) | instskip(NEXT) | instid1(VALU_DEP_1)
	v_cndmask_b32_e64 v10, 0, v10, s7
	v_cndmask_b32_e64 v62, v10, 0x78, vcc_lo
	s_delay_alu instid0(VALU_DEP_3) | instskip(NEXT) | instid1(VALU_DEP_2)
	v_dual_cndmask_b32 v10, v14, v11 :: v_dual_mov_b32 v11, v53
	v_dual_add_nc_u32 v14, 20, v62 :: v_dual_add_nc_u32 v63, 19, v62
	s_delay_alu instid0(VALU_DEP_1) | instskip(NEXT) | instid1(VALU_DEP_2)
	v_lshlrev_b64_e64 v[14:15], v14, -1
	v_lshlrev_b64_e64 v[74:75], v63, 1
	s_delay_alu instid0(VALU_DEP_2) | instskip(SKIP_1) | instid1(VALU_DEP_4)
	v_bfi_b32 v14, v14, 0, v10
	v_lshrrev_b64 v[10:11], v62, v[10:11]
	v_bfi_b32 v15, v15, 0, 0
	s_delay_alu instid0(VALU_DEP_1) | instskip(NEXT) | instid1(VALU_DEP_3)
	v_cmp_eq_u64_e64 s7, v[14:15], v[74:75]
	v_mov_b64_e32 v[14:15], v[10:11]
	s_and_saveexec_b32 s42, s7
; %bb.10065:                            ;   in Loop: Header=BB6_6801 Depth=2
	v_bfe_u32 v14, v10, 20, 1
	v_mov_b32_e32 v15, v53
	s_delay_alu instid0(VALU_DEP_1) | instskip(NEXT) | instid1(VALU_DEP_1)
	v_add_nc_u64_e32 v[14:15], v[10:11], v[14:15]
	v_add_nc_u64_e32 v[14:15], -1, v[14:15]
; %bb.10066:                            ;   in Loop: Header=BB6_6801 Depth=2
	s_or_b32 exec_lo, exec_lo, s42
	v_add_nc_u32_e32 v2, 0xffffff81, v2
	v_lshrrev_b32_e32 v11, 23, v10
	s_mov_b32 s7, exec_lo
	s_delay_alu instid0(VALU_DEP_2) | instskip(NEXT) | instid1(VALU_DEP_1)
	v_cndmask_b32_e64 v2, v2, 0xffffff82, vcc_lo
	v_add3_u32 v15, v62, v2, v11
	v_and_b32_e32 v2, 0xfffff, v14
	s_delay_alu instid0(VALU_DEP_2) | instskip(NEXT) | instid1(VALU_DEP_2)
	v_dual_mov_b32 v11, v53 :: v_dual_add_nc_u32 v14, 6, v15
	v_add_nc_u32_e32 v10, v2, v10
                                        ; implicit-def: $vgpr2
	s_delay_alu instid0(VALU_DEP_2)
	v_cmpx_ne_u32_e32 0, v14
	s_xor_b32 s7, exec_lo, s7
; %bb.10067:                            ;   in Loop: Header=BB6_6801 Depth=2
	s_delay_alu instid0(VALU_DEP_2) | instskip(SKIP_1) | instid1(VALU_DEP_1)
	v_cmp_lt_u64_e32 vcc_lo, 0xffffff, v[10:11]
	v_add_nc_u32_e32 v2, 7, v15
	v_cndmask_b32_e32 v2, v14, v2, vcc_lo
	v_cndmask_b32_e64 v14, 0, 1, vcc_lo
	s_delay_alu instid0(VALU_DEP_1)
	v_lshrrev_b64 v[10:11], v14, v[10:11]
; %bb.10068:                            ;   in Loop: Header=BB6_6801 Depth=2
	s_and_not1_saveexec_b32 s7, s7
; %bb.10069:                            ;   in Loop: Header=BB6_6801 Depth=2
	s_delay_alu instid0(VALU_DEP_1)
	v_bfe_u32 v2, v10, 23, 1
; %bb.10070:                            ;   in Loop: Header=BB6_6801 Depth=2
	s_or_b32 exec_lo, exec_lo, s7
	s_delay_alu instid0(VALU_DEP_2) | instskip(NEXT) | instid1(VALU_DEP_2)
	v_lshrrev_b64 v[10:11], 20, v[10:11]
	v_cmp_gt_i32_e32 vcc_lo, 16, v2
	v_min_i32_e32 v14, 15, v2
	v_cmp_eq_u32_e64 s7, 0, v2
	s_delay_alu instid0(VALU_DEP_2) | instskip(SKIP_1) | instid1(VALU_DEP_2)
	v_dual_cndmask_b32 v11, 0, v11 :: v_dual_lshlrev_b32 v14, 3, v14
	v_cndmask_b32_e32 v10, 7, v10, vcc_lo
	v_and_b32_e32 v14, 0xf8, v14
	s_delay_alu instid0(VALU_DEP_2) | instskip(NEXT) | instid1(VALU_DEP_2)
	v_cmp_eq_u64_e32 vcc_lo, 0, v[10:11]
	v_and_or_b32 v2, v10, 7, v14
	s_and_b32 s7, s7, vcc_lo
	s_delay_alu instid0(VALU_DEP_1) | instid1(SALU_CYCLE_1)
	v_cndmask_b32_e64 v2, v2, 0, s7
	s_delay_alu instid0(VALU_DEP_1)
	v_or_b32_e32 v2, v2, v59
.LBB6_10071:                            ;   in Loop: Header=BB6_6801 Depth=2
	s_or_b32 exec_lo, exec_lo, s41
                                        ; implicit-def: $vgpr59
.LBB6_10072:                            ;   in Loop: Header=BB6_6801 Depth=2
	s_and_not1_saveexec_b32 s7, s40
; %bb.10073:                            ;   in Loop: Header=BB6_6801 Depth=2
	v_or_b32_e32 v2, 0x7e, v59
; %bb.10074:                            ;   in Loop: Header=BB6_6801 Depth=2
	s_or_b32 exec_lo, exec_lo, s7
                                        ; implicit-def: $vgpr11
.LBB6_10075:                            ;   in Loop: Header=BB6_6801 Depth=2
	s_and_not1_saveexec_b32 s7, s29
; %bb.10076:                            ;   in Loop: Header=BB6_6801 Depth=2
	v_or_b32_e32 v2, 0x7f, v11
; %bb.10077:                            ;   in Loop: Header=BB6_6801 Depth=2
	s_or_b32 exec_lo, exec_lo, s7
	v_lshrrev_b16 v10, 8, v56
	v_dual_mov_b32 v14, 0 :: v_dual_mov_b32 v15, 0
	s_mov_b32 s7, exec_lo
	s_delay_alu instid0(VALU_DEP_2)
	v_cmpx_ne_u16_e32 0, v10
	s_cbranch_execz .LBB6_10085
; %bb.10078:                            ;   in Loop: Header=BB6_6801 Depth=2
	v_bfrev_b32_e32 v15, 1
	s_mov_b32 s29, exec_lo
	v_cmpx_ne_u16_e32 0x80, v10
	s_cbranch_execz .LBB6_10084
; %bb.10079:                            ;   in Loop: Header=BB6_6801 Depth=2
	v_and_b32_e32 v10, 0xffff, v10
	v_mov_b32_e32 v15, 0x7f800001
	s_mov_b32 s40, exec_lo
	s_delay_alu instid0(VALU_DEP_2) | instskip(NEXT) | instid1(VALU_DEP_1)
	v_and_b32_e32 v59, 0x7f, v10
	v_cmpx_ne_u32_e32 0x7f, v59
	s_cbranch_execz .LBB6_10083
; %bb.10080:                            ;   in Loop: Header=BB6_6801 Depth=2
	v_dual_mov_b32 v11, v53 :: v_dual_bitop2_b32 v10, 7, v10 bitop3:0x40
	v_lshrrev_b32_e32 v15, 3, v59
	s_mov_b32 s41, exec_lo
	v_cmpx_gt_u32_e32 8, v59
; %bb.10081:                            ;   in Loop: Header=BB6_6801 Depth=2
	s_delay_alu instid0(VALU_DEP_3) | instskip(NEXT) | instid1(VALU_DEP_1)
	v_clz_i32_u32_e32 v15, v10
	v_min_u32_e32 v15, 32, v15
	s_delay_alu instid0(VALU_DEP_1) | instskip(NEXT) | instid1(VALU_DEP_1)
	v_subrev_nc_u32_e32 v59, 28, v15
	v_lshlrev_b64_e32 v[10:11], v59, v[10:11]
	s_delay_alu instid0(VALU_DEP_1)
	v_dual_sub_nc_u32 v15, 29, v15 :: v_dual_bitop2_b32 v10, 7, v10 bitop3:0x40
; %bb.10082:                            ;   in Loop: Header=BB6_6801 Depth=2
	s_or_b32 exec_lo, exec_lo, s41
	s_delay_alu instid0(VALU_DEP_1) | instskip(NEXT) | instid1(VALU_DEP_2)
	v_dual_lshlrev_b32 v11, 16, v56 :: v_dual_lshlrev_b32 v10, 20, v10
	v_lshl_add_u32 v15, v15, 23, 0x3c000000
	s_delay_alu instid0(VALU_DEP_2) | instskip(NEXT) | instid1(VALU_DEP_1)
	v_and_b32_e32 v11, 0x80000000, v11
	v_or3_b32 v15, v10, v11, v15
.LBB6_10083:                            ;   in Loop: Header=BB6_6801 Depth=2
	s_or_b32 exec_lo, exec_lo, s40
.LBB6_10084:                            ;   in Loop: Header=BB6_6801 Depth=2
	s_delay_alu instid0(SALU_CYCLE_1)
	s_or_b32 exec_lo, exec_lo, s29
.LBB6_10085:                            ;   in Loop: Header=BB6_6801 Depth=2
	s_delay_alu instid0(SALU_CYCLE_1) | instskip(SKIP_2) | instid1(VALU_DEP_1)
	s_or_b32 exec_lo, exec_lo, s7
	v_lshrrev_b16 v10, 8, v12
	s_mov_b32 s7, exec_lo
	v_cmpx_ne_u16_e32 0, v10
	s_cbranch_execz .LBB6_10093
; %bb.10086:                            ;   in Loop: Header=BB6_6801 Depth=2
	v_bfrev_b32_e32 v14, 1
	s_mov_b32 s29, exec_lo
	v_cmpx_ne_u16_e32 0x80, v10
	s_cbranch_execz .LBB6_10092
; %bb.10087:                            ;   in Loop: Header=BB6_6801 Depth=2
	v_and_b32_e32 v10, 0xffff, v10
	v_mov_b32_e32 v14, 0x7f800001
	s_mov_b32 s40, exec_lo
	s_delay_alu instid0(VALU_DEP_2) | instskip(NEXT) | instid1(VALU_DEP_1)
	v_and_b32_e32 v56, 0x7f, v10
	v_cmpx_ne_u32_e32 0x7f, v56
	s_cbranch_execz .LBB6_10091
; %bb.10088:                            ;   in Loop: Header=BB6_6801 Depth=2
	v_dual_mov_b32 v11, v53 :: v_dual_bitop2_b32 v10, 7, v10 bitop3:0x40
	v_lshrrev_b32_e32 v14, 3, v56
	s_mov_b32 s41, exec_lo
	v_cmpx_gt_u32_e32 8, v56
; %bb.10089:                            ;   in Loop: Header=BB6_6801 Depth=2
	s_delay_alu instid0(VALU_DEP_3) | instskip(NEXT) | instid1(VALU_DEP_1)
	v_clz_i32_u32_e32 v14, v10
	v_min_u32_e32 v14, 32, v14
	s_delay_alu instid0(VALU_DEP_1) | instskip(SKIP_1) | instid1(VALU_DEP_2)
	v_subrev_nc_u32_e32 v56, 28, v14
	v_sub_nc_u32_e32 v14, 29, v14
	v_lshlrev_b64_e32 v[10:11], v56, v[10:11]
	s_delay_alu instid0(VALU_DEP_1)
	v_and_b32_e32 v10, 7, v10
; %bb.10090:                            ;   in Loop: Header=BB6_6801 Depth=2
	s_or_b32 exec_lo, exec_lo, s41
	s_delay_alu instid0(VALU_DEP_1) | instskip(SKIP_1) | instid1(VALU_DEP_2)
	v_dual_lshlrev_b32 v11, 16, v12 :: v_dual_lshlrev_b32 v10, 20, v10
	v_lshl_add_u32 v14, v14, 23, 0x3c000000
	v_and_b32_e32 v11, 0x80000000, v11
	s_delay_alu instid0(VALU_DEP_1)
	v_or3_b32 v14, v10, v11, v14
.LBB6_10091:                            ;   in Loop: Header=BB6_6801 Depth=2
	s_or_b32 exec_lo, exec_lo, s40
.LBB6_10092:                            ;   in Loop: Header=BB6_6801 Depth=2
	s_delay_alu instid0(SALU_CYCLE_1)
	s_or_b32 exec_lo, exec_lo, s29
.LBB6_10093:                            ;   in Loop: Header=BB6_6801 Depth=2
	s_delay_alu instid0(SALU_CYCLE_1) | instskip(NEXT) | instid1(VALU_DEP_1)
	s_or_b32 exec_lo, exec_lo, s7
	v_dual_add_f32 v10, v15, v14 :: v_dual_mov_b32 v15, v53
                                        ; implicit-def: $vgpr56
	s_mov_b32 s7, exec_lo
	s_delay_alu instid0(VALU_DEP_1) | instskip(SKIP_1) | instid1(VALU_DEP_2)
	v_and_b32_e32 v14, 0x7f800000, v10
	v_lshrrev_b32_e32 v11, 24, v10
	v_cmpx_ne_u64_e32 0x7f800000, v[14:15]
	s_xor_b32 s29, exec_lo, s7
	s_cbranch_execz .LBB6_10107
; %bb.10094:                            ;   in Loop: Header=BB6_6801 Depth=2
	v_and_b32_e32 v14, 0x7fffffff, v10
	v_mov_b32_e32 v15, v53
	v_and_b32_e32 v59, 0x80, v11
                                        ; implicit-def: $vgpr56
	s_mov_b32 s7, exec_lo
	s_delay_alu instid0(VALU_DEP_2)
	v_cmpx_gt_u64_e32 0x43e00001, v[14:15]
	s_xor_b32 s40, exec_lo, s7
	s_cbranch_execz .LBB6_10104
; %bb.10095:                            ;   in Loop: Header=BB6_6801 Depth=2
	v_mov_b32_e32 v56, 0
	s_mov_b32 s41, exec_lo
	v_cmpx_ne_u32_e32 0, v10
	s_cbranch_execz .LBB6_10103
; %bb.10096:                            ;   in Loop: Header=BB6_6801 Depth=2
	v_bfe_u32 v56, v10, 23, 8
	v_and_b32_e32 v11, 0x7fffff, v10
	s_delay_alu instid0(VALU_DEP_2) | instskip(SKIP_2) | instid1(VALU_DEP_4)
	v_cmp_gt_u32_e64 s7, 0x7a, v56
	v_sub_nc_u32_e32 v10, 0x79, v56
	v_cmp_eq_u32_e32 vcc_lo, 0, v56
	v_or_b32_e32 v14, 0x800000, v11
	s_delay_alu instid0(VALU_DEP_3) | instskip(NEXT) | instid1(VALU_DEP_1)
	v_cndmask_b32_e64 v10, 0, v10, s7
	v_cndmask_b32_e64 v62, v10, 0x78, vcc_lo
	s_delay_alu instid0(VALU_DEP_3) | instskip(NEXT) | instid1(VALU_DEP_2)
	v_dual_cndmask_b32 v10, v14, v11 :: v_dual_mov_b32 v11, v53
	v_dual_add_nc_u32 v14, 20, v62 :: v_dual_add_nc_u32 v63, 19, v62
	s_delay_alu instid0(VALU_DEP_1) | instskip(NEXT) | instid1(VALU_DEP_2)
	v_lshlrev_b64_e64 v[14:15], v14, -1
	v_lshlrev_b64_e64 v[74:75], v63, 1
	s_delay_alu instid0(VALU_DEP_2) | instskip(SKIP_1) | instid1(VALU_DEP_4)
	v_bfi_b32 v14, v14, 0, v10
	v_lshrrev_b64 v[10:11], v62, v[10:11]
	v_bfi_b32 v15, v15, 0, 0
	s_delay_alu instid0(VALU_DEP_1) | instskip(NEXT) | instid1(VALU_DEP_3)
	v_cmp_eq_u64_e64 s7, v[14:15], v[74:75]
	v_mov_b64_e32 v[14:15], v[10:11]
	s_and_saveexec_b32 s42, s7
; %bb.10097:                            ;   in Loop: Header=BB6_6801 Depth=2
	v_bfe_u32 v14, v10, 20, 1
	v_mov_b32_e32 v15, v53
	s_delay_alu instid0(VALU_DEP_1) | instskip(NEXT) | instid1(VALU_DEP_1)
	v_add_nc_u64_e32 v[14:15], v[10:11], v[14:15]
	v_add_nc_u64_e32 v[14:15], -1, v[14:15]
; %bb.10098:                            ;   in Loop: Header=BB6_6801 Depth=2
	s_or_b32 exec_lo, exec_lo, s42
	v_add_nc_u32_e32 v11, 0xffffff81, v56
	v_lshrrev_b32_e32 v15, 23, v10
	s_mov_b32 s7, exec_lo
	s_delay_alu instid0(VALU_DEP_2) | instskip(NEXT) | instid1(VALU_DEP_1)
	v_cndmask_b32_e64 v11, v11, 0xffffff82, vcc_lo
	v_add3_u32 v56, v62, v11, v15
	v_and_b32_e32 v11, 0xfffff, v14
                                        ; implicit-def: $vgpr14
	s_delay_alu instid0(VALU_DEP_1) | instskip(SKIP_1) | instid1(VALU_DEP_2)
	v_dual_add_nc_u32 v15, 6, v56 :: v_dual_add_nc_u32 v10, v11, v10
	v_mov_b32_e32 v11, v53
	v_cmpx_ne_u32_e32 0, v15
	s_xor_b32 s7, exec_lo, s7
; %bb.10099:                            ;   in Loop: Header=BB6_6801 Depth=2
	s_delay_alu instid0(VALU_DEP_2) | instskip(SKIP_1) | instid1(VALU_DEP_1)
	v_cmp_lt_u64_e32 vcc_lo, 0xffffff, v[10:11]
	v_add_nc_u32_e32 v14, 7, v56
	v_cndmask_b32_e32 v14, v15, v14, vcc_lo
	v_cndmask_b32_e64 v15, 0, 1, vcc_lo
	s_delay_alu instid0(VALU_DEP_1)
	v_lshrrev_b64 v[10:11], v15, v[10:11]
; %bb.10100:                            ;   in Loop: Header=BB6_6801 Depth=2
	s_and_not1_saveexec_b32 s7, s7
; %bb.10101:                            ;   in Loop: Header=BB6_6801 Depth=2
	s_delay_alu instid0(VALU_DEP_1)
	v_bfe_u32 v14, v10, 23, 1
; %bb.10102:                            ;   in Loop: Header=BB6_6801 Depth=2
	s_or_b32 exec_lo, exec_lo, s7
	s_delay_alu instid0(VALU_DEP_2) | instskip(NEXT) | instid1(VALU_DEP_2)
	v_lshrrev_b64 v[10:11], 20, v[10:11]
	v_cmp_gt_i32_e32 vcc_lo, 16, v14
	v_min_i32_e32 v15, 15, v14
	v_cmp_eq_u32_e64 s7, 0, v14
	s_delay_alu instid0(VALU_DEP_4) | instskip(NEXT) | instid1(VALU_DEP_3)
	v_cndmask_b32_e32 v11, 0, v11, vcc_lo
	v_dual_cndmask_b32 v10, 7, v10 :: v_dual_lshlrev_b32 v15, 3, v15
	s_delay_alu instid0(VALU_DEP_1) | instskip(NEXT) | instid1(VALU_DEP_2)
	v_and_b32_e32 v15, 0xf8, v15
	v_cmp_eq_u64_e32 vcc_lo, 0, v[10:11]
	s_delay_alu instid0(VALU_DEP_2)
	v_and_or_b32 v10, v10, 7, v15
	s_and_b32 s7, s7, vcc_lo
	s_delay_alu instid0(VALU_DEP_1) | instid1(SALU_CYCLE_1)
	v_cndmask_b32_e64 v10, v10, 0, s7
	s_delay_alu instid0(VALU_DEP_1)
	v_or_b32_e32 v56, v10, v59
.LBB6_10103:                            ;   in Loop: Header=BB6_6801 Depth=2
	s_or_b32 exec_lo, exec_lo, s41
                                        ; implicit-def: $vgpr59
.LBB6_10104:                            ;   in Loop: Header=BB6_6801 Depth=2
	s_and_not1_saveexec_b32 s7, s40
; %bb.10105:                            ;   in Loop: Header=BB6_6801 Depth=2
	v_or_b32_e32 v56, 0x7e, v59
; %bb.10106:                            ;   in Loop: Header=BB6_6801 Depth=2
	s_or_b32 exec_lo, exec_lo, s7
                                        ; implicit-def: $vgpr11
.LBB6_10107:                            ;   in Loop: Header=BB6_6801 Depth=2
	s_and_not1_saveexec_b32 s7, s29
; %bb.10108:                            ;   in Loop: Header=BB6_6801 Depth=2
	v_or_b32_e32 v56, 0x7f, v11
; %bb.10109:                            ;   in Loop: Header=BB6_6801 Depth=2
	s_or_b32 exec_lo, exec_lo, s7
	v_dual_mov_b32 v14, 0 :: v_dual_lshrrev_b32 v59, 16, v52
	v_mov_b32_e32 v15, 0
	s_mov_b32 s7, exec_lo
	s_delay_alu instid0(VALU_DEP_2) | instskip(NEXT) | instid1(VALU_DEP_1)
	v_and_b32_e32 v10, 0xff, v59
	v_cmpx_ne_u16_e32 0, v10
	s_cbranch_execz .LBB6_10117
; %bb.10110:                            ;   in Loop: Header=BB6_6801 Depth=2
	v_bfrev_b32_e32 v15, 1
	s_mov_b32 s29, exec_lo
	v_cmpx_ne_u16_e32 0x80, v10
	s_cbranch_execz .LBB6_10116
; %bb.10111:                            ;   in Loop: Header=BB6_6801 Depth=2
	v_bfe_u32 v62, v52, 16, 7
	v_mov_b32_e32 v15, 0x7f800001
	s_mov_b32 s40, exec_lo
	s_delay_alu instid0(VALU_DEP_2)
	v_cmpx_ne_u32_e32 0x7f, v62
	s_cbranch_execz .LBB6_10115
; %bb.10112:                            ;   in Loop: Header=BB6_6801 Depth=2
	v_dual_mov_b32 v11, v53 :: v_dual_bitop2_b32 v10, 7, v59 bitop3:0x40
	v_lshrrev_b32_e32 v15, 3, v62
	s_mov_b32 s41, exec_lo
	v_cmpx_gt_u32_e32 8, v62
; %bb.10113:                            ;   in Loop: Header=BB6_6801 Depth=2
	s_delay_alu instid0(VALU_DEP_3) | instskip(NEXT) | instid1(VALU_DEP_1)
	v_clz_i32_u32_e32 v15, v10
	v_min_u32_e32 v15, 32, v15
	s_delay_alu instid0(VALU_DEP_1) | instskip(NEXT) | instid1(VALU_DEP_1)
	v_subrev_nc_u32_e32 v62, 28, v15
	v_lshlrev_b64_e32 v[10:11], v62, v[10:11]
	s_delay_alu instid0(VALU_DEP_1)
	v_dual_sub_nc_u32 v15, 29, v15 :: v_dual_bitop2_b32 v10, 7, v10 bitop3:0x40
; %bb.10114:                            ;   in Loop: Header=BB6_6801 Depth=2
	s_or_b32 exec_lo, exec_lo, s41
	s_delay_alu instid0(VALU_DEP_1) | instskip(NEXT) | instid1(VALU_DEP_2)
	v_dual_lshlrev_b32 v11, 24, v59 :: v_dual_lshlrev_b32 v10, 20, v10
	v_lshl_add_u32 v15, v15, 23, 0x3c000000
	s_delay_alu instid0(VALU_DEP_2) | instskip(NEXT) | instid1(VALU_DEP_1)
	v_and_b32_e32 v11, 0x80000000, v11
	v_or3_b32 v15, v10, v11, v15
.LBB6_10115:                            ;   in Loop: Header=BB6_6801 Depth=2
	s_or_b32 exec_lo, exec_lo, s40
.LBB6_10116:                            ;   in Loop: Header=BB6_6801 Depth=2
	s_delay_alu instid0(SALU_CYCLE_1)
	s_or_b32 exec_lo, exec_lo, s29
.LBB6_10117:                            ;   in Loop: Header=BB6_6801 Depth=2
	s_delay_alu instid0(SALU_CYCLE_1) | instskip(SKIP_2) | instid1(VALU_DEP_1)
	s_or_b32 exec_lo, exec_lo, s7
	v_lshrrev_b32_e32 v10, 16, v12
	s_mov_b32 s7, exec_lo
	v_and_b32_e32 v11, 0xff, v10
	s_delay_alu instid0(VALU_DEP_1)
	v_cmpx_ne_u16_e32 0, v11
	s_cbranch_execz .LBB6_10125
; %bb.10118:                            ;   in Loop: Header=BB6_6801 Depth=2
	v_bfrev_b32_e32 v14, 1
	s_mov_b32 s29, exec_lo
	v_cmpx_ne_u16_e32 0x80, v11
	s_cbranch_execz .LBB6_10124
; %bb.10119:                            ;   in Loop: Header=BB6_6801 Depth=2
	v_bfe_u32 v59, v12, 16, 7
	v_mov_b32_e32 v14, 0x7f800001
	s_mov_b32 s40, exec_lo
	s_delay_alu instid0(VALU_DEP_2)
	v_cmpx_ne_u32_e32 0x7f, v59
	s_cbranch_execz .LBB6_10123
; %bb.10120:                            ;   in Loop: Header=BB6_6801 Depth=2
	v_dual_mov_b32 v11, v53 :: v_dual_bitop2_b32 v10, 7, v10 bitop3:0x40
	v_lshrrev_b32_e32 v14, 3, v59
	s_mov_b32 s41, exec_lo
	v_cmpx_gt_u32_e32 8, v59
; %bb.10121:                            ;   in Loop: Header=BB6_6801 Depth=2
	s_delay_alu instid0(VALU_DEP_3) | instskip(NEXT) | instid1(VALU_DEP_1)
	v_clz_i32_u32_e32 v14, v10
	v_min_u32_e32 v14, 32, v14
	s_delay_alu instid0(VALU_DEP_1) | instskip(SKIP_1) | instid1(VALU_DEP_2)
	v_subrev_nc_u32_e32 v59, 28, v14
	v_sub_nc_u32_e32 v14, 29, v14
	v_lshlrev_b64_e32 v[10:11], v59, v[10:11]
	s_delay_alu instid0(VALU_DEP_1)
	v_and_b32_e32 v10, 7, v10
; %bb.10122:                            ;   in Loop: Header=BB6_6801 Depth=2
	s_or_b32 exec_lo, exec_lo, s41
	s_delay_alu instid0(VALU_DEP_1) | instskip(SKIP_1) | instid1(VALU_DEP_2)
	v_dual_lshlrev_b32 v11, 8, v12 :: v_dual_lshlrev_b32 v10, 20, v10
	v_lshl_add_u32 v14, v14, 23, 0x3c000000
	v_and_b32_e32 v11, 0x80000000, v11
	s_delay_alu instid0(VALU_DEP_1)
	v_or3_b32 v14, v10, v11, v14
.LBB6_10123:                            ;   in Loop: Header=BB6_6801 Depth=2
	s_or_b32 exec_lo, exec_lo, s40
.LBB6_10124:                            ;   in Loop: Header=BB6_6801 Depth=2
	s_delay_alu instid0(SALU_CYCLE_1)
	s_or_b32 exec_lo, exec_lo, s29
.LBB6_10125:                            ;   in Loop: Header=BB6_6801 Depth=2
	s_delay_alu instid0(SALU_CYCLE_1) | instskip(NEXT) | instid1(VALU_DEP_1)
	s_or_b32 exec_lo, exec_lo, s7
	v_dual_add_f32 v10, v15, v14 :: v_dual_mov_b32 v15, v53
                                        ; implicit-def: $vgpr59
	s_mov_b32 s7, exec_lo
	s_delay_alu instid0(VALU_DEP_1) | instskip(SKIP_1) | instid1(VALU_DEP_2)
	v_and_b32_e32 v14, 0x7f800000, v10
	v_lshrrev_b32_e32 v11, 24, v10
	v_cmpx_ne_u64_e32 0x7f800000, v[14:15]
	s_xor_b32 s29, exec_lo, s7
	s_cbranch_execz .LBB6_10139
; %bb.10126:                            ;   in Loop: Header=BB6_6801 Depth=2
	v_and_b32_e32 v14, 0x7fffffff, v10
	v_mov_b32_e32 v15, v53
	v_and_b32_e32 v62, 0x80, v11
                                        ; implicit-def: $vgpr59
	s_mov_b32 s7, exec_lo
	s_delay_alu instid0(VALU_DEP_2)
	v_cmpx_gt_u64_e32 0x43e00001, v[14:15]
	s_xor_b32 s40, exec_lo, s7
	s_cbranch_execz .LBB6_10136
; %bb.10127:                            ;   in Loop: Header=BB6_6801 Depth=2
	v_mov_b32_e32 v59, 0
	s_mov_b32 s41, exec_lo
	v_cmpx_ne_u32_e32 0, v10
	s_cbranch_execz .LBB6_10135
; %bb.10128:                            ;   in Loop: Header=BB6_6801 Depth=2
	v_bfe_u32 v59, v10, 23, 8
	v_and_b32_e32 v11, 0x7fffff, v10
	s_delay_alu instid0(VALU_DEP_2) | instskip(SKIP_2) | instid1(VALU_DEP_4)
	v_cmp_gt_u32_e64 s7, 0x7a, v59
	v_sub_nc_u32_e32 v10, 0x79, v59
	v_cmp_eq_u32_e32 vcc_lo, 0, v59
	v_or_b32_e32 v14, 0x800000, v11
	s_delay_alu instid0(VALU_DEP_3) | instskip(NEXT) | instid1(VALU_DEP_1)
	v_cndmask_b32_e64 v10, 0, v10, s7
	v_cndmask_b32_e64 v63, v10, 0x78, vcc_lo
	s_delay_alu instid0(VALU_DEP_3) | instskip(NEXT) | instid1(VALU_DEP_2)
	v_dual_cndmask_b32 v10, v14, v11 :: v_dual_mov_b32 v11, v53
	v_dual_add_nc_u32 v14, 20, v63 :: v_dual_add_nc_u32 v74, 19, v63
	s_delay_alu instid0(VALU_DEP_1) | instskip(NEXT) | instid1(VALU_DEP_2)
	v_lshlrev_b64_e64 v[14:15], v14, -1
	v_lshlrev_b64_e64 v[74:75], v74, 1
	s_delay_alu instid0(VALU_DEP_2) | instskip(SKIP_1) | instid1(VALU_DEP_4)
	v_bfi_b32 v14, v14, 0, v10
	v_lshrrev_b64 v[10:11], v63, v[10:11]
	v_bfi_b32 v15, v15, 0, 0
	s_delay_alu instid0(VALU_DEP_1) | instskip(NEXT) | instid1(VALU_DEP_3)
	v_cmp_eq_u64_e64 s7, v[14:15], v[74:75]
	v_mov_b64_e32 v[14:15], v[10:11]
	s_and_saveexec_b32 s42, s7
; %bb.10129:                            ;   in Loop: Header=BB6_6801 Depth=2
	v_bfe_u32 v14, v10, 20, 1
	v_mov_b32_e32 v15, v53
	s_delay_alu instid0(VALU_DEP_1) | instskip(NEXT) | instid1(VALU_DEP_1)
	v_add_nc_u64_e32 v[14:15], v[10:11], v[14:15]
	v_add_nc_u64_e32 v[14:15], -1, v[14:15]
; %bb.10130:                            ;   in Loop: Header=BB6_6801 Depth=2
	s_or_b32 exec_lo, exec_lo, s42
	v_add_nc_u32_e32 v11, 0xffffff81, v59
	v_lshrrev_b32_e32 v15, 23, v10
	s_mov_b32 s7, exec_lo
	s_delay_alu instid0(VALU_DEP_2) | instskip(NEXT) | instid1(VALU_DEP_1)
	v_cndmask_b32_e64 v11, v11, 0xffffff82, vcc_lo
	v_add3_u32 v59, v63, v11, v15
	v_and_b32_e32 v11, 0xfffff, v14
                                        ; implicit-def: $vgpr14
	s_delay_alu instid0(VALU_DEP_1) | instskip(SKIP_1) | instid1(VALU_DEP_2)
	v_dual_add_nc_u32 v15, 6, v59 :: v_dual_add_nc_u32 v10, v11, v10
	v_mov_b32_e32 v11, v53
	v_cmpx_ne_u32_e32 0, v15
	s_xor_b32 s7, exec_lo, s7
; %bb.10131:                            ;   in Loop: Header=BB6_6801 Depth=2
	s_delay_alu instid0(VALU_DEP_2) | instskip(SKIP_1) | instid1(VALU_DEP_1)
	v_cmp_lt_u64_e32 vcc_lo, 0xffffff, v[10:11]
	v_add_nc_u32_e32 v14, 7, v59
	v_cndmask_b32_e32 v14, v15, v14, vcc_lo
	v_cndmask_b32_e64 v15, 0, 1, vcc_lo
	s_delay_alu instid0(VALU_DEP_1)
	v_lshrrev_b64 v[10:11], v15, v[10:11]
; %bb.10132:                            ;   in Loop: Header=BB6_6801 Depth=2
	s_and_not1_saveexec_b32 s7, s7
; %bb.10133:                            ;   in Loop: Header=BB6_6801 Depth=2
	s_delay_alu instid0(VALU_DEP_1)
	v_bfe_u32 v14, v10, 23, 1
; %bb.10134:                            ;   in Loop: Header=BB6_6801 Depth=2
	s_or_b32 exec_lo, exec_lo, s7
	s_delay_alu instid0(VALU_DEP_2) | instskip(NEXT) | instid1(VALU_DEP_2)
	v_lshrrev_b64 v[10:11], 20, v[10:11]
	v_cmp_gt_i32_e32 vcc_lo, 16, v14
	v_min_i32_e32 v15, 15, v14
	v_cmp_eq_u32_e64 s7, 0, v14
	s_delay_alu instid0(VALU_DEP_4) | instskip(NEXT) | instid1(VALU_DEP_3)
	v_cndmask_b32_e32 v11, 0, v11, vcc_lo
	v_dual_cndmask_b32 v10, 7, v10 :: v_dual_lshlrev_b32 v15, 3, v15
	s_delay_alu instid0(VALU_DEP_1) | instskip(NEXT) | instid1(VALU_DEP_2)
	v_and_b32_e32 v15, 0xf8, v15
	v_cmp_eq_u64_e32 vcc_lo, 0, v[10:11]
	s_delay_alu instid0(VALU_DEP_2)
	v_and_or_b32 v10, v10, 7, v15
	s_and_b32 s7, s7, vcc_lo
	s_delay_alu instid0(VALU_DEP_1) | instid1(SALU_CYCLE_1)
	v_cndmask_b32_e64 v10, v10, 0, s7
	s_delay_alu instid0(VALU_DEP_1)
	v_or_b32_e32 v59, v10, v62
.LBB6_10135:                            ;   in Loop: Header=BB6_6801 Depth=2
	s_or_b32 exec_lo, exec_lo, s41
                                        ; implicit-def: $vgpr62
.LBB6_10136:                            ;   in Loop: Header=BB6_6801 Depth=2
	s_and_not1_saveexec_b32 s7, s40
; %bb.10137:                            ;   in Loop: Header=BB6_6801 Depth=2
	v_or_b32_e32 v59, 0x7e, v62
; %bb.10138:                            ;   in Loop: Header=BB6_6801 Depth=2
	s_or_b32 exec_lo, exec_lo, s7
                                        ; implicit-def: $vgpr11
.LBB6_10139:                            ;   in Loop: Header=BB6_6801 Depth=2
	s_and_not1_saveexec_b32 s7, s29
; %bb.10140:                            ;   in Loop: Header=BB6_6801 Depth=2
	v_or_b32_e32 v59, 0x7f, v11
; %bb.10141:                            ;   in Loop: Header=BB6_6801 Depth=2
	s_or_b32 exec_lo, exec_lo, s7
	v_dual_mov_b32 v14, 0 :: v_dual_mov_b32 v15, 0
	s_mov_b32 s7, exec_lo
	v_cmpx_lt_u32_e32 0xffffff, v52
	s_cbranch_execz .LBB6_10149
; %bb.10142:                            ;   in Loop: Header=BB6_6801 Depth=2
	v_lshrrev_b32_e32 v62, 24, v52
	v_bfrev_b32_e32 v15, 1
	s_mov_b32 s29, exec_lo
	s_delay_alu instid0(VALU_DEP_2)
	v_cmpx_ne_u32_e32 0x80, v62
	s_cbranch_execz .LBB6_10148
; %bb.10143:                            ;   in Loop: Header=BB6_6801 Depth=2
	v_bfe_u32 v10, v52, 24, 7
	v_mov_b32_e32 v15, 0x7f800001
	s_mov_b32 s40, exec_lo
	s_delay_alu instid0(VALU_DEP_2)
	v_cmpx_ne_u32_e32 0x7f, v10
	s_cbranch_execz .LBB6_10147
; %bb.10144:                            ;   in Loop: Header=BB6_6801 Depth=2
	v_and_b32_e32 v52, 7, v62
	v_lshrrev_b32_e32 v15, 3, v10
	v_cmp_gt_u32_e32 vcc_lo, 8, v10
	s_delay_alu instid0(VALU_DEP_3)
	v_mov_b64_e32 v[10:11], v[52:53]
	s_and_saveexec_b32 s41, vcc_lo
; %bb.10145:                            ;   in Loop: Header=BB6_6801 Depth=2
	v_clz_i32_u32_e32 v10, v52
	s_delay_alu instid0(VALU_DEP_1) | instskip(NEXT) | instid1(VALU_DEP_1)
	v_min_u32_e32 v15, 32, v10
	v_subrev_nc_u32_e32 v10, 28, v15
	s_delay_alu instid0(VALU_DEP_1) | instskip(NEXT) | instid1(VALU_DEP_1)
	v_lshlrev_b64_e32 v[10:11], v10, v[52:53]
	v_dual_sub_nc_u32 v15, 29, v15 :: v_dual_bitop2_b32 v10, 7, v10 bitop3:0x40
; %bb.10146:                            ;   in Loop: Header=BB6_6801 Depth=2
	s_or_b32 exec_lo, exec_lo, s41
	v_lshlrev_b32_e32 v11, 24, v62
	s_delay_alu instid0(VALU_DEP_2) | instskip(NEXT) | instid1(VALU_DEP_3)
	v_lshlrev_b32_e32 v10, 20, v10
	v_lshl_add_u32 v15, v15, 23, 0x3c000000
	s_delay_alu instid0(VALU_DEP_3) | instskip(NEXT) | instid1(VALU_DEP_1)
	v_and_b32_e32 v11, 0x80000000, v11
	v_or3_b32 v15, v10, v11, v15
.LBB6_10147:                            ;   in Loop: Header=BB6_6801 Depth=2
	s_or_b32 exec_lo, exec_lo, s40
.LBB6_10148:                            ;   in Loop: Header=BB6_6801 Depth=2
	s_delay_alu instid0(SALU_CYCLE_1)
	s_or_b32 exec_lo, exec_lo, s29
.LBB6_10149:                            ;   in Loop: Header=BB6_6801 Depth=2
	s_delay_alu instid0(SALU_CYCLE_1) | instskip(NEXT) | instid1(SALU_CYCLE_1)
	s_or_b32 exec_lo, exec_lo, s7
	s_mov_b32 s7, exec_lo
	v_cmpx_lt_u32_e32 0xffffff, v12
	s_cbranch_execz .LBB6_10157
; %bb.10150:                            ;   in Loop: Header=BB6_6801 Depth=2
	v_lshrrev_b32_e32 v62, 24, v12
	v_bfrev_b32_e32 v14, 1
	s_mov_b32 s29, exec_lo
	s_delay_alu instid0(VALU_DEP_2)
	v_cmpx_ne_u32_e32 0x80, v62
	s_cbranch_execz .LBB6_10156
; %bb.10151:                            ;   in Loop: Header=BB6_6801 Depth=2
	v_bfe_u32 v10, v12, 24, 7
	v_mov_b32_e32 v14, 0x7f800001
	s_mov_b32 s40, exec_lo
	s_delay_alu instid0(VALU_DEP_2)
	v_cmpx_ne_u32_e32 0x7f, v10
	s_cbranch_execz .LBB6_10155
; %bb.10152:                            ;   in Loop: Header=BB6_6801 Depth=2
	v_and_b32_e32 v52, 7, v62
	v_lshrrev_b32_e32 v14, 3, v10
	v_cmp_gt_u32_e32 vcc_lo, 8, v10
	s_delay_alu instid0(VALU_DEP_3)
	v_mov_b64_e32 v[10:11], v[52:53]
	s_and_saveexec_b32 s41, vcc_lo
; %bb.10153:                            ;   in Loop: Header=BB6_6801 Depth=2
	v_clz_i32_u32_e32 v10, v52
	s_delay_alu instid0(VALU_DEP_1) | instskip(NEXT) | instid1(VALU_DEP_1)
	v_min_u32_e32 v14, 32, v10
	v_subrev_nc_u32_e32 v10, 28, v14
	v_sub_nc_u32_e32 v14, 29, v14
	s_delay_alu instid0(VALU_DEP_2) | instskip(NEXT) | instid1(VALU_DEP_1)
	v_lshlrev_b64_e32 v[10:11], v10, v[52:53]
	v_and_b32_e32 v10, 7, v10
; %bb.10154:                            ;   in Loop: Header=BB6_6801 Depth=2
	s_or_b32 exec_lo, exec_lo, s41
	v_lshlrev_b32_e32 v11, 24, v62
	s_delay_alu instid0(VALU_DEP_2) | instskip(SKIP_1) | instid1(VALU_DEP_3)
	v_lshlrev_b32_e32 v10, 20, v10
	v_lshl_add_u32 v14, v14, 23, 0x3c000000
	v_and_b32_e32 v11, 0x80000000, v11
	s_delay_alu instid0(VALU_DEP_1)
	v_or3_b32 v14, v10, v11, v14
.LBB6_10155:                            ;   in Loop: Header=BB6_6801 Depth=2
	s_or_b32 exec_lo, exec_lo, s40
.LBB6_10156:                            ;   in Loop: Header=BB6_6801 Depth=2
	s_delay_alu instid0(SALU_CYCLE_1)
	s_or_b32 exec_lo, exec_lo, s29
.LBB6_10157:                            ;   in Loop: Header=BB6_6801 Depth=2
	s_delay_alu instid0(SALU_CYCLE_1) | instskip(NEXT) | instid1(VALU_DEP_1)
	s_or_b32 exec_lo, exec_lo, s7
	v_add_f32_e32 v10, v15, v14
                                        ; implicit-def: $vgpr62
	s_mov_b32 s7, exec_lo
	s_delay_alu instid0(VALU_DEP_1) | instskip(SKIP_1) | instid1(VALU_DEP_2)
	v_and_b32_e32 v52, 0x7f800000, v10
	v_lshrrev_b32_e32 v11, 24, v10
	v_cmpx_ne_u64_e32 0x7f800000, v[52:53]
	s_xor_b32 s29, exec_lo, s7
	s_cbranch_execz .LBB6_10171
; %bb.10158:                            ;   in Loop: Header=BB6_6801 Depth=2
	v_and_b32_e32 v52, 0x7fffffff, v10
	v_and_b32_e32 v63, 0x80, v11
                                        ; implicit-def: $vgpr62
	s_mov_b32 s7, exec_lo
	s_delay_alu instid0(VALU_DEP_2)
	v_cmpx_gt_u64_e32 0x43e00001, v[52:53]
	s_xor_b32 s40, exec_lo, s7
	s_cbranch_execz .LBB6_10168
; %bb.10159:                            ;   in Loop: Header=BB6_6801 Depth=2
	v_mov_b32_e32 v62, 0
	s_mov_b32 s41, exec_lo
	v_cmpx_ne_u32_e32 0, v10
	s_cbranch_execz .LBB6_10167
; %bb.10160:                            ;   in Loop: Header=BB6_6801 Depth=2
	v_bfe_u32 v62, v10, 23, 8
	v_and_b32_e32 v11, 0x7fffff, v10
	s_delay_alu instid0(VALU_DEP_2) | instskip(SKIP_2) | instid1(VALU_DEP_4)
	v_cmp_gt_u32_e64 s7, 0x7a, v62
	v_sub_nc_u32_e32 v10, 0x79, v62
	v_cmp_eq_u32_e32 vcc_lo, 0, v62
	v_or_b32_e32 v14, 0x800000, v11
	s_delay_alu instid0(VALU_DEP_1) | instskip(NEXT) | instid1(VALU_DEP_1)
	v_dual_cndmask_b32 v10, 0, v10, s7 :: v_dual_cndmask_b32 v52, v14, v11, vcc_lo
	v_cndmask_b32_e64 v74, v10, 0x78, vcc_lo
	s_delay_alu instid0(VALU_DEP_1) | instskip(NEXT) | instid1(VALU_DEP_1)
	v_dual_add_nc_u32 v10, 20, v74 :: v_dual_add_nc_u32 v14, 19, v74
	v_lshlrev_b64_e64 v[10:11], v10, -1
	s_delay_alu instid0(VALU_DEP_2) | instskip(NEXT) | instid1(VALU_DEP_2)
	v_lshlrev_b64_e64 v[14:15], v14, 1
	v_bfi_b32 v11, v11, 0, 0
	s_delay_alu instid0(VALU_DEP_3) | instskip(NEXT) | instid1(VALU_DEP_1)
	v_bfi_b32 v10, v10, 0, v52
	v_cmp_eq_u64_e64 s7, v[10:11], v[14:15]
	v_lshrrev_b64 v[10:11], v74, v[52:53]
	s_delay_alu instid0(VALU_DEP_1)
	v_mov_b64_e32 v[14:15], v[10:11]
	s_and_saveexec_b32 s42, s7
; %bb.10161:                            ;   in Loop: Header=BB6_6801 Depth=2
	v_bfe_u32 v52, v10, 20, 1
	s_delay_alu instid0(VALU_DEP_1) | instskip(NEXT) | instid1(VALU_DEP_1)
	v_add_nc_u64_e32 v[14:15], v[10:11], v[52:53]
	v_add_nc_u64_e32 v[14:15], -1, v[14:15]
; %bb.10162:                            ;   in Loop: Header=BB6_6801 Depth=2
	s_or_b32 exec_lo, exec_lo, s42
	v_add_nc_u32_e32 v11, 0xffffff81, v62
	v_lshrrev_b32_e32 v15, 23, v10
	s_mov_b32 s7, exec_lo
	s_delay_alu instid0(VALU_DEP_2) | instskip(NEXT) | instid1(VALU_DEP_1)
	v_cndmask_b32_e64 v11, v11, 0xffffff82, vcc_lo
	v_add3_u32 v62, v74, v11, v15
	v_and_b32_e32 v11, 0xfffff, v14
                                        ; implicit-def: $vgpr14
	s_delay_alu instid0(VALU_DEP_2) | instskip(NEXT) | instid1(VALU_DEP_2)
	v_add_nc_u32_e32 v15, 6, v62
	v_add_nc_u32_e32 v52, v11, v10
                                        ; implicit-def: $vgpr10_vgpr11
	s_delay_alu instid0(VALU_DEP_2)
	v_cmpx_ne_u32_e32 0, v15
	s_xor_b32 s7, exec_lo, s7
; %bb.10163:                            ;   in Loop: Header=BB6_6801 Depth=2
	s_delay_alu instid0(VALU_DEP_2) | instskip(SKIP_1) | instid1(VALU_DEP_1)
	v_cmp_lt_u64_e32 vcc_lo, 0xffffff, v[52:53]
	v_add_nc_u32_e32 v10, 7, v62
	v_cndmask_b32_e32 v14, v15, v10, vcc_lo
	v_cndmask_b32_e64 v10, 0, 1, vcc_lo
	s_delay_alu instid0(VALU_DEP_1)
	v_lshrrev_b64 v[10:11], v10, v[52:53]
; %bb.10164:                            ;   in Loop: Header=BB6_6801 Depth=2
	s_and_not1_saveexec_b32 s7, s7
; %bb.10165:                            ;   in Loop: Header=BB6_6801 Depth=2
	v_mov_b64_e32 v[10:11], v[52:53]
	v_bfe_u32 v14, v52, 23, 1
; %bb.10166:                            ;   in Loop: Header=BB6_6801 Depth=2
	s_or_b32 exec_lo, exec_lo, s7
	s_delay_alu instid0(VALU_DEP_2) | instskip(NEXT) | instid1(VALU_DEP_2)
	v_lshrrev_b64 v[10:11], 20, v[10:11]
	v_cmp_gt_i32_e32 vcc_lo, 16, v14
	v_min_i32_e32 v15, 15, v14
	v_cmp_eq_u32_e64 s7, 0, v14
	s_delay_alu instid0(VALU_DEP_4) | instskip(NEXT) | instid1(VALU_DEP_3)
	v_cndmask_b32_e32 v11, 0, v11, vcc_lo
	v_dual_cndmask_b32 v10, 7, v10 :: v_dual_lshlrev_b32 v15, 3, v15
	s_delay_alu instid0(VALU_DEP_1) | instskip(NEXT) | instid1(VALU_DEP_2)
	v_and_b32_e32 v15, 0xf8, v15
	v_cmp_eq_u64_e32 vcc_lo, 0, v[10:11]
	s_delay_alu instid0(VALU_DEP_2)
	v_and_or_b32 v10, v10, 7, v15
	s_and_b32 s7, s7, vcc_lo
	s_delay_alu instid0(VALU_DEP_1) | instid1(SALU_CYCLE_1)
	v_cndmask_b32_e64 v10, v10, 0, s7
	s_delay_alu instid0(VALU_DEP_1)
	v_or_b32_e32 v62, v10, v63
.LBB6_10167:                            ;   in Loop: Header=BB6_6801 Depth=2
	s_or_b32 exec_lo, exec_lo, s41
                                        ; implicit-def: $vgpr63
.LBB6_10168:                            ;   in Loop: Header=BB6_6801 Depth=2
	s_and_not1_saveexec_b32 s7, s40
; %bb.10169:                            ;   in Loop: Header=BB6_6801 Depth=2
	v_or_b32_e32 v62, 0x7e, v63
; %bb.10170:                            ;   in Loop: Header=BB6_6801 Depth=2
	s_or_b32 exec_lo, exec_lo, s7
                                        ; implicit-def: $vgpr11
.LBB6_10171:                            ;   in Loop: Header=BB6_6801 Depth=2
	s_and_not1_saveexec_b32 s7, s29
; %bb.10172:                            ;   in Loop: Header=BB6_6801 Depth=2
	v_or_b32_e32 v62, 0x7f, v11
; %bb.10173:                            ;   in Loop: Header=BB6_6801 Depth=2
	s_or_b32 exec_lo, exec_lo, s7
	v_dual_lshlrev_b32 v10, 24, v58 :: v_dual_lshlrev_b32 v11, 16, v47
	v_lshl_or_b32 v47, v3, 8, v44
	v_mov_b32_e32 v3, 0
	s_mov_b32 s7, exec_lo
	s_delay_alu instid0(VALU_DEP_2)
	v_or3_b32 v52, v11, v10, v47
	v_mov_b32_e32 v10, 0
	v_cmpx_ne_u32_e32 0, v44
	s_cbranch_execz .LBB6_10179
; %bb.10174:                            ;   in Loop: Header=BB6_6801 Depth=2
	v_bfrev_b32_e32 v10, 1
	s_mov_b32 s29, exec_lo
	v_cmpx_ne_u32_e32 0x80, v44
	s_cbranch_execz .LBB6_10178
; %bb.10175:                            ;   in Loop: Header=BB6_6801 Depth=2
	v_and_b32_e32 v11, 0x7f, v44
	v_mov_b32_e32 v10, 0x7f800001
	s_mov_b32 s40, exec_lo
	s_delay_alu instid0(VALU_DEP_2)
	v_cmpx_ne_u32_e32 0x7f, v11
	s_cbranch_execz .LBB6_10177
; %bb.10176:                            ;   in Loop: Header=BB6_6801 Depth=2
	v_dual_lshrrev_b32 v14, 3, v11 :: v_dual_bitop2_b32 v10, 7, v44 bitop3:0x40
	v_cmp_gt_u32_e32 vcc_lo, 8, v11
	s_delay_alu instid0(VALU_DEP_2) | instskip(NEXT) | instid1(VALU_DEP_1)
	v_clz_i32_u32_e32 v10, v10
	v_min_u32_e32 v10, 32, v10
	s_delay_alu instid0(VALU_DEP_1) | instskip(SKIP_1) | instid1(VALU_DEP_1)
	v_subrev_nc_u32_e32 v11, 28, v10
	v_sub_nc_u32_e32 v10, 29, v10
	v_dual_cndmask_b32 v14, v14, v10, vcc_lo :: v_dual_cndmask_b32 v10, 0, v11, vcc_lo
	s_delay_alu instid0(VALU_DEP_1) | instskip(NEXT) | instid1(VALU_DEP_2)
	v_lshl_add_u32 v14, v14, 23, 0x3c000000
	v_lshlrev_b64_e32 v[10:11], v10, v[52:53]
	v_lshlrev_b32_e32 v11, 24, v52
	s_delay_alu instid0(VALU_DEP_1) | instskip(NEXT) | instid1(VALU_DEP_3)
	v_and_b32_e32 v11, 0x80000000, v11
	v_lshlrev_b32_e32 v10, 20, v10
	s_delay_alu instid0(VALU_DEP_1) | instskip(NEXT) | instid1(VALU_DEP_1)
	v_and_b32_e32 v10, 0x700000, v10
	v_or3_b32 v10, v10, v11, v14
.LBB6_10177:                            ;   in Loop: Header=BB6_6801 Depth=2
	s_or_b32 exec_lo, exec_lo, s40
.LBB6_10178:                            ;   in Loop: Header=BB6_6801 Depth=2
	s_delay_alu instid0(SALU_CYCLE_1)
	s_or_b32 exec_lo, exec_lo, s29
.LBB6_10179:                            ;   in Loop: Header=BB6_6801 Depth=2
	s_delay_alu instid0(SALU_CYCLE_1) | instskip(SKIP_2) | instid1(VALU_DEP_1)
	s_or_b32 exec_lo, exec_lo, s7
	v_and_b32_e32 v11, 0xff, v13
	s_mov_b32 s7, exec_lo
	v_cmpx_ne_u16_e32 0, v11
	s_cbranch_execz .LBB6_10185
; %bb.10180:                            ;   in Loop: Header=BB6_6801 Depth=2
	v_bfrev_b32_e32 v3, 1
	s_mov_b32 s29, exec_lo
	v_cmpx_ne_u16_e32 0x80, v11
	s_cbranch_execz .LBB6_10184
; %bb.10181:                            ;   in Loop: Header=BB6_6801 Depth=2
	v_and_b32_e32 v11, 0x7f, v13
	v_mov_b32_e32 v3, 0x7f800001
	s_mov_b32 s40, exec_lo
	s_delay_alu instid0(VALU_DEP_2)
	v_cmpx_ne_u32_e32 0x7f, v11
	s_cbranch_execz .LBB6_10183
; %bb.10182:                            ;   in Loop: Header=BB6_6801 Depth=2
	v_dual_lshrrev_b32 v44, 3, v11 :: v_dual_bitop2_b32 v3, 7, v13 bitop3:0x40
	v_cmp_gt_u32_e32 vcc_lo, 8, v11
	v_mov_b32_e32 v14, v13
	s_delay_alu instid0(VALU_DEP_3) | instskip(NEXT) | instid1(VALU_DEP_1)
	v_clz_i32_u32_e32 v3, v3
	v_min_u32_e32 v3, 32, v3
	s_delay_alu instid0(VALU_DEP_1) | instskip(SKIP_1) | instid1(VALU_DEP_2)
	v_sub_nc_u32_e32 v58, 29, v3
	v_subrev_nc_u32_e32 v3, 28, v3
	v_dual_mov_b32 v15, v53 :: v_dual_cndmask_b32 v11, v44, v58, vcc_lo
	s_delay_alu instid0(VALU_DEP_2) | instskip(NEXT) | instid1(VALU_DEP_2)
	v_cndmask_b32_e32 v3, 0, v3, vcc_lo
	v_lshl_add_u32 v11, v11, 23, 0x3c000000
	s_delay_alu instid0(VALU_DEP_2) | instskip(SKIP_1) | instid1(VALU_DEP_1)
	v_lshlrev_b64_e32 v[74:75], v3, v[14:15]
	v_lshlrev_b32_e32 v3, 24, v14
	v_and_b32_e32 v3, 0x80000000, v3
	s_delay_alu instid0(VALU_DEP_3) | instskip(NEXT) | instid1(VALU_DEP_1)
	v_lshlrev_b32_e32 v14, 20, v74
	v_and_b32_e32 v14, 0x700000, v14
	s_delay_alu instid0(VALU_DEP_1)
	v_or3_b32 v3, v14, v3, v11
.LBB6_10183:                            ;   in Loop: Header=BB6_6801 Depth=2
	s_or_b32 exec_lo, exec_lo, s40
.LBB6_10184:                            ;   in Loop: Header=BB6_6801 Depth=2
	s_delay_alu instid0(SALU_CYCLE_1)
	s_or_b32 exec_lo, exec_lo, s29
.LBB6_10185:                            ;   in Loop: Header=BB6_6801 Depth=2
	s_delay_alu instid0(SALU_CYCLE_1) | instskip(NEXT) | instid1(VALU_DEP_1)
	s_or_b32 exec_lo, exec_lo, s7
	v_dual_add_f32 v10, v10, v3 :: v_dual_mov_b32 v15, v53
                                        ; implicit-def: $vgpr3
	s_mov_b32 s7, exec_lo
	s_delay_alu instid0(VALU_DEP_1) | instskip(SKIP_1) | instid1(VALU_DEP_2)
	v_and_b32_e32 v14, 0x7f800000, v10
	v_lshrrev_b32_e32 v11, 24, v10
	v_cmpx_ne_u64_e32 0x7f800000, v[14:15]
	s_xor_b32 s29, exec_lo, s7
	s_cbranch_execz .LBB6_10199
; %bb.10186:                            ;   in Loop: Header=BB6_6801 Depth=2
	v_and_b32_e32 v14, 0x7fffffff, v10
	v_mov_b32_e32 v15, v53
	v_and_b32_e32 v44, 0x80, v11
                                        ; implicit-def: $vgpr3
	s_mov_b32 s7, exec_lo
	s_delay_alu instid0(VALU_DEP_2)
	v_cmpx_gt_u64_e32 0x43e00001, v[14:15]
	s_xor_b32 s40, exec_lo, s7
	s_cbranch_execz .LBB6_10196
; %bb.10187:                            ;   in Loop: Header=BB6_6801 Depth=2
	v_mov_b32_e32 v3, 0
	s_mov_b32 s41, exec_lo
	v_cmpx_ne_u32_e32 0, v10
	s_cbranch_execz .LBB6_10195
; %bb.10188:                            ;   in Loop: Header=BB6_6801 Depth=2
	v_bfe_u32 v3, v10, 23, 8
	v_and_b32_e32 v11, 0x7fffff, v10
	s_delay_alu instid0(VALU_DEP_2) | instskip(SKIP_2) | instid1(VALU_DEP_4)
	v_cmp_gt_u32_e64 s7, 0x7a, v3
	v_sub_nc_u32_e32 v10, 0x79, v3
	v_cmp_eq_u32_e32 vcc_lo, 0, v3
	v_or_b32_e32 v14, 0x800000, v11
	s_delay_alu instid0(VALU_DEP_3) | instskip(NEXT) | instid1(VALU_DEP_1)
	v_cndmask_b32_e64 v10, 0, v10, s7
	v_cndmask_b32_e64 v58, v10, 0x78, vcc_lo
	s_delay_alu instid0(VALU_DEP_3) | instskip(NEXT) | instid1(VALU_DEP_2)
	v_dual_cndmask_b32 v10, v14, v11 :: v_dual_mov_b32 v11, v53
	v_dual_add_nc_u32 v14, 20, v58 :: v_dual_add_nc_u32 v63, 19, v58
	s_delay_alu instid0(VALU_DEP_1) | instskip(NEXT) | instid1(VALU_DEP_2)
	v_lshlrev_b64_e64 v[14:15], v14, -1
	v_lshlrev_b64_e64 v[74:75], v63, 1
	s_delay_alu instid0(VALU_DEP_2) | instskip(SKIP_1) | instid1(VALU_DEP_4)
	v_bfi_b32 v14, v14, 0, v10
	v_lshrrev_b64 v[10:11], v58, v[10:11]
	v_bfi_b32 v15, v15, 0, 0
	s_delay_alu instid0(VALU_DEP_1) | instskip(NEXT) | instid1(VALU_DEP_3)
	v_cmp_eq_u64_e64 s7, v[14:15], v[74:75]
	v_mov_b64_e32 v[14:15], v[10:11]
	s_and_saveexec_b32 s42, s7
; %bb.10189:                            ;   in Loop: Header=BB6_6801 Depth=2
	v_bfe_u32 v14, v10, 20, 1
	v_mov_b32_e32 v15, v53
	s_delay_alu instid0(VALU_DEP_1) | instskip(NEXT) | instid1(VALU_DEP_1)
	v_add_nc_u64_e32 v[14:15], v[10:11], v[14:15]
	v_add_nc_u64_e32 v[14:15], -1, v[14:15]
; %bb.10190:                            ;   in Loop: Header=BB6_6801 Depth=2
	s_or_b32 exec_lo, exec_lo, s42
	v_add_nc_u32_e32 v3, 0xffffff81, v3
	v_lshrrev_b32_e32 v11, 23, v10
	s_mov_b32 s7, exec_lo
	s_delay_alu instid0(VALU_DEP_2) | instskip(NEXT) | instid1(VALU_DEP_1)
	v_cndmask_b32_e64 v3, v3, 0xffffff82, vcc_lo
	v_add3_u32 v15, v58, v3, v11
	v_and_b32_e32 v3, 0xfffff, v14
	s_delay_alu instid0(VALU_DEP_2) | instskip(NEXT) | instid1(VALU_DEP_2)
	v_dual_mov_b32 v11, v53 :: v_dual_add_nc_u32 v14, 6, v15
	v_add_nc_u32_e32 v10, v3, v10
                                        ; implicit-def: $vgpr3
	s_delay_alu instid0(VALU_DEP_2)
	v_cmpx_ne_u32_e32 0, v14
	s_xor_b32 s7, exec_lo, s7
; %bb.10191:                            ;   in Loop: Header=BB6_6801 Depth=2
	s_delay_alu instid0(VALU_DEP_2) | instskip(SKIP_1) | instid1(VALU_DEP_1)
	v_cmp_lt_u64_e32 vcc_lo, 0xffffff, v[10:11]
	v_add_nc_u32_e32 v3, 7, v15
	v_cndmask_b32_e32 v3, v14, v3, vcc_lo
	v_cndmask_b32_e64 v14, 0, 1, vcc_lo
	s_delay_alu instid0(VALU_DEP_1)
	v_lshrrev_b64 v[10:11], v14, v[10:11]
; %bb.10192:                            ;   in Loop: Header=BB6_6801 Depth=2
	s_and_not1_saveexec_b32 s7, s7
; %bb.10193:                            ;   in Loop: Header=BB6_6801 Depth=2
	s_delay_alu instid0(VALU_DEP_1)
	v_bfe_u32 v3, v10, 23, 1
; %bb.10194:                            ;   in Loop: Header=BB6_6801 Depth=2
	s_or_b32 exec_lo, exec_lo, s7
	s_delay_alu instid0(VALU_DEP_2) | instskip(NEXT) | instid1(VALU_DEP_2)
	v_lshrrev_b64 v[10:11], 20, v[10:11]
	v_cmp_gt_i32_e32 vcc_lo, 16, v3
	v_min_i32_e32 v14, 15, v3
	v_cmp_eq_u32_e64 s7, 0, v3
	s_delay_alu instid0(VALU_DEP_4) | instskip(NEXT) | instid1(VALU_DEP_3)
	v_cndmask_b32_e32 v10, 7, v10, vcc_lo
	v_dual_cndmask_b32 v11, 0, v11 :: v_dual_lshlrev_b32 v14, 3, v14
	s_delay_alu instid0(VALU_DEP_1) | instskip(NEXT) | instid1(VALU_DEP_2)
	v_and_b32_e32 v14, 0xf8, v14
	v_cmp_eq_u64_e32 vcc_lo, 0, v[10:11]
	s_delay_alu instid0(VALU_DEP_2)
	v_and_or_b32 v3, v10, 7, v14
	s_and_b32 s7, s7, vcc_lo
	s_delay_alu instid0(VALU_DEP_1) | instid1(SALU_CYCLE_1)
	v_cndmask_b32_e64 v3, v3, 0, s7
	s_delay_alu instid0(VALU_DEP_1)
	v_or_b32_e32 v3, v3, v44
.LBB6_10195:                            ;   in Loop: Header=BB6_6801 Depth=2
	s_or_b32 exec_lo, exec_lo, s41
                                        ; implicit-def: $vgpr44
.LBB6_10196:                            ;   in Loop: Header=BB6_6801 Depth=2
	s_and_not1_saveexec_b32 s7, s40
; %bb.10197:                            ;   in Loop: Header=BB6_6801 Depth=2
	v_or_b32_e32 v3, 0x7e, v44
; %bb.10198:                            ;   in Loop: Header=BB6_6801 Depth=2
	s_or_b32 exec_lo, exec_lo, s7
                                        ; implicit-def: $vgpr11
.LBB6_10199:                            ;   in Loop: Header=BB6_6801 Depth=2
	s_and_not1_saveexec_b32 s7, s29
; %bb.10200:                            ;   in Loop: Header=BB6_6801 Depth=2
	v_or_b32_e32 v3, 0x7f, v11
; %bb.10201:                            ;   in Loop: Header=BB6_6801 Depth=2
	s_or_b32 exec_lo, exec_lo, s7
	v_lshrrev_b16 v10, 8, v47
	v_dual_mov_b32 v14, 0 :: v_dual_mov_b32 v15, 0
	s_mov_b32 s7, exec_lo
	s_delay_alu instid0(VALU_DEP_2)
	v_cmpx_ne_u16_e32 0, v10
	s_cbranch_execz .LBB6_10209
; %bb.10202:                            ;   in Loop: Header=BB6_6801 Depth=2
	v_bfrev_b32_e32 v15, 1
	s_mov_b32 s29, exec_lo
	v_cmpx_ne_u16_e32 0x80, v10
	s_cbranch_execz .LBB6_10208
; %bb.10203:                            ;   in Loop: Header=BB6_6801 Depth=2
	v_and_b32_e32 v10, 0xffff, v10
	v_mov_b32_e32 v15, 0x7f800001
	s_mov_b32 s40, exec_lo
	s_delay_alu instid0(VALU_DEP_2) | instskip(NEXT) | instid1(VALU_DEP_1)
	v_and_b32_e32 v44, 0x7f, v10
	v_cmpx_ne_u32_e32 0x7f, v44
	s_cbranch_execz .LBB6_10207
; %bb.10204:                            ;   in Loop: Header=BB6_6801 Depth=2
	v_dual_mov_b32 v11, v53 :: v_dual_bitop2_b32 v10, 7, v10 bitop3:0x40
	v_lshrrev_b32_e32 v15, 3, v44
	s_mov_b32 s41, exec_lo
	v_cmpx_gt_u32_e32 8, v44
; %bb.10205:                            ;   in Loop: Header=BB6_6801 Depth=2
	s_delay_alu instid0(VALU_DEP_3) | instskip(NEXT) | instid1(VALU_DEP_1)
	v_clz_i32_u32_e32 v15, v10
	v_min_u32_e32 v15, 32, v15
	s_delay_alu instid0(VALU_DEP_1) | instskip(NEXT) | instid1(VALU_DEP_1)
	v_subrev_nc_u32_e32 v44, 28, v15
	v_lshlrev_b64_e32 v[10:11], v44, v[10:11]
	s_delay_alu instid0(VALU_DEP_1)
	v_dual_sub_nc_u32 v15, 29, v15 :: v_dual_bitop2_b32 v10, 7, v10 bitop3:0x40
; %bb.10206:                            ;   in Loop: Header=BB6_6801 Depth=2
	s_or_b32 exec_lo, exec_lo, s41
	s_delay_alu instid0(VALU_DEP_1) | instskip(NEXT) | instid1(VALU_DEP_2)
	v_dual_lshlrev_b32 v11, 16, v47 :: v_dual_lshlrev_b32 v10, 20, v10
	v_lshl_add_u32 v15, v15, 23, 0x3c000000
	s_delay_alu instid0(VALU_DEP_2) | instskip(NEXT) | instid1(VALU_DEP_1)
	v_and_b32_e32 v11, 0x80000000, v11
	v_or3_b32 v15, v10, v11, v15
.LBB6_10207:                            ;   in Loop: Header=BB6_6801 Depth=2
	s_or_b32 exec_lo, exec_lo, s40
.LBB6_10208:                            ;   in Loop: Header=BB6_6801 Depth=2
	s_delay_alu instid0(SALU_CYCLE_1)
	s_or_b32 exec_lo, exec_lo, s29
.LBB6_10209:                            ;   in Loop: Header=BB6_6801 Depth=2
	s_delay_alu instid0(SALU_CYCLE_1) | instskip(SKIP_2) | instid1(VALU_DEP_1)
	s_or_b32 exec_lo, exec_lo, s7
	v_lshrrev_b16 v10, 8, v13
	s_mov_b32 s7, exec_lo
	v_cmpx_ne_u16_e32 0, v10
	s_cbranch_execz .LBB6_10217
; %bb.10210:                            ;   in Loop: Header=BB6_6801 Depth=2
	v_bfrev_b32_e32 v14, 1
	s_mov_b32 s29, exec_lo
	v_cmpx_ne_u16_e32 0x80, v10
	s_cbranch_execz .LBB6_10216
; %bb.10211:                            ;   in Loop: Header=BB6_6801 Depth=2
	v_and_b32_e32 v10, 0xffff, v10
	v_mov_b32_e32 v14, 0x7f800001
	s_mov_b32 s40, exec_lo
	s_delay_alu instid0(VALU_DEP_2) | instskip(NEXT) | instid1(VALU_DEP_1)
	v_and_b32_e32 v44, 0x7f, v10
	v_cmpx_ne_u32_e32 0x7f, v44
	s_cbranch_execz .LBB6_10215
; %bb.10212:                            ;   in Loop: Header=BB6_6801 Depth=2
	v_dual_mov_b32 v11, v53 :: v_dual_bitop2_b32 v10, 7, v10 bitop3:0x40
	v_lshrrev_b32_e32 v14, 3, v44
	s_mov_b32 s41, exec_lo
	v_cmpx_gt_u32_e32 8, v44
; %bb.10213:                            ;   in Loop: Header=BB6_6801 Depth=2
	s_delay_alu instid0(VALU_DEP_3) | instskip(NEXT) | instid1(VALU_DEP_1)
	v_clz_i32_u32_e32 v14, v10
	v_min_u32_e32 v14, 32, v14
	s_delay_alu instid0(VALU_DEP_1) | instskip(SKIP_1) | instid1(VALU_DEP_2)
	v_subrev_nc_u32_e32 v44, 28, v14
	v_sub_nc_u32_e32 v14, 29, v14
	v_lshlrev_b64_e32 v[10:11], v44, v[10:11]
	s_delay_alu instid0(VALU_DEP_1)
	v_and_b32_e32 v10, 7, v10
; %bb.10214:                            ;   in Loop: Header=BB6_6801 Depth=2
	s_or_b32 exec_lo, exec_lo, s41
	s_delay_alu instid0(VALU_DEP_1) | instskip(SKIP_1) | instid1(VALU_DEP_2)
	v_dual_lshlrev_b32 v11, 16, v13 :: v_dual_lshlrev_b32 v10, 20, v10
	v_lshl_add_u32 v14, v14, 23, 0x3c000000
	v_and_b32_e32 v11, 0x80000000, v11
	s_delay_alu instid0(VALU_DEP_1)
	v_or3_b32 v14, v10, v11, v14
.LBB6_10215:                            ;   in Loop: Header=BB6_6801 Depth=2
	s_or_b32 exec_lo, exec_lo, s40
.LBB6_10216:                            ;   in Loop: Header=BB6_6801 Depth=2
	s_delay_alu instid0(SALU_CYCLE_1)
	s_or_b32 exec_lo, exec_lo, s29
.LBB6_10217:                            ;   in Loop: Header=BB6_6801 Depth=2
	s_delay_alu instid0(SALU_CYCLE_1) | instskip(NEXT) | instid1(VALU_DEP_1)
	s_or_b32 exec_lo, exec_lo, s7
	v_dual_add_f32 v10, v15, v14 :: v_dual_mov_b32 v15, v53
                                        ; implicit-def: $vgpr44
	s_mov_b32 s7, exec_lo
	s_delay_alu instid0(VALU_DEP_1) | instskip(SKIP_1) | instid1(VALU_DEP_2)
	v_and_b32_e32 v14, 0x7f800000, v10
	v_lshrrev_b32_e32 v11, 24, v10
	v_cmpx_ne_u64_e32 0x7f800000, v[14:15]
	s_xor_b32 s29, exec_lo, s7
	s_cbranch_execz .LBB6_10231
; %bb.10218:                            ;   in Loop: Header=BB6_6801 Depth=2
	v_and_b32_e32 v14, 0x7fffffff, v10
	v_mov_b32_e32 v15, v53
	v_and_b32_e32 v47, 0x80, v11
                                        ; implicit-def: $vgpr44
	s_mov_b32 s7, exec_lo
	s_delay_alu instid0(VALU_DEP_2)
	v_cmpx_gt_u64_e32 0x43e00001, v[14:15]
	s_xor_b32 s40, exec_lo, s7
	s_cbranch_execz .LBB6_10228
; %bb.10219:                            ;   in Loop: Header=BB6_6801 Depth=2
	v_mov_b32_e32 v44, 0
	s_mov_b32 s41, exec_lo
	v_cmpx_ne_u32_e32 0, v10
	s_cbranch_execz .LBB6_10227
; %bb.10220:                            ;   in Loop: Header=BB6_6801 Depth=2
	v_bfe_u32 v44, v10, 23, 8
	v_and_b32_e32 v11, 0x7fffff, v10
	s_delay_alu instid0(VALU_DEP_2) | instskip(SKIP_2) | instid1(VALU_DEP_4)
	v_cmp_gt_u32_e64 s7, 0x7a, v44
	v_sub_nc_u32_e32 v10, 0x79, v44
	v_cmp_eq_u32_e32 vcc_lo, 0, v44
	v_or_b32_e32 v14, 0x800000, v11
	s_delay_alu instid0(VALU_DEP_3) | instskip(NEXT) | instid1(VALU_DEP_1)
	v_cndmask_b32_e64 v10, 0, v10, s7
	v_cndmask_b32_e64 v58, v10, 0x78, vcc_lo
	s_delay_alu instid0(VALU_DEP_3) | instskip(NEXT) | instid1(VALU_DEP_2)
	v_dual_cndmask_b32 v10, v14, v11 :: v_dual_mov_b32 v11, v53
	v_dual_add_nc_u32 v14, 20, v58 :: v_dual_add_nc_u32 v63, 19, v58
	s_delay_alu instid0(VALU_DEP_1) | instskip(NEXT) | instid1(VALU_DEP_2)
	v_lshlrev_b64_e64 v[14:15], v14, -1
	v_lshlrev_b64_e64 v[74:75], v63, 1
	s_delay_alu instid0(VALU_DEP_2) | instskip(SKIP_1) | instid1(VALU_DEP_4)
	v_bfi_b32 v14, v14, 0, v10
	v_lshrrev_b64 v[10:11], v58, v[10:11]
	v_bfi_b32 v15, v15, 0, 0
	s_delay_alu instid0(VALU_DEP_1) | instskip(NEXT) | instid1(VALU_DEP_3)
	v_cmp_eq_u64_e64 s7, v[14:15], v[74:75]
	v_mov_b64_e32 v[14:15], v[10:11]
	s_and_saveexec_b32 s42, s7
; %bb.10221:                            ;   in Loop: Header=BB6_6801 Depth=2
	v_bfe_u32 v14, v10, 20, 1
	v_mov_b32_e32 v15, v53
	s_delay_alu instid0(VALU_DEP_1) | instskip(NEXT) | instid1(VALU_DEP_1)
	v_add_nc_u64_e32 v[14:15], v[10:11], v[14:15]
	v_add_nc_u64_e32 v[14:15], -1, v[14:15]
; %bb.10222:                            ;   in Loop: Header=BB6_6801 Depth=2
	s_or_b32 exec_lo, exec_lo, s42
	v_add_nc_u32_e32 v11, 0xffffff81, v44
	v_lshrrev_b32_e32 v15, 23, v10
	s_mov_b32 s7, exec_lo
	s_delay_alu instid0(VALU_DEP_2) | instskip(NEXT) | instid1(VALU_DEP_1)
	v_cndmask_b32_e64 v11, v11, 0xffffff82, vcc_lo
	v_add3_u32 v44, v58, v11, v15
	v_and_b32_e32 v11, 0xfffff, v14
                                        ; implicit-def: $vgpr14
	s_delay_alu instid0(VALU_DEP_1) | instskip(SKIP_1) | instid1(VALU_DEP_2)
	v_dual_add_nc_u32 v15, 6, v44 :: v_dual_add_nc_u32 v10, v11, v10
	v_mov_b32_e32 v11, v53
	v_cmpx_ne_u32_e32 0, v15
	s_xor_b32 s7, exec_lo, s7
; %bb.10223:                            ;   in Loop: Header=BB6_6801 Depth=2
	s_delay_alu instid0(VALU_DEP_2) | instskip(SKIP_1) | instid1(VALU_DEP_1)
	v_cmp_lt_u64_e32 vcc_lo, 0xffffff, v[10:11]
	v_add_nc_u32_e32 v14, 7, v44
	v_cndmask_b32_e32 v14, v15, v14, vcc_lo
	v_cndmask_b32_e64 v15, 0, 1, vcc_lo
	s_delay_alu instid0(VALU_DEP_1)
	v_lshrrev_b64 v[10:11], v15, v[10:11]
; %bb.10224:                            ;   in Loop: Header=BB6_6801 Depth=2
	s_and_not1_saveexec_b32 s7, s7
; %bb.10225:                            ;   in Loop: Header=BB6_6801 Depth=2
	s_delay_alu instid0(VALU_DEP_1)
	v_bfe_u32 v14, v10, 23, 1
; %bb.10226:                            ;   in Loop: Header=BB6_6801 Depth=2
	s_or_b32 exec_lo, exec_lo, s7
	s_delay_alu instid0(VALU_DEP_2) | instskip(NEXT) | instid1(VALU_DEP_2)
	v_lshrrev_b64 v[10:11], 20, v[10:11]
	v_cmp_gt_i32_e32 vcc_lo, 16, v14
	v_min_i32_e32 v15, 15, v14
	v_cmp_eq_u32_e64 s7, 0, v14
	s_delay_alu instid0(VALU_DEP_4) | instskip(NEXT) | instid1(VALU_DEP_3)
	v_cndmask_b32_e32 v11, 0, v11, vcc_lo
	v_dual_cndmask_b32 v10, 7, v10 :: v_dual_lshlrev_b32 v15, 3, v15
	s_delay_alu instid0(VALU_DEP_1) | instskip(NEXT) | instid1(VALU_DEP_2)
	v_and_b32_e32 v15, 0xf8, v15
	v_cmp_eq_u64_e32 vcc_lo, 0, v[10:11]
	s_delay_alu instid0(VALU_DEP_2)
	v_and_or_b32 v10, v10, 7, v15
	s_and_b32 s7, s7, vcc_lo
	s_delay_alu instid0(VALU_DEP_1) | instid1(SALU_CYCLE_1)
	v_cndmask_b32_e64 v10, v10, 0, s7
	s_delay_alu instid0(VALU_DEP_1)
	v_or_b32_e32 v44, v10, v47
.LBB6_10227:                            ;   in Loop: Header=BB6_6801 Depth=2
	s_or_b32 exec_lo, exec_lo, s41
                                        ; implicit-def: $vgpr47
.LBB6_10228:                            ;   in Loop: Header=BB6_6801 Depth=2
	s_and_not1_saveexec_b32 s7, s40
; %bb.10229:                            ;   in Loop: Header=BB6_6801 Depth=2
	v_or_b32_e32 v44, 0x7e, v47
; %bb.10230:                            ;   in Loop: Header=BB6_6801 Depth=2
	s_or_b32 exec_lo, exec_lo, s7
                                        ; implicit-def: $vgpr11
.LBB6_10231:                            ;   in Loop: Header=BB6_6801 Depth=2
	s_and_not1_saveexec_b32 s7, s29
; %bb.10232:                            ;   in Loop: Header=BB6_6801 Depth=2
	v_or_b32_e32 v44, 0x7f, v11
; %bb.10233:                            ;   in Loop: Header=BB6_6801 Depth=2
	s_or_b32 exec_lo, exec_lo, s7
	v_dual_mov_b32 v14, 0 :: v_dual_lshrrev_b32 v47, 16, v52
	v_mov_b32_e32 v15, 0
	s_mov_b32 s7, exec_lo
	s_delay_alu instid0(VALU_DEP_2) | instskip(NEXT) | instid1(VALU_DEP_1)
	v_and_b32_e32 v10, 0xff, v47
	v_cmpx_ne_u16_e32 0, v10
	s_cbranch_execz .LBB6_10241
; %bb.10234:                            ;   in Loop: Header=BB6_6801 Depth=2
	v_bfrev_b32_e32 v15, 1
	s_mov_b32 s29, exec_lo
	v_cmpx_ne_u16_e32 0x80, v10
	s_cbranch_execz .LBB6_10240
; %bb.10235:                            ;   in Loop: Header=BB6_6801 Depth=2
	v_bfe_u32 v58, v52, 16, 7
	v_mov_b32_e32 v15, 0x7f800001
	s_mov_b32 s40, exec_lo
	s_delay_alu instid0(VALU_DEP_2)
	v_cmpx_ne_u32_e32 0x7f, v58
	s_cbranch_execz .LBB6_10239
; %bb.10236:                            ;   in Loop: Header=BB6_6801 Depth=2
	v_dual_mov_b32 v11, v53 :: v_dual_bitop2_b32 v10, 7, v47 bitop3:0x40
	v_lshrrev_b32_e32 v15, 3, v58
	s_mov_b32 s41, exec_lo
	v_cmpx_gt_u32_e32 8, v58
; %bb.10237:                            ;   in Loop: Header=BB6_6801 Depth=2
	s_delay_alu instid0(VALU_DEP_3) | instskip(NEXT) | instid1(VALU_DEP_1)
	v_clz_i32_u32_e32 v15, v10
	v_min_u32_e32 v15, 32, v15
	s_delay_alu instid0(VALU_DEP_1) | instskip(NEXT) | instid1(VALU_DEP_1)
	v_subrev_nc_u32_e32 v58, 28, v15
	v_lshlrev_b64_e32 v[10:11], v58, v[10:11]
	s_delay_alu instid0(VALU_DEP_1)
	v_dual_sub_nc_u32 v15, 29, v15 :: v_dual_bitop2_b32 v10, 7, v10 bitop3:0x40
; %bb.10238:                            ;   in Loop: Header=BB6_6801 Depth=2
	s_or_b32 exec_lo, exec_lo, s41
	s_delay_alu instid0(VALU_DEP_1) | instskip(NEXT) | instid1(VALU_DEP_2)
	v_dual_lshlrev_b32 v11, 24, v47 :: v_dual_lshlrev_b32 v10, 20, v10
	v_lshl_add_u32 v15, v15, 23, 0x3c000000
	s_delay_alu instid0(VALU_DEP_2) | instskip(NEXT) | instid1(VALU_DEP_1)
	v_and_b32_e32 v11, 0x80000000, v11
	v_or3_b32 v15, v10, v11, v15
.LBB6_10239:                            ;   in Loop: Header=BB6_6801 Depth=2
	s_or_b32 exec_lo, exec_lo, s40
.LBB6_10240:                            ;   in Loop: Header=BB6_6801 Depth=2
	s_delay_alu instid0(SALU_CYCLE_1)
	s_or_b32 exec_lo, exec_lo, s29
.LBB6_10241:                            ;   in Loop: Header=BB6_6801 Depth=2
	s_delay_alu instid0(SALU_CYCLE_1) | instskip(SKIP_2) | instid1(VALU_DEP_1)
	s_or_b32 exec_lo, exec_lo, s7
	v_lshrrev_b32_e32 v10, 16, v13
	s_mov_b32 s7, exec_lo
	v_and_b32_e32 v11, 0xff, v10
	s_delay_alu instid0(VALU_DEP_1)
	v_cmpx_ne_u16_e32 0, v11
	s_cbranch_execz .LBB6_10249
; %bb.10242:                            ;   in Loop: Header=BB6_6801 Depth=2
	v_bfrev_b32_e32 v14, 1
	s_mov_b32 s29, exec_lo
	v_cmpx_ne_u16_e32 0x80, v11
	s_cbranch_execz .LBB6_10248
; %bb.10243:                            ;   in Loop: Header=BB6_6801 Depth=2
	v_bfe_u32 v47, v13, 16, 7
	v_mov_b32_e32 v14, 0x7f800001
	s_mov_b32 s40, exec_lo
	s_delay_alu instid0(VALU_DEP_2)
	v_cmpx_ne_u32_e32 0x7f, v47
	s_cbranch_execz .LBB6_10247
; %bb.10244:                            ;   in Loop: Header=BB6_6801 Depth=2
	v_dual_mov_b32 v11, v53 :: v_dual_bitop2_b32 v10, 7, v10 bitop3:0x40
	v_lshrrev_b32_e32 v14, 3, v47
	s_mov_b32 s41, exec_lo
	v_cmpx_gt_u32_e32 8, v47
; %bb.10245:                            ;   in Loop: Header=BB6_6801 Depth=2
	s_delay_alu instid0(VALU_DEP_3) | instskip(NEXT) | instid1(VALU_DEP_1)
	v_clz_i32_u32_e32 v14, v10
	v_min_u32_e32 v14, 32, v14
	s_delay_alu instid0(VALU_DEP_1) | instskip(SKIP_1) | instid1(VALU_DEP_2)
	v_subrev_nc_u32_e32 v47, 28, v14
	v_sub_nc_u32_e32 v14, 29, v14
	v_lshlrev_b64_e32 v[10:11], v47, v[10:11]
	s_delay_alu instid0(VALU_DEP_1)
	v_and_b32_e32 v10, 7, v10
; %bb.10246:                            ;   in Loop: Header=BB6_6801 Depth=2
	s_or_b32 exec_lo, exec_lo, s41
	s_delay_alu instid0(VALU_DEP_1) | instskip(SKIP_1) | instid1(VALU_DEP_2)
	v_dual_lshlrev_b32 v11, 8, v13 :: v_dual_lshlrev_b32 v10, 20, v10
	v_lshl_add_u32 v14, v14, 23, 0x3c000000
	v_and_b32_e32 v11, 0x80000000, v11
	s_delay_alu instid0(VALU_DEP_1)
	v_or3_b32 v14, v10, v11, v14
.LBB6_10247:                            ;   in Loop: Header=BB6_6801 Depth=2
	s_or_b32 exec_lo, exec_lo, s40
.LBB6_10248:                            ;   in Loop: Header=BB6_6801 Depth=2
	s_delay_alu instid0(SALU_CYCLE_1)
	s_or_b32 exec_lo, exec_lo, s29
.LBB6_10249:                            ;   in Loop: Header=BB6_6801 Depth=2
	s_delay_alu instid0(SALU_CYCLE_1) | instskip(NEXT) | instid1(VALU_DEP_1)
	s_or_b32 exec_lo, exec_lo, s7
	v_dual_add_f32 v10, v15, v14 :: v_dual_mov_b32 v15, v53
	s_delay_alu instid0(VALU_DEP_1) | instskip(SKIP_1) | instid1(VALU_DEP_2)
	v_and_b32_e32 v14, 0x7f800000, v10
	v_lshrrev_b32_e32 v11, 24, v10
	v_cmp_ne_u64_e32 vcc_lo, 0x7f800000, v[14:15]
                                        ; implicit-def: $vgpr14
	s_and_saveexec_b32 s7, vcc_lo
	s_delay_alu instid0(SALU_CYCLE_1)
	s_xor_b32 s29, exec_lo, s7
	s_cbranch_execz .LBB6_10263
; %bb.10250:                            ;   in Loop: Header=BB6_6801 Depth=2
	v_and_b32_e32 v14, 0x7fffffff, v10
	v_mov_b32_e32 v15, v53
	v_and_b32_e32 v47, 0x80, v11
	s_delay_alu instid0(VALU_DEP_2) | instskip(SKIP_1) | instid1(SALU_CYCLE_1)
	v_cmp_gt_u64_e32 vcc_lo, 0x43e00001, v[14:15]
                                        ; implicit-def: $vgpr14
	s_and_saveexec_b32 s7, vcc_lo
	s_xor_b32 s40, exec_lo, s7
	s_cbranch_execz .LBB6_10260
; %bb.10251:                            ;   in Loop: Header=BB6_6801 Depth=2
	v_mov_b32_e32 v14, 0
	s_mov_b32 s41, exec_lo
	v_cmpx_ne_u32_e32 0, v10
	s_cbranch_execz .LBB6_10259
; %bb.10252:                            ;   in Loop: Header=BB6_6801 Depth=2
	v_bfe_u32 v58, v10, 23, 8
	v_and_b32_e32 v11, 0x7fffff, v10
	s_delay_alu instid0(VALU_DEP_2) | instskip(SKIP_2) | instid1(VALU_DEP_4)
	v_cmp_gt_u32_e64 s7, 0x7a, v58
	v_sub_nc_u32_e32 v10, 0x79, v58
	v_cmp_eq_u32_e32 vcc_lo, 0, v58
	v_or_b32_e32 v14, 0x800000, v11
	s_delay_alu instid0(VALU_DEP_3) | instskip(NEXT) | instid1(VALU_DEP_1)
	v_cndmask_b32_e64 v10, 0, v10, s7
	v_cndmask_b32_e64 v63, v10, 0x78, vcc_lo
	s_delay_alu instid0(VALU_DEP_3) | instskip(NEXT) | instid1(VALU_DEP_2)
	v_dual_cndmask_b32 v10, v14, v11 :: v_dual_mov_b32 v11, v53
	v_dual_add_nc_u32 v14, 20, v63 :: v_dual_add_nc_u32 v74, 19, v63
	s_delay_alu instid0(VALU_DEP_1) | instskip(NEXT) | instid1(VALU_DEP_2)
	v_lshlrev_b64_e64 v[14:15], v14, -1
	v_lshlrev_b64_e64 v[74:75], v74, 1
	s_delay_alu instid0(VALU_DEP_2) | instskip(SKIP_1) | instid1(VALU_DEP_4)
	v_bfi_b32 v14, v14, 0, v10
	v_lshrrev_b64 v[10:11], v63, v[10:11]
	v_bfi_b32 v15, v15, 0, 0
	s_delay_alu instid0(VALU_DEP_1) | instskip(NEXT) | instid1(VALU_DEP_3)
	v_cmp_eq_u64_e64 s7, v[14:15], v[74:75]
	v_mov_b64_e32 v[14:15], v[10:11]
	s_and_saveexec_b32 s42, s7
; %bb.10253:                            ;   in Loop: Header=BB6_6801 Depth=2
	v_bfe_u32 v14, v10, 20, 1
	v_mov_b32_e32 v15, v53
	s_delay_alu instid0(VALU_DEP_1) | instskip(NEXT) | instid1(VALU_DEP_1)
	v_add_nc_u64_e32 v[14:15], v[10:11], v[14:15]
	v_add_nc_u64_e32 v[14:15], -1, v[14:15]
; %bb.10254:                            ;   in Loop: Header=BB6_6801 Depth=2
	s_or_b32 exec_lo, exec_lo, s42
	v_add_nc_u32_e32 v11, 0xffffff81, v58
	v_lshrrev_b32_e32 v15, 23, v10
	s_mov_b32 s7, exec_lo
	s_delay_alu instid0(VALU_DEP_2) | instskip(NEXT) | instid1(VALU_DEP_1)
	v_cndmask_b32_e64 v11, v11, 0xffffff82, vcc_lo
	v_add3_u32 v58, v63, v11, v15
	v_and_b32_e32 v11, 0xfffff, v14
                                        ; implicit-def: $vgpr14
	s_delay_alu instid0(VALU_DEP_2) | instskip(NEXT) | instid1(VALU_DEP_2)
	v_add_nc_u32_e32 v15, 6, v58
	v_dual_mov_b32 v11, v53 :: v_dual_add_nc_u32 v10, v11, v10
	s_delay_alu instid0(VALU_DEP_2)
	v_cmpx_ne_u32_e32 0, v15
	s_xor_b32 s7, exec_lo, s7
; %bb.10255:                            ;   in Loop: Header=BB6_6801 Depth=2
	s_delay_alu instid0(VALU_DEP_2) | instskip(SKIP_1) | instid1(VALU_DEP_1)
	v_cmp_lt_u64_e32 vcc_lo, 0xffffff, v[10:11]
	v_add_nc_u32_e32 v14, 7, v58
	v_cndmask_b32_e32 v14, v15, v14, vcc_lo
	v_cndmask_b32_e64 v15, 0, 1, vcc_lo
	s_delay_alu instid0(VALU_DEP_1)
	v_lshrrev_b64 v[10:11], v15, v[10:11]
; %bb.10256:                            ;   in Loop: Header=BB6_6801 Depth=2
	s_and_not1_saveexec_b32 s7, s7
; %bb.10257:                            ;   in Loop: Header=BB6_6801 Depth=2
	s_delay_alu instid0(VALU_DEP_1)
	v_bfe_u32 v14, v10, 23, 1
; %bb.10258:                            ;   in Loop: Header=BB6_6801 Depth=2
	s_or_b32 exec_lo, exec_lo, s7
	s_delay_alu instid0(VALU_DEP_2) | instskip(NEXT) | instid1(VALU_DEP_2)
	v_lshrrev_b64 v[10:11], 20, v[10:11]
	v_cmp_gt_i32_e32 vcc_lo, 16, v14
	v_min_i32_e32 v15, 15, v14
	v_cmp_eq_u32_e64 s7, 0, v14
	s_delay_alu instid0(VALU_DEP_4) | instskip(NEXT) | instid1(VALU_DEP_3)
	v_cndmask_b32_e32 v11, 0, v11, vcc_lo
	v_dual_cndmask_b32 v10, 7, v10 :: v_dual_lshlrev_b32 v15, 3, v15
	s_delay_alu instid0(VALU_DEP_1) | instskip(NEXT) | instid1(VALU_DEP_2)
	v_and_b32_e32 v15, 0xf8, v15
	v_cmp_eq_u64_e32 vcc_lo, 0, v[10:11]
	s_delay_alu instid0(VALU_DEP_2)
	v_and_or_b32 v10, v10, 7, v15
	s_and_b32 s7, s7, vcc_lo
	s_delay_alu instid0(VALU_DEP_1) | instid1(SALU_CYCLE_1)
	v_cndmask_b32_e64 v10, v10, 0, s7
	s_delay_alu instid0(VALU_DEP_1)
	v_or_b32_e32 v14, v10, v47
.LBB6_10259:                            ;   in Loop: Header=BB6_6801 Depth=2
	s_or_b32 exec_lo, exec_lo, s41
                                        ; implicit-def: $vgpr47
.LBB6_10260:                            ;   in Loop: Header=BB6_6801 Depth=2
	s_and_not1_saveexec_b32 s7, s40
; %bb.10261:                            ;   in Loop: Header=BB6_6801 Depth=2
	v_or_b32_e32 v14, 0x7e, v47
; %bb.10262:                            ;   in Loop: Header=BB6_6801 Depth=2
	s_or_b32 exec_lo, exec_lo, s7
                                        ; implicit-def: $vgpr11
.LBB6_10263:                            ;   in Loop: Header=BB6_6801 Depth=2
	s_and_not1_saveexec_b32 s7, s29
; %bb.10264:                            ;   in Loop: Header=BB6_6801 Depth=2
	v_or_b32_e32 v14, 0x7f, v11
; %bb.10265:                            ;   in Loop: Header=BB6_6801 Depth=2
	s_or_b32 exec_lo, exec_lo, s7
	v_dual_mov_b32 v15, 0 :: v_dual_mov_b32 v47, 0
	s_mov_b32 s7, exec_lo
	v_cmpx_lt_u32_e32 0xffffff, v52
	s_cbranch_execz .LBB6_10273
; %bb.10266:                            ;   in Loop: Header=BB6_6801 Depth=2
	v_lshrrev_b32_e32 v58, 24, v52
	v_bfrev_b32_e32 v47, 1
	s_mov_b32 s29, exec_lo
	s_delay_alu instid0(VALU_DEP_2)
	v_cmpx_ne_u32_e32 0x80, v58
	s_cbranch_execz .LBB6_10272
; %bb.10267:                            ;   in Loop: Header=BB6_6801 Depth=2
	v_bfe_u32 v10, v52, 24, 7
	v_mov_b32_e32 v47, 0x7f800001
	s_mov_b32 s40, exec_lo
	s_delay_alu instid0(VALU_DEP_2)
	v_cmpx_ne_u32_e32 0x7f, v10
	s_cbranch_execz .LBB6_10271
; %bb.10268:                            ;   in Loop: Header=BB6_6801 Depth=2
	v_and_b32_e32 v52, 7, v58
	v_lshrrev_b32_e32 v47, 3, v10
	v_cmp_gt_u32_e32 vcc_lo, 8, v10
	s_delay_alu instid0(VALU_DEP_3)
	v_mov_b64_e32 v[10:11], v[52:53]
	s_and_saveexec_b32 s41, vcc_lo
; %bb.10269:                            ;   in Loop: Header=BB6_6801 Depth=2
	v_clz_i32_u32_e32 v10, v52
	s_delay_alu instid0(VALU_DEP_1) | instskip(NEXT) | instid1(VALU_DEP_1)
	v_min_u32_e32 v47, 32, v10
	v_subrev_nc_u32_e32 v10, 28, v47
	s_delay_alu instid0(VALU_DEP_1) | instskip(NEXT) | instid1(VALU_DEP_1)
	v_lshlrev_b64_e32 v[10:11], v10, v[52:53]
	v_dual_sub_nc_u32 v47, 29, v47 :: v_dual_bitop2_b32 v10, 7, v10 bitop3:0x40
; %bb.10270:                            ;   in Loop: Header=BB6_6801 Depth=2
	s_or_b32 exec_lo, exec_lo, s41
	v_lshlrev_b32_e32 v11, 24, v58
	s_delay_alu instid0(VALU_DEP_2) | instskip(NEXT) | instid1(VALU_DEP_3)
	v_lshlrev_b32_e32 v10, 20, v10
	v_lshl_add_u32 v52, v47, 23, 0x3c000000
	s_delay_alu instid0(VALU_DEP_3) | instskip(NEXT) | instid1(VALU_DEP_1)
	v_and_b32_e32 v11, 0x80000000, v11
	v_or3_b32 v47, v10, v11, v52
.LBB6_10271:                            ;   in Loop: Header=BB6_6801 Depth=2
	s_or_b32 exec_lo, exec_lo, s40
.LBB6_10272:                            ;   in Loop: Header=BB6_6801 Depth=2
	s_delay_alu instid0(SALU_CYCLE_1)
	s_or_b32 exec_lo, exec_lo, s29
.LBB6_10273:                            ;   in Loop: Header=BB6_6801 Depth=2
	s_delay_alu instid0(SALU_CYCLE_1) | instskip(NEXT) | instid1(SALU_CYCLE_1)
	s_or_b32 exec_lo, exec_lo, s7
	s_mov_b32 s7, exec_lo
	v_cmpx_lt_u64_e64 s[12:13], v[12:13]
	s_cbranch_execz .LBB6_10281
; %bb.10274:                            ;   in Loop: Header=BB6_6801 Depth=2
	v_lshrrev_b32_e32 v12, 24, v13
	v_bfrev_b32_e32 v15, 1
	s_mov_b32 s29, exec_lo
	s_delay_alu instid0(VALU_DEP_2)
	v_cmpx_ne_u32_e32 0x80, v12
	s_cbranch_execz .LBB6_10280
; %bb.10275:                            ;   in Loop: Header=BB6_6801 Depth=2
	v_bfe_u32 v10, v13, 24, 7
	v_mov_b32_e32 v15, 0x7f800001
	s_mov_b32 s40, exec_lo
	s_delay_alu instid0(VALU_DEP_2)
	v_cmpx_ne_u32_e32 0x7f, v10
	s_cbranch_execz .LBB6_10279
; %bb.10276:                            ;   in Loop: Header=BB6_6801 Depth=2
	v_dual_lshrrev_b32 v13, 3, v10 :: v_dual_bitop2_b32 v52, 7, v12 bitop3:0x40
	v_cmp_gt_u32_e32 vcc_lo, 8, v10
	s_delay_alu instid0(VALU_DEP_2)
	v_mov_b64_e32 v[10:11], v[52:53]
	s_and_saveexec_b32 s41, vcc_lo
; %bb.10277:                            ;   in Loop: Header=BB6_6801 Depth=2
	v_clz_i32_u32_e32 v10, v52
	s_delay_alu instid0(VALU_DEP_1) | instskip(NEXT) | instid1(VALU_DEP_1)
	v_min_u32_e32 v13, 32, v10
	v_subrev_nc_u32_e32 v10, 28, v13
	s_delay_alu instid0(VALU_DEP_1) | instskip(NEXT) | instid1(VALU_DEP_1)
	v_lshlrev_b64_e32 v[10:11], v10, v[52:53]
	v_dual_sub_nc_u32 v13, 29, v13 :: v_dual_bitop2_b32 v10, 7, v10 bitop3:0x40
; %bb.10278:                            ;   in Loop: Header=BB6_6801 Depth=2
	s_or_b32 exec_lo, exec_lo, s41
	s_delay_alu instid0(VALU_DEP_1) | instskip(NEXT) | instid1(VALU_DEP_2)
	v_dual_lshlrev_b32 v11, 24, v12 :: v_dual_lshlrev_b32 v10, 20, v10
	v_lshl_add_u32 v12, v13, 23, 0x3c000000
	s_delay_alu instid0(VALU_DEP_2) | instskip(NEXT) | instid1(VALU_DEP_1)
	v_and_b32_e32 v11, 0x80000000, v11
	v_or3_b32 v15, v10, v11, v12
.LBB6_10279:                            ;   in Loop: Header=BB6_6801 Depth=2
	s_or_b32 exec_lo, exec_lo, s40
.LBB6_10280:                            ;   in Loop: Header=BB6_6801 Depth=2
	s_delay_alu instid0(SALU_CYCLE_1)
	s_or_b32 exec_lo, exec_lo, s29
.LBB6_10281:                            ;   in Loop: Header=BB6_6801 Depth=2
	s_delay_alu instid0(SALU_CYCLE_1) | instskip(NEXT) | instid1(VALU_DEP_1)
	s_or_b32 exec_lo, exec_lo, s7
	v_add_f32_e32 v11, v47, v15
                                        ; implicit-def: $vgpr10
	s_mov_b32 s7, exec_lo
	s_delay_alu instid0(VALU_DEP_1) | instskip(SKIP_1) | instid1(VALU_DEP_2)
	v_and_b32_e32 v52, 0x7f800000, v11
	v_lshrrev_b32_e32 v12, 24, v11
	v_cmpx_ne_u64_e32 0x7f800000, v[52:53]
	s_xor_b32 s29, exec_lo, s7
	s_cbranch_execz .LBB6_10295
; %bb.10282:                            ;   in Loop: Header=BB6_6801 Depth=2
	v_and_b32_e32 v52, 0x7fffffff, v11
	v_and_b32_e32 v15, 0x80, v12
                                        ; implicit-def: $vgpr10
	s_mov_b32 s7, exec_lo
	s_delay_alu instid0(VALU_DEP_2)
	v_cmpx_gt_u64_e32 0x43e00001, v[52:53]
	s_xor_b32 s40, exec_lo, s7
	s_cbranch_execz .LBB6_10292
; %bb.10283:                            ;   in Loop: Header=BB6_6801 Depth=2
	v_mov_b32_e32 v10, 0
	s_mov_b32 s41, exec_lo
	v_cmpx_ne_u32_e32 0, v11
	s_cbranch_execz .LBB6_10291
; %bb.10284:                            ;   in Loop: Header=BB6_6801 Depth=2
	v_and_b32_e32 v10, 0x7fffff, v11
	v_bfe_u32 v47, v11, 23, 8
	s_delay_alu instid0(VALU_DEP_2) | instskip(NEXT) | instid1(VALU_DEP_2)
	v_or_b32_e32 v12, 0x800000, v10
	v_cmp_eq_u32_e32 vcc_lo, 0, v47
	v_cmp_gt_u32_e64 s7, 0x7a, v47
	s_delay_alu instid0(VALU_DEP_3) | instskip(NEXT) | instid1(VALU_DEP_1)
	v_dual_cndmask_b32 v52, v12, v10 :: v_dual_sub_nc_u32 v11, 0x79, v47
	v_cndmask_b32_e64 v11, 0, v11, s7
	s_delay_alu instid0(VALU_DEP_1) | instskip(NEXT) | instid1(VALU_DEP_1)
	v_cndmask_b32_e64 v58, v11, 0x78, vcc_lo
	v_dual_add_nc_u32 v10, 20, v58 :: v_dual_add_nc_u32 v12, 19, v58
	s_delay_alu instid0(VALU_DEP_1) | instskip(NEXT) | instid1(VALU_DEP_2)
	v_lshlrev_b64_e64 v[10:11], v10, -1
	v_lshlrev_b64_e64 v[12:13], v12, 1
	s_delay_alu instid0(VALU_DEP_2) | instskip(NEXT) | instid1(VALU_DEP_3)
	v_bfi_b32 v11, v11, 0, 0
	v_bfi_b32 v10, v10, 0, v52
	s_delay_alu instid0(VALU_DEP_1) | instskip(SKIP_1) | instid1(VALU_DEP_1)
	v_cmp_eq_u64_e64 s7, v[10:11], v[12:13]
	v_lshrrev_b64 v[10:11], v58, v[52:53]
	v_mov_b64_e32 v[12:13], v[10:11]
	s_and_saveexec_b32 s42, s7
; %bb.10285:                            ;   in Loop: Header=BB6_6801 Depth=2
	v_bfe_u32 v52, v10, 20, 1
	s_delay_alu instid0(VALU_DEP_1) | instskip(NEXT) | instid1(VALU_DEP_1)
	v_add_nc_u64_e32 v[12:13], v[10:11], v[52:53]
	v_add_nc_u64_e32 v[12:13], -1, v[12:13]
; %bb.10286:                            ;   in Loop: Header=BB6_6801 Depth=2
	s_or_b32 exec_lo, exec_lo, s42
	v_add_nc_u32_e32 v11, 0xffffff81, v47
	v_lshrrev_b32_e32 v13, 23, v10
	s_mov_b32 s7, exec_lo
	s_delay_alu instid0(VALU_DEP_2) | instskip(NEXT) | instid1(VALU_DEP_1)
	v_cndmask_b32_e64 v11, v11, 0xffffff82, vcc_lo
	v_add3_u32 v47, v58, v11, v13
	v_and_b32_e32 v11, 0xfffff, v12
                                        ; implicit-def: $vgpr12
	s_delay_alu instid0(VALU_DEP_1) | instskip(NEXT) | instid1(VALU_DEP_1)
	v_dual_add_nc_u32 v13, 6, v47 :: v_dual_add_nc_u32 v52, v11, v10
                                        ; implicit-def: $vgpr10_vgpr11
	v_cmpx_ne_u32_e32 0, v13
	s_xor_b32 s7, exec_lo, s7
; %bb.10287:                            ;   in Loop: Header=BB6_6801 Depth=2
	s_delay_alu instid0(VALU_DEP_2) | instskip(SKIP_1) | instid1(VALU_DEP_1)
	v_cmp_lt_u64_e32 vcc_lo, 0xffffff, v[52:53]
	v_add_nc_u32_e32 v10, 7, v47
	v_cndmask_b32_e32 v12, v13, v10, vcc_lo
	v_cndmask_b32_e64 v10, 0, 1, vcc_lo
	s_delay_alu instid0(VALU_DEP_1)
	v_lshrrev_b64 v[10:11], v10, v[52:53]
; %bb.10288:                            ;   in Loop: Header=BB6_6801 Depth=2
	s_and_not1_saveexec_b32 s7, s7
; %bb.10289:                            ;   in Loop: Header=BB6_6801 Depth=2
	v_mov_b64_e32 v[10:11], v[52:53]
	v_bfe_u32 v12, v52, 23, 1
; %bb.10290:                            ;   in Loop: Header=BB6_6801 Depth=2
	s_or_b32 exec_lo, exec_lo, s7
	s_delay_alu instid0(VALU_DEP_2) | instskip(NEXT) | instid1(VALU_DEP_2)
	v_lshrrev_b64 v[10:11], 20, v[10:11]
	v_cmp_gt_i32_e32 vcc_lo, 16, v12
	v_min_i32_e32 v13, 15, v12
	v_cmp_eq_u32_e64 s7, 0, v12
	s_delay_alu instid0(VALU_DEP_2) | instskip(SKIP_1) | instid1(VALU_DEP_2)
	v_dual_cndmask_b32 v11, 0, v11, vcc_lo :: v_dual_lshlrev_b32 v13, 3, v13
	v_cndmask_b32_e32 v10, 7, v10, vcc_lo
	v_and_b32_e32 v13, 0xf8, v13
	s_delay_alu instid0(VALU_DEP_2) | instskip(NEXT) | instid1(VALU_DEP_2)
	v_cmp_eq_u64_e32 vcc_lo, 0, v[10:11]
	v_and_or_b32 v10, v10, 7, v13
	s_and_b32 s7, s7, vcc_lo
	s_delay_alu instid0(VALU_DEP_1) | instid1(SALU_CYCLE_1)
	v_cndmask_b32_e64 v10, v10, 0, s7
	s_delay_alu instid0(VALU_DEP_1)
	v_or_b32_e32 v10, v10, v15
.LBB6_10291:                            ;   in Loop: Header=BB6_6801 Depth=2
	s_or_b32 exec_lo, exec_lo, s41
                                        ; implicit-def: $vgpr15
.LBB6_10292:                            ;   in Loop: Header=BB6_6801 Depth=2
	s_and_not1_saveexec_b32 s7, s40
; %bb.10293:                            ;   in Loop: Header=BB6_6801 Depth=2
	v_or_b32_e32 v10, 0x7e, v15
; %bb.10294:                            ;   in Loop: Header=BB6_6801 Depth=2
	s_or_b32 exec_lo, exec_lo, s7
                                        ; implicit-def: $vgpr12
.LBB6_10295:                            ;   in Loop: Header=BB6_6801 Depth=2
	s_and_not1_saveexec_b32 s7, s29
	s_cbranch_execz .LBB6_6800
; %bb.10296:                            ;   in Loop: Header=BB6_6801 Depth=2
	v_or_b32_e32 v10, 0x7f, v12
	s_branch .LBB6_6800
.LBB6_10297:                            ;   in Loop: Header=BB6_6725 Depth=1
	s_or_b32 exec_lo, exec_lo, s26
.LBB6_10298:                            ;   in Loop: Header=BB6_6725 Depth=1
	s_delay_alu instid0(SALU_CYCLE_1) | instskip(SKIP_4) | instid1(VALU_DEP_2)
	s_or_b32 exec_lo, exec_lo, s10
	v_and_b32_e32 v4, 0x3ffff800, v41
	v_mov_b32_e32 v2, 0
	s_mov_b32 s7, 0
	s_mov_b32 s26, exec_lo
                                        ; implicit-def: $vgpr3
                                        ; implicit-def: $vgpr20
	v_cmpx_ne_u32_e64 v41, v4
	s_cbranch_execz .LBB6_11184
; %bb.10299:                            ;   in Loop: Header=BB6_6725 Depth=1
	scratch_load_b32 v1, off, s33 offset:216 ; 4-byte Folded Reload
	v_lshlrev_b32_e32 v0, 5, v42
	v_bfe_u32 v7, v41, 9, 2
	v_and_b32_e32 v6, 0x7ff, v41
	s_mov_b32 s27, exec_lo
	s_wait_loadcnt 0x0
	v_sub_nc_u32_e32 v0, v1, v0
	s_delay_alu instid0(VALU_DEP_1) | instskip(NEXT) | instid1(VALU_DEP_1)
	v_ashrrev_i32_e32 v1, 31, v0
	v_lshrrev_b32_e32 v1, 27, v1
	s_delay_alu instid0(VALU_DEP_1) | instskip(NEXT) | instid1(VALU_DEP_1)
	v_add_nc_u32_e32 v1, v0, v1
	v_and_b32_e32 v2, 0xffffffe0, v1
	s_delay_alu instid0(VALU_DEP_1) | instskip(NEXT) | instid1(VALU_DEP_1)
	v_sub_nc_u32_e32 v0, v0, v2
	v_dual_lshlrev_b32 v3, 4, v0 :: v_dual_ashrrev_i32 v2, 5, v1
	v_and_b32_e32 v1, 0x1ff, v41
	s_delay_alu instid0(VALU_DEP_2) | instskip(NEXT) | instid1(VALU_DEP_2)
	v_lshl_add_u32 v5, v2, 9, v3
	v_cmp_lt_u32_e64 s7, 15, v1
	s_delay_alu instid0(VALU_DEP_1) | instskip(NEXT) | instid1(VALU_DEP_1)
	v_add_co_ci_u32_e64 v7, null, 0, v7, s7
	v_dual_sub_nc_u32 v3, v6, v5 :: v_dual_sub_nc_u32 v2, v7, v2
	s_wait_xcnt 0x0
	s_delay_alu instid0(VALU_DEP_1)
	v_cmpx_lt_i32_e32 15, v3
	s_cbranch_execz .LBB6_11183
; %bb.10300:                            ;   in Loop: Header=BB6_6725 Depth=1
	s_trap 2
	ds_load_b64 v[6:7], v0
	v_add_nc_u32_e32 v4, v5, v4
	s_delay_alu instid0(VALU_DEP_1) | instskip(NEXT) | instid1(VALU_DEP_1)
	v_ashrrev_i32_e32 v5, 31, v4
	v_add_nc_u64_e32 v[14:15], v[4:5], v[86:87]
	v_add_nc_u64_e32 v[16:17], v[4:5], v[96:97]
	s_wait_dscnt 0x0
	v_readfirstlane_b32 s10, v6
	v_readfirstlane_b32 s11, v7
	v_add_nc_u64_e32 v[18:19], v[6:7], v[4:5]
	s_and_b32 s28, s10, 7
	s_and_b32 s40, s10, 0x7f
	s_clz_i32_u32 s28, s28
	s_bfe_u32 s29, s10, 0x40003
	s_min_u32 s28, s28, 32
	s_delay_alu instid0(SALU_CYCLE_1)
	s_sub_co_i32 s41, s28, 28
	s_sub_co_i32 s28, 29, s28
	s_cmp_lt_u32 s40, 8
	s_cselect_b32 s42, s28, s29
	s_cselect_b32 s28, s41, 0
	s_lshl_b32 s41, s10, 24
	s_lshl_b64 s[28:29], s[10:11], s28
	s_and_b32 s11, s41, 0x80000000
	s_lshl_b32 s28, s28, 20
	s_lshl_b32 s29, s42, 23
	s_and_b32 s28, s28, 0x700000
	s_add_co_i32 s29, s29, 0x3c000000
	s_or_b32 s11, s28, s11
	s_mov_b32 s28, 0
	s_or_b32 s11, s29, s11
	s_cmp_lg_u32 s40, 0x7f
	s_cselect_b32 s29, s11, 0x7f800001
	s_and_b32 s40, s10, 0xff
	s_branch .LBB6_10302
.LBB6_10301:                            ;   in Loop: Header=BB6_10302 Depth=2
	s_or_b32 exec_lo, exec_lo, s10
	v_lshl_or_b32 v11, v25, 8, v24
	v_dual_lshlrev_b32 v12, 16, v34 :: v_dual_lshlrev_b32 v13, 24, v35
	v_lshl_or_b32 v4, v6, 8, v4
	v_dual_lshlrev_b32 v6, 16, v9 :: v_dual_lshlrev_b32 v9, 24, v28
	v_lshl_or_b32 v8, v27, 8, v8
	v_dual_lshlrev_b32 v21, 16, v30 :: v_dual_lshlrev_b32 v22, 24, v31
	v_dual_lshlrev_b32 v10, 24, v10 :: v_dual_lshlrev_b32 v20, 16, v20
	v_lshl_or_b32 v7, v7, 8, v5
	v_or3_b32 v5, v11, v12, v13
	v_or3_b32 v4, v4, v6, v9
	;; [unrolled: 1-line block ×3, first 2 shown]
	v_dual_sub_nc_u32 v3, v3, v68 :: v_dual_sub_nc_u32 v2, v2, v54
	v_or3_b32 v7, v7, v20, v10
	v_add_nc_u64_e32 v[14:15], v[14:15], v[68:69]
	v_add_nc_u64_e32 v[18:19], v[18:19], v[68:69]
	s_delay_alu instid0(VALU_DEP_4) | instskip(SKIP_4) | instid1(SALU_CYCLE_1)
	v_cmp_gt_i32_e32 vcc_lo, 16, v3
	global_store_b128 v[16:17], v[4:7], off th:TH_STORE_NT
	s_wait_xcnt 0x0
	v_add_nc_u64_e32 v[16:17], v[16:17], v[68:69]
	s_or_b32 s28, vcc_lo, s28
	s_and_not1_b32 exec_lo, exec_lo, s28
	s_cbranch_execz .LBB6_11182
.LBB6_10302:                            ;   Parent Loop BB6_6725 Depth=1
                                        ; =>  This Inner Loop Header: Depth=2
	s_cmp_lt_i32 s40, 0x80
	s_cbranch_scc1 .LBB6_10306
; %bb.10303:                            ;   in Loop: Header=BB6_10302 Depth=2
	s_and_b32 s10, 0xffff, s40
	s_delay_alu instid0(SALU_CYCLE_1)
	s_cmp_eq_u32 s10, 0x80
	s_mov_b32 s10, -1
	s_cbranch_scc0 .LBB6_10305
; %bb.10304:                            ;   in Loop: Header=BB6_10302 Depth=2
	s_mov_b32 s10, 0
.LBB6_10305:                            ;   in Loop: Header=BB6_10302 Depth=2
	s_brev_b32 s11, 1
	s_branch .LBB6_10308
.LBB6_10306:                            ;   in Loop: Header=BB6_10302 Depth=2
	s_mov_b32 s10, 0
	s_brev_b32 s11, 1
	s_cbranch_execz .LBB6_10308
; %bb.10307:                            ;   in Loop: Header=BB6_10302 Depth=2
	s_and_b32 s10, 0xffff, s40
	s_mov_b32 s11, 0
	s_cmp_lg_u32 s10, 0
	s_cselect_b32 s10, -1, 0
.LBB6_10308:                            ;   in Loop: Header=BB6_10302 Depth=2
	s_delay_alu instid0(SALU_CYCLE_1)
	s_and_not1_b32 vcc_lo, exec_lo, s10
	s_cbranch_vccnz .LBB6_10310
; %bb.10309:                            ;   in Loop: Header=BB6_10302 Depth=2
	s_mov_b32 s11, s29
.LBB6_10310:                            ;   in Loop: Header=BB6_10302 Depth=2
	global_load_b128 v[10:13], v[14:15], off th:TH_LOAD_NT
	v_mov_b32_e32 v4, 0
	s_mov_b32 s10, exec_lo
	s_wait_loadcnt 0x0
	v_and_b32_e32 v5, 0xff, v10
	s_wait_xcnt 0x0
	s_delay_alu instid0(VALU_DEP_1)
	v_cmpx_ne_u16_e32 0, v5
	s_cbranch_execz .LBB6_10316
; %bb.10311:                            ;   in Loop: Header=BB6_10302 Depth=2
	v_bfrev_b32_e32 v4, 1
	s_mov_b32 s41, exec_lo
	v_cmpx_ne_u16_e32 0x80, v5
	s_cbranch_execz .LBB6_10315
; %bb.10312:                            ;   in Loop: Header=BB6_10302 Depth=2
	v_and_b32_e32 v5, 0x7f, v10
	v_mov_b32_e32 v4, 0x7f800001
	s_mov_b32 s42, exec_lo
	s_delay_alu instid0(VALU_DEP_2)
	v_cmpx_ne_u32_e32 0x7f, v5
	s_cbranch_execz .LBB6_10314
; %bb.10313:                            ;   in Loop: Header=BB6_10302 Depth=2
	v_dual_lshrrev_b32 v6, 3, v5 :: v_dual_bitop2_b32 v4, 7, v10 bitop3:0x40
	v_cmp_gt_u32_e32 vcc_lo, 8, v5
	s_delay_alu instid0(VALU_DEP_2) | instskip(NEXT) | instid1(VALU_DEP_1)
	v_clz_i32_u32_e32 v4, v4
	v_min_u32_e32 v4, 32, v4
	s_delay_alu instid0(VALU_DEP_1) | instskip(SKIP_1) | instid1(VALU_DEP_1)
	v_subrev_nc_u32_e32 v7, 28, v4
	v_sub_nc_u32_e32 v4, 29, v4
	v_dual_cndmask_b32 v6, v6, v4, vcc_lo :: v_dual_cndmask_b32 v4, 0, v7, vcc_lo
	s_delay_alu instid0(VALU_DEP_1) | instskip(NEXT) | instid1(VALU_DEP_2)
	v_lshl_add_u32 v6, v6, 23, 0x3c000000
	v_lshlrev_b64_e32 v[4:5], v4, v[10:11]
	v_lshlrev_b32_e32 v5, 24, v10
	s_delay_alu instid0(VALU_DEP_1) | instskip(NEXT) | instid1(VALU_DEP_3)
	v_and_b32_e32 v5, 0x80000000, v5
	v_lshlrev_b32_e32 v4, 20, v4
	s_delay_alu instid0(VALU_DEP_1) | instskip(NEXT) | instid1(VALU_DEP_1)
	v_and_b32_e32 v4, 0x700000, v4
	v_or3_b32 v4, v4, v5, v6
.LBB6_10314:                            ;   in Loop: Header=BB6_10302 Depth=2
	s_or_b32 exec_lo, exec_lo, s42
.LBB6_10315:                            ;   in Loop: Header=BB6_10302 Depth=2
	s_delay_alu instid0(SALU_CYCLE_1)
	s_or_b32 exec_lo, exec_lo, s41
.LBB6_10316:                            ;   in Loop: Header=BB6_10302 Depth=2
	s_delay_alu instid0(SALU_CYCLE_1) | instskip(NEXT) | instid1(VALU_DEP_1)
	s_or_b32 exec_lo, exec_lo, s10
	v_mul_f32_e32 v6, s11, v4
                                        ; implicit-def: $vgpr4
	s_mov_b32 s10, exec_lo
	s_delay_alu instid0(VALU_DEP_1) | instskip(SKIP_1) | instid1(VALU_DEP_2)
	v_and_b32_e32 v52, 0x7f800000, v6
	v_lshrrev_b32_e32 v5, 24, v6
	v_cmpx_ne_u64_e32 0x7f800000, v[52:53]
	s_xor_b32 s41, exec_lo, s10
	s_cbranch_execz .LBB6_10330
; %bb.10317:                            ;   in Loop: Header=BB6_10302 Depth=2
	v_and_b32_e32 v52, 0x7fffffff, v6
	v_and_b32_e32 v5, 0x80, v5
                                        ; implicit-def: $vgpr4
	s_mov_b32 s10, exec_lo
	s_delay_alu instid0(VALU_DEP_2)
	v_cmpx_gt_u64_e32 0x43e00001, v[52:53]
	s_xor_b32 s42, exec_lo, s10
	s_cbranch_execz .LBB6_10327
; %bb.10318:                            ;   in Loop: Header=BB6_10302 Depth=2
	v_mov_b32_e32 v4, 0
	s_mov_b32 s43, exec_lo
	v_cmpx_ne_u32_e32 0, v6
	s_cbranch_execz .LBB6_10326
; %bb.10319:                            ;   in Loop: Header=BB6_10302 Depth=2
	v_bfe_u32 v4, v6, 23, 8
	v_and_b32_e32 v6, 0x7fffff, v6
	s_delay_alu instid0(VALU_DEP_2) | instskip(NEXT) | instid1(VALU_DEP_2)
	v_cmp_gt_u32_e32 vcc_lo, 0x7a, v4
	v_or_b32_e32 v20, 0x800000, v6
	v_sub_nc_u32_e32 v7, 0x79, v4
	s_delay_alu instid0(VALU_DEP_1) | instskip(SKIP_1) | instid1(VALU_DEP_2)
	v_cndmask_b32_e32 v7, 0, v7, vcc_lo
	v_cmp_eq_u32_e32 vcc_lo, 0, v4
	v_cndmask_b32_e64 v7, v7, 0x78, vcc_lo
	s_delay_alu instid0(VALU_DEP_1) | instskip(SKIP_1) | instid1(VALU_DEP_2)
	v_dual_cndmask_b32 v52, v20, v6, vcc_lo :: v_dual_add_nc_u32 v8, 20, v7
	v_add_nc_u32_e32 v21, 19, v7
	v_lshlrev_b64_e64 v[8:9], v8, -1
	s_delay_alu instid0(VALU_DEP_2) | instskip(NEXT) | instid1(VALU_DEP_4)
	v_lshlrev_b64_e64 v[22:23], v21, 1
	v_lshrrev_b64 v[20:21], v7, v[52:53]
	s_delay_alu instid0(VALU_DEP_3) | instskip(NEXT) | instid1(VALU_DEP_4)
	v_bfi_b32 v9, v9, 0, 0
	v_bfi_b32 v8, v8, 0, v52
	s_delay_alu instid0(VALU_DEP_1) | instskip(NEXT) | instid1(VALU_DEP_4)
	v_cmp_eq_u64_e64 s10, v[8:9], v[22:23]
	v_mov_b64_e32 v[22:23], v[20:21]
	s_and_saveexec_b32 s44, s10
; %bb.10320:                            ;   in Loop: Header=BB6_10302 Depth=2
	v_bfe_u32 v52, v20, 20, 1
	s_delay_alu instid0(VALU_DEP_1) | instskip(NEXT) | instid1(VALU_DEP_1)
	v_add_nc_u64_e32 v[8:9], v[20:21], v[52:53]
	v_add_nc_u64_e32 v[22:23], -1, v[8:9]
; %bb.10321:                            ;   in Loop: Header=BB6_10302 Depth=2
	s_or_b32 exec_lo, exec_lo, s44
	v_add_nc_u32_e32 v4, 0xffffff81, v4
	v_lshrrev_b32_e32 v6, 23, v20
	s_mov_b32 s10, exec_lo
	s_delay_alu instid0(VALU_DEP_2) | instskip(NEXT) | instid1(VALU_DEP_1)
	v_cndmask_b32_e64 v4, v4, 0xffffff82, vcc_lo
	v_add3_u32 v6, v7, v4, v6
	v_and_b32_e32 v4, 0xfffff, v22
	s_delay_alu instid0(VALU_DEP_1) | instskip(NEXT) | instid1(VALU_DEP_1)
	v_dual_add_nc_u32 v7, 6, v6 :: v_dual_add_nc_u32 v52, v4, v20
                                        ; implicit-def: $vgpr20_vgpr21
                                        ; implicit-def: $vgpr4
	v_cmpx_ne_u32_e32 0, v7
	s_xor_b32 s10, exec_lo, s10
; %bb.10322:                            ;   in Loop: Header=BB6_10302 Depth=2
	s_delay_alu instid0(VALU_DEP_2) | instskip(SKIP_2) | instid1(VALU_DEP_2)
	v_cmp_lt_u64_e32 vcc_lo, 0xffffff, v[52:53]
	v_add_nc_u32_e32 v4, 7, v6
	v_cndmask_b32_e64 v6, 0, 1, vcc_lo
	v_cndmask_b32_e32 v4, v7, v4, vcc_lo
	s_delay_alu instid0(VALU_DEP_2)
	v_lshrrev_b64 v[20:21], v6, v[52:53]
; %bb.10323:                            ;   in Loop: Header=BB6_10302 Depth=2
	s_and_not1_saveexec_b32 s10, s10
; %bb.10324:                            ;   in Loop: Header=BB6_10302 Depth=2
	v_mov_b64_e32 v[20:21], v[52:53]
	v_bfe_u32 v4, v52, 23, 1
; %bb.10325:                            ;   in Loop: Header=BB6_10302 Depth=2
	s_or_b32 exec_lo, exec_lo, s10
	s_delay_alu instid0(VALU_DEP_2) | instskip(NEXT) | instid1(VALU_DEP_2)
	v_lshrrev_b64 v[6:7], 20, v[20:21]
	v_cmp_gt_i32_e32 vcc_lo, 16, v4
	v_min_i32_e32 v8, 15, v4
	v_cmp_eq_u32_e64 s10, 0, v4
	s_delay_alu instid0(VALU_DEP_2) | instskip(SKIP_1) | instid1(VALU_DEP_2)
	v_dual_cndmask_b32 v7, 0, v7 :: v_dual_lshlrev_b32 v8, 3, v8
	v_cndmask_b32_e32 v6, 7, v6, vcc_lo
	v_and_b32_e32 v8, 0xf8, v8
	s_delay_alu instid0(VALU_DEP_2) | instskip(NEXT) | instid1(VALU_DEP_2)
	v_cmp_eq_u64_e32 vcc_lo, 0, v[6:7]
	v_and_or_b32 v4, v6, 7, v8
	s_and_b32 s10, s10, vcc_lo
	s_delay_alu instid0(VALU_DEP_1) | instid1(SALU_CYCLE_1)
	v_cndmask_b32_e64 v4, v4, 0, s10
	s_delay_alu instid0(VALU_DEP_1)
	v_or_b32_e32 v4, v4, v5
.LBB6_10326:                            ;   in Loop: Header=BB6_10302 Depth=2
	s_or_b32 exec_lo, exec_lo, s43
                                        ; implicit-def: $vgpr5
.LBB6_10327:                            ;   in Loop: Header=BB6_10302 Depth=2
	s_and_not1_saveexec_b32 s10, s42
; %bb.10328:                            ;   in Loop: Header=BB6_10302 Depth=2
	v_or_b32_e32 v4, 0x7e, v5
; %bb.10329:                            ;   in Loop: Header=BB6_10302 Depth=2
	s_or_b32 exec_lo, exec_lo, s10
                                        ; implicit-def: $vgpr5
.LBB6_10330:                            ;   in Loop: Header=BB6_10302 Depth=2
	s_and_not1_saveexec_b32 s10, s41
; %bb.10331:                            ;   in Loop: Header=BB6_10302 Depth=2
	v_or_b32_e32 v4, 0x7f, v5
; %bb.10332:                            ;   in Loop: Header=BB6_10302 Depth=2
	s_or_b32 exec_lo, exec_lo, s10
	v_lshrrev_b16 v6, 8, v10
	v_mov_b32_e32 v5, 0
	s_mov_b32 s10, exec_lo
	s_delay_alu instid0(VALU_DEP_2)
	v_cmpx_ne_u16_e32 0, v6
	s_cbranch_execz .LBB6_10340
; %bb.10333:                            ;   in Loop: Header=BB6_10302 Depth=2
	v_bfrev_b32_e32 v5, 1
	s_mov_b32 s41, exec_lo
	v_cmpx_ne_u16_e32 0x80, v6
	s_cbranch_execz .LBB6_10339
; %bb.10334:                            ;   in Loop: Header=BB6_10302 Depth=2
	v_and_b32_e32 v7, 0xffff, v6
	v_mov_b32_e32 v5, 0x7f800001
	s_mov_b32 s42, exec_lo
	s_delay_alu instid0(VALU_DEP_2) | instskip(NEXT) | instid1(VALU_DEP_1)
	v_and_b32_e32 v6, 0x7f, v7
	v_cmpx_ne_u32_e32 0x7f, v6
	s_cbranch_execz .LBB6_10338
; %bb.10335:                            ;   in Loop: Header=BB6_10302 Depth=2
	v_dual_lshrrev_b32 v5, 3, v6 :: v_dual_bitop2_b32 v52, 7, v7 bitop3:0x40
	s_mov_b32 s43, exec_lo
	s_delay_alu instid0(VALU_DEP_1)
	v_mov_b64_e32 v[20:21], v[52:53]
	v_cmpx_gt_u32_e32 8, v6
; %bb.10336:                            ;   in Loop: Header=BB6_10302 Depth=2
	v_clz_i32_u32_e32 v5, v52
	s_delay_alu instid0(VALU_DEP_1) | instskip(NEXT) | instid1(VALU_DEP_1)
	v_min_u32_e32 v5, 32, v5
	v_subrev_nc_u32_e32 v6, 28, v5
	s_delay_alu instid0(VALU_DEP_1) | instskip(NEXT) | instid1(VALU_DEP_1)
	v_lshlrev_b64_e32 v[6:7], v6, v[52:53]
	v_dual_sub_nc_u32 v5, 29, v5 :: v_dual_bitop2_b32 v20, 7, v6 bitop3:0x40
; %bb.10337:                            ;   in Loop: Header=BB6_10302 Depth=2
	s_or_b32 exec_lo, exec_lo, s43
	s_delay_alu instid0(VALU_DEP_1) | instskip(NEXT) | instid1(VALU_DEP_2)
	v_dual_lshlrev_b32 v6, 16, v10 :: v_dual_lshlrev_b32 v7, 20, v20
	v_lshl_add_u32 v5, v5, 23, 0x3c000000
	s_delay_alu instid0(VALU_DEP_2) | instskip(NEXT) | instid1(VALU_DEP_1)
	v_and_b32_e32 v6, 0x80000000, v6
	v_or3_b32 v5, v7, v6, v5
.LBB6_10338:                            ;   in Loop: Header=BB6_10302 Depth=2
	s_or_b32 exec_lo, exec_lo, s42
.LBB6_10339:                            ;   in Loop: Header=BB6_10302 Depth=2
	s_delay_alu instid0(SALU_CYCLE_1)
	s_or_b32 exec_lo, exec_lo, s41
.LBB6_10340:                            ;   in Loop: Header=BB6_10302 Depth=2
	s_delay_alu instid0(SALU_CYCLE_1) | instskip(NEXT) | instid1(VALU_DEP_1)
	s_or_b32 exec_lo, exec_lo, s10
	v_mul_f32_e32 v7, s11, v5
                                        ; implicit-def: $vgpr6
	s_mov_b32 s10, exec_lo
	s_delay_alu instid0(VALU_DEP_1) | instskip(SKIP_1) | instid1(VALU_DEP_2)
	v_and_b32_e32 v52, 0x7f800000, v7
	v_lshrrev_b32_e32 v5, 24, v7
	v_cmpx_ne_u64_e32 0x7f800000, v[52:53]
	s_xor_b32 s41, exec_lo, s10
	s_cbranch_execz .LBB6_10354
; %bb.10341:                            ;   in Loop: Header=BB6_10302 Depth=2
	v_and_b32_e32 v52, 0x7fffffff, v7
	v_and_b32_e32 v5, 0x80, v5
                                        ; implicit-def: $vgpr6
	s_mov_b32 s10, exec_lo
	s_delay_alu instid0(VALU_DEP_2)
	v_cmpx_gt_u64_e32 0x43e00001, v[52:53]
	s_xor_b32 s42, exec_lo, s10
	s_cbranch_execz .LBB6_10351
; %bb.10342:                            ;   in Loop: Header=BB6_10302 Depth=2
	v_mov_b32_e32 v6, 0
	s_mov_b32 s43, exec_lo
	v_cmpx_ne_u32_e32 0, v7
	s_cbranch_execz .LBB6_10350
; %bb.10343:                            ;   in Loop: Header=BB6_10302 Depth=2
	v_bfe_u32 v6, v7, 23, 8
	v_and_b32_e32 v7, 0x7fffff, v7
	s_delay_alu instid0(VALU_DEP_2) | instskip(SKIP_1) | instid1(VALU_DEP_3)
	v_sub_nc_u32_e32 v8, 0x79, v6
	v_cmp_gt_u32_e32 vcc_lo, 0x7a, v6
	v_or_b32_e32 v22, 0x800000, v7
	s_delay_alu instid0(VALU_DEP_3) | instskip(SKIP_1) | instid1(VALU_DEP_3)
	v_cndmask_b32_e32 v8, 0, v8, vcc_lo
	v_cmp_eq_u32_e32 vcc_lo, 0, v6
	v_cndmask_b32_e32 v52, v22, v7, vcc_lo
	s_delay_alu instid0(VALU_DEP_3) | instskip(NEXT) | instid1(VALU_DEP_1)
	v_cndmask_b32_e64 v8, v8, 0x78, vcc_lo
	v_add_nc_u32_e32 v9, 20, v8
	s_delay_alu instid0(VALU_DEP_1) | instskip(SKIP_1) | instid1(VALU_DEP_1)
	v_lshlrev_b64_e64 v[20:21], v9, -1
	v_add_nc_u32_e32 v9, 19, v8
	v_lshlrev_b64_e64 v[22:23], v9, 1
	s_delay_alu instid0(VALU_DEP_3) | instskip(NEXT) | instid1(VALU_DEP_4)
	v_bfi_b32 v25, v21, 0, 0
	v_bfi_b32 v24, v20, 0, v52
	v_lshrrev_b64 v[20:21], v8, v[52:53]
	s_delay_alu instid0(VALU_DEP_2) | instskip(NEXT) | instid1(VALU_DEP_2)
	v_cmp_eq_u64_e64 s10, v[24:25], v[22:23]
	v_mov_b64_e32 v[22:23], v[20:21]
	s_and_saveexec_b32 s44, s10
; %bb.10344:                            ;   in Loop: Header=BB6_10302 Depth=2
	v_bfe_u32 v52, v20, 20, 1
	s_delay_alu instid0(VALU_DEP_1) | instskip(NEXT) | instid1(VALU_DEP_1)
	v_add_nc_u64_e32 v[22:23], v[20:21], v[52:53]
	v_add_nc_u64_e32 v[22:23], -1, v[22:23]
; %bb.10345:                            ;   in Loop: Header=BB6_10302 Depth=2
	s_or_b32 exec_lo, exec_lo, s44
	v_add_nc_u32_e32 v6, 0xffffff81, v6
	v_lshrrev_b32_e32 v7, 23, v20
	s_mov_b32 s10, exec_lo
	s_delay_alu instid0(VALU_DEP_2) | instskip(NEXT) | instid1(VALU_DEP_1)
	v_cndmask_b32_e64 v6, v6, 0xffffff82, vcc_lo
	v_add3_u32 v7, v8, v6, v7
	v_and_b32_e32 v6, 0xfffff, v22
	s_delay_alu instid0(VALU_DEP_1) | instskip(NEXT) | instid1(VALU_DEP_1)
	v_dual_add_nc_u32 v8, 6, v7 :: v_dual_add_nc_u32 v52, v6, v20
                                        ; implicit-def: $vgpr20_vgpr21
                                        ; implicit-def: $vgpr6
	v_cmpx_ne_u32_e32 0, v8
	s_xor_b32 s10, exec_lo, s10
; %bb.10346:                            ;   in Loop: Header=BB6_10302 Depth=2
	s_delay_alu instid0(VALU_DEP_2) | instskip(SKIP_2) | instid1(VALU_DEP_2)
	v_cmp_lt_u64_e32 vcc_lo, 0xffffff, v[52:53]
	v_add_nc_u32_e32 v6, 7, v7
	v_cndmask_b32_e64 v7, 0, 1, vcc_lo
	v_cndmask_b32_e32 v6, v8, v6, vcc_lo
	s_delay_alu instid0(VALU_DEP_2)
	v_lshrrev_b64 v[20:21], v7, v[52:53]
; %bb.10347:                            ;   in Loop: Header=BB6_10302 Depth=2
	s_and_not1_saveexec_b32 s10, s10
; %bb.10348:                            ;   in Loop: Header=BB6_10302 Depth=2
	v_mov_b64_e32 v[20:21], v[52:53]
	v_bfe_u32 v6, v52, 23, 1
; %bb.10349:                            ;   in Loop: Header=BB6_10302 Depth=2
	s_or_b32 exec_lo, exec_lo, s10
	s_delay_alu instid0(VALU_DEP_2) | instskip(NEXT) | instid1(VALU_DEP_2)
	v_lshrrev_b64 v[8:9], 20, v[20:21]
	v_cmp_gt_i32_e32 vcc_lo, 16, v6
	v_min_i32_e32 v7, 15, v6
	v_cmp_eq_u32_e64 s10, 0, v6
	s_delay_alu instid0(VALU_DEP_2) | instskip(SKIP_1) | instid1(VALU_DEP_2)
	v_dual_cndmask_b32 v9, 0, v9, vcc_lo :: v_dual_lshlrev_b32 v7, 3, v7
	v_cndmask_b32_e32 v8, 7, v8, vcc_lo
	v_and_b32_e32 v7, 0xf8, v7
	s_delay_alu instid0(VALU_DEP_2) | instskip(NEXT) | instid1(VALU_DEP_2)
	v_cmp_eq_u64_e32 vcc_lo, 0, v[8:9]
	v_and_or_b32 v6, v8, 7, v7
	s_and_b32 s10, s10, vcc_lo
	s_delay_alu instid0(VALU_DEP_1) | instid1(SALU_CYCLE_1)
	v_cndmask_b32_e64 v6, v6, 0, s10
	s_delay_alu instid0(VALU_DEP_1)
	v_or_b32_e32 v6, v6, v5
.LBB6_10350:                            ;   in Loop: Header=BB6_10302 Depth=2
	s_or_b32 exec_lo, exec_lo, s43
                                        ; implicit-def: $vgpr5
.LBB6_10351:                            ;   in Loop: Header=BB6_10302 Depth=2
	s_and_not1_saveexec_b32 s10, s42
; %bb.10352:                            ;   in Loop: Header=BB6_10302 Depth=2
	v_or_b32_e32 v6, 0x7e, v5
; %bb.10353:                            ;   in Loop: Header=BB6_10302 Depth=2
	s_or_b32 exec_lo, exec_lo, s10
                                        ; implicit-def: $vgpr5
.LBB6_10354:                            ;   in Loop: Header=BB6_10302 Depth=2
	s_and_not1_saveexec_b32 s10, s41
; %bb.10355:                            ;   in Loop: Header=BB6_10302 Depth=2
	v_or_b32_e32 v6, 0x7f, v5
; %bb.10356:                            ;   in Loop: Header=BB6_10302 Depth=2
	s_or_b32 exec_lo, exec_lo, s10
	v_dual_lshrrev_b32 v5, 16, v10 :: v_dual_mov_b32 v7, 0
	s_mov_b32 s10, exec_lo
	s_delay_alu instid0(VALU_DEP_1) | instskip(NEXT) | instid1(VALU_DEP_1)
	v_and_b32_e32 v8, 0xff, v5
	v_cmpx_ne_u16_e32 0, v8
	s_cbranch_execz .LBB6_10364
; %bb.10357:                            ;   in Loop: Header=BB6_10302 Depth=2
	v_bfrev_b32_e32 v7, 1
	s_mov_b32 s41, exec_lo
	v_cmpx_ne_u16_e32 0x80, v8
	s_cbranch_execz .LBB6_10363
; %bb.10358:                            ;   in Loop: Header=BB6_10302 Depth=2
	v_bfe_u32 v8, v10, 16, 7
	v_mov_b32_e32 v7, 0x7f800001
	s_mov_b32 s42, exec_lo
	s_delay_alu instid0(VALU_DEP_2)
	v_cmpx_ne_u32_e32 0x7f, v8
	s_cbranch_execz .LBB6_10362
; %bb.10359:                            ;   in Loop: Header=BB6_10302 Depth=2
	v_dual_lshrrev_b32 v7, 3, v8 :: v_dual_bitop2_b32 v52, 7, v5 bitop3:0x40
	s_mov_b32 s43, exec_lo
	s_delay_alu instid0(VALU_DEP_1)
	v_mov_b64_e32 v[20:21], v[52:53]
	v_cmpx_gt_u32_e32 8, v8
; %bb.10360:                            ;   in Loop: Header=BB6_10302 Depth=2
	v_clz_i32_u32_e32 v7, v52
	s_delay_alu instid0(VALU_DEP_1) | instskip(NEXT) | instid1(VALU_DEP_1)
	v_min_u32_e32 v7, 32, v7
	v_subrev_nc_u32_e32 v8, 28, v7
	s_delay_alu instid0(VALU_DEP_1) | instskip(NEXT) | instid1(VALU_DEP_1)
	v_lshlrev_b64_e32 v[8:9], v8, v[52:53]
	v_dual_sub_nc_u32 v7, 29, v7 :: v_dual_bitop2_b32 v20, 7, v8 bitop3:0x40
; %bb.10361:                            ;   in Loop: Header=BB6_10302 Depth=2
	s_or_b32 exec_lo, exec_lo, s43
	s_delay_alu instid0(VALU_DEP_1) | instskip(NEXT) | instid1(VALU_DEP_2)
	v_dual_lshlrev_b32 v5, 24, v5 :: v_dual_lshlrev_b32 v8, 20, v20
	v_lshl_add_u32 v7, v7, 23, 0x3c000000
	s_delay_alu instid0(VALU_DEP_2) | instskip(NEXT) | instid1(VALU_DEP_1)
	v_and_b32_e32 v5, 0x80000000, v5
	v_or3_b32 v7, v8, v5, v7
.LBB6_10362:                            ;   in Loop: Header=BB6_10302 Depth=2
	s_or_b32 exec_lo, exec_lo, s42
.LBB6_10363:                            ;   in Loop: Header=BB6_10302 Depth=2
	s_delay_alu instid0(SALU_CYCLE_1)
	s_or_b32 exec_lo, exec_lo, s41
.LBB6_10364:                            ;   in Loop: Header=BB6_10302 Depth=2
	s_delay_alu instid0(SALU_CYCLE_1) | instskip(NEXT) | instid1(VALU_DEP_1)
	s_or_b32 exec_lo, exec_lo, s10
	v_mul_f32_e32 v7, s11, v7
                                        ; implicit-def: $vgpr9
	s_mov_b32 s10, exec_lo
	s_delay_alu instid0(VALU_DEP_1) | instskip(SKIP_1) | instid1(VALU_DEP_2)
	v_and_b32_e32 v52, 0x7f800000, v7
	v_lshrrev_b32_e32 v5, 24, v7
	v_cmpx_ne_u64_e32 0x7f800000, v[52:53]
	s_xor_b32 s41, exec_lo, s10
	s_cbranch_execz .LBB6_10378
; %bb.10365:                            ;   in Loop: Header=BB6_10302 Depth=2
	v_and_b32_e32 v52, 0x7fffffff, v7
	v_and_b32_e32 v5, 0x80, v5
                                        ; implicit-def: $vgpr9
	s_mov_b32 s10, exec_lo
	s_delay_alu instid0(VALU_DEP_2)
	v_cmpx_gt_u64_e32 0x43e00001, v[52:53]
	s_xor_b32 s42, exec_lo, s10
	s_cbranch_execz .LBB6_10375
; %bb.10366:                            ;   in Loop: Header=BB6_10302 Depth=2
	v_mov_b32_e32 v9, 0
	s_mov_b32 s43, exec_lo
	v_cmpx_ne_u32_e32 0, v7
	s_cbranch_execz .LBB6_10374
; %bb.10367:                            ;   in Loop: Header=BB6_10302 Depth=2
	v_bfe_u32 v8, v7, 23, 8
	v_and_b32_e32 v7, 0x7fffff, v7
	s_delay_alu instid0(VALU_DEP_2) | instskip(NEXT) | instid1(VALU_DEP_2)
	v_cmp_gt_u32_e32 vcc_lo, 0x7a, v8
	v_or_b32_e32 v22, 0x800000, v7
	v_sub_nc_u32_e32 v9, 0x79, v8
	s_delay_alu instid0(VALU_DEP_1) | instskip(SKIP_1) | instid1(VALU_DEP_2)
	v_cndmask_b32_e32 v9, 0, v9, vcc_lo
	v_cmp_eq_u32_e32 vcc_lo, 0, v8
	v_cndmask_b32_e64 v9, v9, 0x78, vcc_lo
	s_delay_alu instid0(VALU_DEP_1) | instskip(SKIP_1) | instid1(VALU_DEP_2)
	v_dual_cndmask_b32 v52, v22, v7, vcc_lo :: v_dual_add_nc_u32 v20, 20, v9
	v_add_nc_u32_e32 v23, 19, v9
	v_lshlrev_b64_e64 v[20:21], v20, -1
	s_delay_alu instid0(VALU_DEP_2) | instskip(NEXT) | instid1(VALU_DEP_2)
	v_lshlrev_b64_e64 v[22:23], v23, 1
	v_bfi_b32 v25, v21, 0, 0
	s_delay_alu instid0(VALU_DEP_3) | instskip(SKIP_1) | instid1(VALU_DEP_2)
	v_bfi_b32 v24, v20, 0, v52
	v_lshrrev_b64 v[20:21], v9, v[52:53]
	v_cmp_eq_u64_e64 s10, v[24:25], v[22:23]
	s_delay_alu instid0(VALU_DEP_2)
	v_mov_b64_e32 v[22:23], v[20:21]
	s_and_saveexec_b32 s44, s10
; %bb.10368:                            ;   in Loop: Header=BB6_10302 Depth=2
	v_bfe_u32 v52, v20, 20, 1
	s_delay_alu instid0(VALU_DEP_1) | instskip(NEXT) | instid1(VALU_DEP_1)
	v_add_nc_u64_e32 v[22:23], v[20:21], v[52:53]
	v_add_nc_u64_e32 v[22:23], -1, v[22:23]
; %bb.10369:                            ;   in Loop: Header=BB6_10302 Depth=2
	s_or_b32 exec_lo, exec_lo, s44
	v_add_nc_u32_e32 v7, 0xffffff81, v8
	v_lshrrev_b32_e32 v8, 23, v20
	s_mov_b32 s10, exec_lo
	s_delay_alu instid0(VALU_DEP_2) | instskip(NEXT) | instid1(VALU_DEP_1)
	v_cndmask_b32_e64 v7, v7, 0xffffff82, vcc_lo
	v_add3_u32 v8, v9, v7, v8
	v_and_b32_e32 v7, 0xfffff, v22
	s_delay_alu instid0(VALU_DEP_2) | instskip(NEXT) | instid1(VALU_DEP_2)
	v_add_nc_u32_e32 v9, 6, v8
	v_add_nc_u32_e32 v52, v7, v20
                                        ; implicit-def: $vgpr20_vgpr21
                                        ; implicit-def: $vgpr7
	s_delay_alu instid0(VALU_DEP_2)
	v_cmpx_ne_u32_e32 0, v9
	s_xor_b32 s10, exec_lo, s10
; %bb.10370:                            ;   in Loop: Header=BB6_10302 Depth=2
	s_delay_alu instid0(VALU_DEP_2) | instskip(SKIP_2) | instid1(VALU_DEP_2)
	v_cmp_lt_u64_e32 vcc_lo, 0xffffff, v[52:53]
	v_add_nc_u32_e32 v7, 7, v8
	v_cndmask_b32_e64 v8, 0, 1, vcc_lo
	v_cndmask_b32_e32 v7, v9, v7, vcc_lo
	s_delay_alu instid0(VALU_DEP_2)
	v_lshrrev_b64 v[20:21], v8, v[52:53]
; %bb.10371:                            ;   in Loop: Header=BB6_10302 Depth=2
	s_and_not1_saveexec_b32 s10, s10
; %bb.10372:                            ;   in Loop: Header=BB6_10302 Depth=2
	v_mov_b64_e32 v[20:21], v[52:53]
	v_bfe_u32 v7, v52, 23, 1
; %bb.10373:                            ;   in Loop: Header=BB6_10302 Depth=2
	s_or_b32 exec_lo, exec_lo, s10
	s_delay_alu instid0(VALU_DEP_2) | instskip(NEXT) | instid1(VALU_DEP_2)
	v_lshrrev_b64 v[8:9], 20, v[20:21]
	v_cmp_gt_i32_e32 vcc_lo, 16, v7
	v_min_i32_e32 v20, 15, v7
	v_cmp_eq_u32_e64 s10, 0, v7
	s_delay_alu instid0(VALU_DEP_2) | instskip(SKIP_1) | instid1(VALU_DEP_2)
	v_dual_cndmask_b32 v9, 0, v9 :: v_dual_lshlrev_b32 v20, 3, v20
	v_cndmask_b32_e32 v8, 7, v8, vcc_lo
	v_and_b32_e32 v20, 0xf8, v20
	s_delay_alu instid0(VALU_DEP_2) | instskip(NEXT) | instid1(VALU_DEP_2)
	v_cmp_eq_u64_e32 vcc_lo, 0, v[8:9]
	v_and_or_b32 v7, v8, 7, v20
	s_and_b32 s10, s10, vcc_lo
	s_delay_alu instid0(VALU_DEP_1) | instid1(SALU_CYCLE_1)
	v_cndmask_b32_e64 v7, v7, 0, s10
	s_delay_alu instid0(VALU_DEP_1)
	v_or_b32_e32 v9, v7, v5
.LBB6_10374:                            ;   in Loop: Header=BB6_10302 Depth=2
	s_or_b32 exec_lo, exec_lo, s43
                                        ; implicit-def: $vgpr5
.LBB6_10375:                            ;   in Loop: Header=BB6_10302 Depth=2
	s_and_not1_saveexec_b32 s10, s42
; %bb.10376:                            ;   in Loop: Header=BB6_10302 Depth=2
	v_or_b32_e32 v9, 0x7e, v5
; %bb.10377:                            ;   in Loop: Header=BB6_10302 Depth=2
	s_or_b32 exec_lo, exec_lo, s10
                                        ; implicit-def: $vgpr5
.LBB6_10378:                            ;   in Loop: Header=BB6_10302 Depth=2
	s_and_not1_saveexec_b32 s10, s41
; %bb.10379:                            ;   in Loop: Header=BB6_10302 Depth=2
	v_or_b32_e32 v9, 0x7f, v5
; %bb.10380:                            ;   in Loop: Header=BB6_10302 Depth=2
	s_or_b32 exec_lo, exec_lo, s10
	v_mov_b32_e32 v7, 0
	s_mov_b32 s10, exec_lo
	v_cmpx_lt_u32_e32 0xffffff, v10
	s_cbranch_execz .LBB6_10388
; %bb.10381:                            ;   in Loop: Header=BB6_10302 Depth=2
	v_lshrrev_b32_e32 v5, 24, v10
	v_bfrev_b32_e32 v7, 1
	s_mov_b32 s41, exec_lo
	s_delay_alu instid0(VALU_DEP_2)
	v_cmpx_ne_u32_e32 0x80, v5
	s_cbranch_execz .LBB6_10387
; %bb.10382:                            ;   in Loop: Header=BB6_10302 Depth=2
	v_bfe_u32 v8, v10, 24, 7
	v_mov_b32_e32 v7, 0x7f800001
	s_mov_b32 s42, exec_lo
	s_delay_alu instid0(VALU_DEP_2)
	v_cmpx_ne_u32_e32 0x7f, v8
	s_cbranch_execz .LBB6_10386
; %bb.10383:                            ;   in Loop: Header=BB6_10302 Depth=2
	v_dual_lshrrev_b32 v7, 3, v8 :: v_dual_bitop2_b32 v52, 7, v5 bitop3:0x40
	s_mov_b32 s43, exec_lo
	s_delay_alu instid0(VALU_DEP_1)
	v_mov_b64_e32 v[20:21], v[52:53]
	v_cmpx_gt_u32_e32 8, v8
; %bb.10384:                            ;   in Loop: Header=BB6_10302 Depth=2
	v_clz_i32_u32_e32 v7, v52
	s_delay_alu instid0(VALU_DEP_1) | instskip(NEXT) | instid1(VALU_DEP_1)
	v_min_u32_e32 v7, 32, v7
	v_subrev_nc_u32_e32 v8, 28, v7
	s_delay_alu instid0(VALU_DEP_1) | instskip(NEXT) | instid1(VALU_DEP_1)
	v_lshlrev_b64_e32 v[20:21], v8, v[52:53]
	v_dual_sub_nc_u32 v7, 29, v7 :: v_dual_bitop2_b32 v20, 7, v20 bitop3:0x40
; %bb.10385:                            ;   in Loop: Header=BB6_10302 Depth=2
	s_or_b32 exec_lo, exec_lo, s43
	s_delay_alu instid0(VALU_DEP_1) | instskip(NEXT) | instid1(VALU_DEP_2)
	v_dual_lshlrev_b32 v5, 24, v5 :: v_dual_lshlrev_b32 v8, 20, v20
	v_lshl_add_u32 v7, v7, 23, 0x3c000000
	s_delay_alu instid0(VALU_DEP_2) | instskip(NEXT) | instid1(VALU_DEP_1)
	v_and_b32_e32 v5, 0x80000000, v5
	v_or3_b32 v7, v8, v5, v7
.LBB6_10386:                            ;   in Loop: Header=BB6_10302 Depth=2
	s_or_b32 exec_lo, exec_lo, s42
.LBB6_10387:                            ;   in Loop: Header=BB6_10302 Depth=2
	s_delay_alu instid0(SALU_CYCLE_1)
	s_or_b32 exec_lo, exec_lo, s41
.LBB6_10388:                            ;   in Loop: Header=BB6_10302 Depth=2
	s_delay_alu instid0(SALU_CYCLE_1) | instskip(NEXT) | instid1(VALU_DEP_1)
	s_or_b32 exec_lo, exec_lo, s10
	v_mul_f32_e32 v7, s11, v7
                                        ; implicit-def: $vgpr28
	s_mov_b32 s10, exec_lo
	s_delay_alu instid0(VALU_DEP_1) | instskip(SKIP_1) | instid1(VALU_DEP_2)
	v_and_b32_e32 v52, 0x7f800000, v7
	v_lshrrev_b32_e32 v5, 24, v7
	v_cmpx_ne_u64_e32 0x7f800000, v[52:53]
	s_xor_b32 s41, exec_lo, s10
	s_cbranch_execz .LBB6_10402
; %bb.10389:                            ;   in Loop: Header=BB6_10302 Depth=2
	v_and_b32_e32 v52, 0x7fffffff, v7
	v_and_b32_e32 v5, 0x80, v5
                                        ; implicit-def: $vgpr28
	s_mov_b32 s10, exec_lo
	s_delay_alu instid0(VALU_DEP_2)
	v_cmpx_gt_u64_e32 0x43e00001, v[52:53]
	s_xor_b32 s42, exec_lo, s10
	s_cbranch_execz .LBB6_10399
; %bb.10390:                            ;   in Loop: Header=BB6_10302 Depth=2
	v_mov_b32_e32 v28, 0
	s_mov_b32 s43, exec_lo
	v_cmpx_ne_u32_e32 0, v7
	s_cbranch_execz .LBB6_10398
; %bb.10391:                            ;   in Loop: Header=BB6_10302 Depth=2
	v_bfe_u32 v8, v7, 23, 8
	v_and_b32_e32 v7, 0x7fffff, v7
	s_delay_alu instid0(VALU_DEP_2) | instskip(SKIP_1) | instid1(VALU_DEP_3)
	v_sub_nc_u32_e32 v20, 0x79, v8
	v_cmp_gt_u32_e32 vcc_lo, 0x7a, v8
	v_or_b32_e32 v22, 0x800000, v7
	s_delay_alu instid0(VALU_DEP_3) | instskip(SKIP_1) | instid1(VALU_DEP_3)
	v_cndmask_b32_e32 v20, 0, v20, vcc_lo
	v_cmp_eq_u32_e32 vcc_lo, 0, v8
	v_cndmask_b32_e32 v52, v22, v7, vcc_lo
	s_delay_alu instid0(VALU_DEP_3) | instskip(NEXT) | instid1(VALU_DEP_1)
	v_cndmask_b32_e64 v24, v20, 0x78, vcc_lo
	v_dual_add_nc_u32 v20, 20, v24 :: v_dual_add_nc_u32 v23, 19, v24
	s_delay_alu instid0(VALU_DEP_1) | instskip(NEXT) | instid1(VALU_DEP_2)
	v_lshlrev_b64_e64 v[20:21], v20, -1
	v_lshlrev_b64_e64 v[22:23], v23, 1
	s_delay_alu instid0(VALU_DEP_2) | instskip(NEXT) | instid1(VALU_DEP_3)
	v_bfi_b32 v27, v21, 0, 0
	v_bfi_b32 v26, v20, 0, v52
	v_lshrrev_b64 v[20:21], v24, v[52:53]
	s_delay_alu instid0(VALU_DEP_2) | instskip(NEXT) | instid1(VALU_DEP_2)
	v_cmp_eq_u64_e64 s10, v[26:27], v[22:23]
	v_mov_b64_e32 v[22:23], v[20:21]
	s_and_saveexec_b32 s44, s10
; %bb.10392:                            ;   in Loop: Header=BB6_10302 Depth=2
	v_bfe_u32 v52, v20, 20, 1
	s_delay_alu instid0(VALU_DEP_1) | instskip(NEXT) | instid1(VALU_DEP_1)
	v_add_nc_u64_e32 v[22:23], v[20:21], v[52:53]
	v_add_nc_u64_e32 v[22:23], -1, v[22:23]
; %bb.10393:                            ;   in Loop: Header=BB6_10302 Depth=2
	s_or_b32 exec_lo, exec_lo, s44
	v_add_nc_u32_e32 v7, 0xffffff81, v8
	v_lshrrev_b32_e32 v8, 23, v20
	s_mov_b32 s10, exec_lo
	s_delay_alu instid0(VALU_DEP_2) | instskip(NEXT) | instid1(VALU_DEP_1)
	v_cndmask_b32_e64 v7, v7, 0xffffff82, vcc_lo
	v_add3_u32 v8, v24, v7, v8
	v_and_b32_e32 v7, 0xfffff, v22
	s_delay_alu instid0(VALU_DEP_2) | instskip(NEXT) | instid1(VALU_DEP_2)
	v_add_nc_u32_e32 v22, 6, v8
	v_add_nc_u32_e32 v52, v7, v20
                                        ; implicit-def: $vgpr20_vgpr21
                                        ; implicit-def: $vgpr7
	s_delay_alu instid0(VALU_DEP_2)
	v_cmpx_ne_u32_e32 0, v22
	s_xor_b32 s10, exec_lo, s10
; %bb.10394:                            ;   in Loop: Header=BB6_10302 Depth=2
	s_delay_alu instid0(VALU_DEP_2) | instskip(SKIP_2) | instid1(VALU_DEP_2)
	v_cmp_lt_u64_e32 vcc_lo, 0xffffff, v[52:53]
	v_add_nc_u32_e32 v7, 7, v8
	v_cndmask_b32_e64 v8, 0, 1, vcc_lo
	v_cndmask_b32_e32 v7, v22, v7, vcc_lo
	s_delay_alu instid0(VALU_DEP_2)
	v_lshrrev_b64 v[20:21], v8, v[52:53]
; %bb.10395:                            ;   in Loop: Header=BB6_10302 Depth=2
	s_and_not1_saveexec_b32 s10, s10
; %bb.10396:                            ;   in Loop: Header=BB6_10302 Depth=2
	v_mov_b64_e32 v[20:21], v[52:53]
	v_bfe_u32 v7, v52, 23, 1
; %bb.10397:                            ;   in Loop: Header=BB6_10302 Depth=2
	s_or_b32 exec_lo, exec_lo, s10
	s_delay_alu instid0(VALU_DEP_2) | instskip(NEXT) | instid1(VALU_DEP_2)
	v_lshrrev_b64 v[20:21], 20, v[20:21]
	v_cmp_gt_i32_e32 vcc_lo, 16, v7
	v_min_i32_e32 v8, 15, v7
	v_cmp_eq_u32_e64 s10, 0, v7
	s_delay_alu instid0(VALU_DEP_2) | instskip(SKIP_1) | instid1(VALU_DEP_2)
	v_dual_cndmask_b32 v21, 0, v21 :: v_dual_lshlrev_b32 v8, 3, v8
	v_cndmask_b32_e32 v20, 7, v20, vcc_lo
	v_and_b32_e32 v8, 0xf8, v8
	s_delay_alu instid0(VALU_DEP_2) | instskip(NEXT) | instid1(VALU_DEP_2)
	v_cmp_eq_u64_e32 vcc_lo, 0, v[20:21]
	v_and_or_b32 v7, v20, 7, v8
	s_and_b32 s10, s10, vcc_lo
	s_delay_alu instid0(VALU_DEP_1) | instid1(SALU_CYCLE_1)
	v_cndmask_b32_e64 v7, v7, 0, s10
	s_delay_alu instid0(VALU_DEP_1)
	v_or_b32_e32 v28, v7, v5
.LBB6_10398:                            ;   in Loop: Header=BB6_10302 Depth=2
	s_or_b32 exec_lo, exec_lo, s43
                                        ; implicit-def: $vgpr5
.LBB6_10399:                            ;   in Loop: Header=BB6_10302 Depth=2
	s_and_not1_saveexec_b32 s10, s42
; %bb.10400:                            ;   in Loop: Header=BB6_10302 Depth=2
	v_or_b32_e32 v28, 0x7e, v5
; %bb.10401:                            ;   in Loop: Header=BB6_10302 Depth=2
	s_or_b32 exec_lo, exec_lo, s10
                                        ; implicit-def: $vgpr5
.LBB6_10402:                            ;   in Loop: Header=BB6_10302 Depth=2
	s_and_not1_saveexec_b32 s10, s41
; %bb.10403:                            ;   in Loop: Header=BB6_10302 Depth=2
	v_or_b32_e32 v28, 0x7f, v5
; %bb.10404:                            ;   in Loop: Header=BB6_10302 Depth=2
	s_or_b32 exec_lo, exec_lo, s10
	v_and_b32_e32 v7, 0xff, v11
	v_dual_mov_b32 v52, v11 :: v_dual_mov_b32 v5, 0
	s_mov_b32 s10, exec_lo
	s_delay_alu instid0(VALU_DEP_2)
	v_cmpx_ne_u16_e32 0, v7
	s_cbranch_execz .LBB6_10410
; %bb.10405:                            ;   in Loop: Header=BB6_10302 Depth=2
	v_bfrev_b32_e32 v5, 1
	s_mov_b32 s41, exec_lo
	v_cmpx_ne_u16_e32 0x80, v7
	s_cbranch_execz .LBB6_10409
; %bb.10406:                            ;   in Loop: Header=BB6_10302 Depth=2
	v_and_b32_e32 v7, 0x7f, v11
	v_mov_b32_e32 v5, 0x7f800001
	s_mov_b32 s42, exec_lo
	s_delay_alu instid0(VALU_DEP_2)
	v_cmpx_ne_u32_e32 0x7f, v7
	s_cbranch_execz .LBB6_10408
; %bb.10407:                            ;   in Loop: Header=BB6_10302 Depth=2
	v_cmp_gt_u32_e32 vcc_lo, 8, v7
	v_and_b32_e32 v5, 7, v11
	s_delay_alu instid0(VALU_DEP_1) | instskip(NEXT) | instid1(VALU_DEP_1)
	v_clz_i32_u32_e32 v5, v5
	v_min_u32_e32 v5, 32, v5
	v_lshrrev_b32_e32 v8, 3, v7
	s_delay_alu instid0(VALU_DEP_2) | instskip(NEXT) | instid1(VALU_DEP_1)
	v_subrev_nc_u32_e32 v20, 28, v5
	v_dual_sub_nc_u32 v5, 29, v5 :: v_dual_cndmask_b32 v7, 0, v20, vcc_lo
	s_delay_alu instid0(VALU_DEP_1) | instskip(NEXT) | instid1(VALU_DEP_2)
	v_cndmask_b32_e32 v5, v8, v5, vcc_lo
	v_lshlrev_b64_e32 v[20:21], v7, v[52:53]
	v_lshlrev_b32_e32 v7, 24, v52
	s_delay_alu instid0(VALU_DEP_3) | instskip(NEXT) | instid1(VALU_DEP_2)
	v_lshl_add_u32 v5, v5, 23, 0x3c000000
	v_and_b32_e32 v7, 0x80000000, v7
	s_delay_alu instid0(VALU_DEP_4) | instskip(NEXT) | instid1(VALU_DEP_1)
	v_lshlrev_b32_e32 v8, 20, v20
	v_and_b32_e32 v8, 0x700000, v8
	s_delay_alu instid0(VALU_DEP_1)
	v_or3_b32 v5, v8, v7, v5
.LBB6_10408:                            ;   in Loop: Header=BB6_10302 Depth=2
	s_or_b32 exec_lo, exec_lo, s42
.LBB6_10409:                            ;   in Loop: Header=BB6_10302 Depth=2
	s_delay_alu instid0(SALU_CYCLE_1)
	s_or_b32 exec_lo, exec_lo, s41
.LBB6_10410:                            ;   in Loop: Header=BB6_10302 Depth=2
	s_delay_alu instid0(SALU_CYCLE_1) | instskip(NEXT) | instid1(VALU_DEP_1)
	s_or_b32 exec_lo, exec_lo, s10
	v_dual_mul_f32 v7, s11, v5 :: v_dual_mov_b32 v21, v53
                                        ; implicit-def: $vgpr24
	s_mov_b32 s10, exec_lo
	s_delay_alu instid0(VALU_DEP_1) | instskip(SKIP_1) | instid1(VALU_DEP_2)
	v_and_b32_e32 v20, 0x7f800000, v7
	v_lshrrev_b32_e32 v5, 24, v7
	v_cmpx_ne_u64_e32 0x7f800000, v[20:21]
	s_xor_b32 s41, exec_lo, s10
	s_cbranch_execz .LBB6_10424
; %bb.10411:                            ;   in Loop: Header=BB6_10302 Depth=2
	v_and_b32_e32 v20, 0x7fffffff, v7
	v_mov_b32_e32 v21, v53
	v_and_b32_e32 v5, 0x80, v5
                                        ; implicit-def: $vgpr24
	s_mov_b32 s10, exec_lo
	s_delay_alu instid0(VALU_DEP_2)
	v_cmpx_gt_u64_e32 0x43e00001, v[20:21]
	s_xor_b32 s42, exec_lo, s10
	s_cbranch_execz .LBB6_10421
; %bb.10412:                            ;   in Loop: Header=BB6_10302 Depth=2
	v_mov_b32_e32 v24, 0
	s_mov_b32 s43, exec_lo
	v_cmpx_ne_u32_e32 0, v7
	s_cbranch_execz .LBB6_10420
; %bb.10413:                            ;   in Loop: Header=BB6_10302 Depth=2
	v_bfe_u32 v8, v7, 23, 8
	v_and_b32_e32 v7, 0x7fffff, v7
	s_mov_b32 s44, exec_lo
	s_delay_alu instid0(VALU_DEP_2) | instskip(SKIP_1) | instid1(VALU_DEP_3)
	v_dual_mov_b32 v23, v53 :: v_dual_sub_nc_u32 v20, 0x79, v8
	v_cmp_gt_u32_e32 vcc_lo, 0x7a, v8
	v_or_b32_e32 v22, 0x800000, v7
	s_delay_alu instid0(VALU_DEP_3) | instskip(SKIP_1) | instid1(VALU_DEP_3)
	v_cndmask_b32_e32 v20, 0, v20, vcc_lo
	v_cmp_eq_u32_e32 vcc_lo, 0, v8
	v_cndmask_b32_e32 v22, v22, v7, vcc_lo
	s_delay_alu instid0(VALU_DEP_3) | instskip(NEXT) | instid1(VALU_DEP_1)
	v_cndmask_b32_e64 v24, v20, 0x78, vcc_lo
	v_dual_add_nc_u32 v20, 20, v24 :: v_dual_add_nc_u32 v25, 19, v24
	s_delay_alu instid0(VALU_DEP_1) | instskip(NEXT) | instid1(VALU_DEP_2)
	v_lshlrev_b64_e64 v[20:21], v20, -1
	v_lshlrev_b64_e64 v[26:27], v25, 1
	s_delay_alu instid0(VALU_DEP_2) | instskip(NEXT) | instid1(VALU_DEP_3)
	v_bfi_b32 v31, v21, 0, 0
	v_bfi_b32 v30, v20, 0, v22
	v_lshrrev_b64 v[20:21], v24, v[22:23]
	s_delay_alu instid0(VALU_DEP_1) | instskip(NEXT) | instid1(VALU_DEP_3)
	v_mov_b64_e32 v[22:23], v[20:21]
	v_cmpx_eq_u64_e64 v[30:31], v[26:27]
; %bb.10414:                            ;   in Loop: Header=BB6_10302 Depth=2
	v_bfe_u32 v22, v20, 20, 1
	v_mov_b32_e32 v23, v53
	s_delay_alu instid0(VALU_DEP_1) | instskip(NEXT) | instid1(VALU_DEP_1)
	v_add_nc_u64_e32 v[22:23], v[20:21], v[22:23]
	v_add_nc_u64_e32 v[22:23], -1, v[22:23]
; %bb.10415:                            ;   in Loop: Header=BB6_10302 Depth=2
	s_or_b32 exec_lo, exec_lo, s44
	v_add_nc_u32_e32 v7, 0xffffff81, v8
	v_lshrrev_b32_e32 v8, 23, v20
	s_mov_b32 s10, exec_lo
	v_mov_b32_e32 v21, v53
	s_delay_alu instid0(VALU_DEP_3) | instskip(NEXT) | instid1(VALU_DEP_1)
	v_cndmask_b32_e64 v7, v7, 0xffffff82, vcc_lo
	v_add3_u32 v8, v24, v7, v8
	v_and_b32_e32 v7, 0xfffff, v22
	s_delay_alu instid0(VALU_DEP_2) | instskip(NEXT) | instid1(VALU_DEP_2)
	v_add_nc_u32_e32 v22, 6, v8
	v_add_nc_u32_e32 v20, v7, v20
                                        ; implicit-def: $vgpr7
	s_delay_alu instid0(VALU_DEP_2)
	v_cmpx_ne_u32_e32 0, v22
	s_xor_b32 s10, exec_lo, s10
; %bb.10416:                            ;   in Loop: Header=BB6_10302 Depth=2
	s_delay_alu instid0(VALU_DEP_2) | instskip(SKIP_2) | instid1(VALU_DEP_2)
	v_cmp_lt_u64_e32 vcc_lo, 0xffffff, v[20:21]
	v_add_nc_u32_e32 v7, 7, v8
	v_cndmask_b32_e64 v8, 0, 1, vcc_lo
	v_cndmask_b32_e32 v7, v22, v7, vcc_lo
	s_delay_alu instid0(VALU_DEP_2)
	v_lshrrev_b64 v[20:21], v8, v[20:21]
; %bb.10417:                            ;   in Loop: Header=BB6_10302 Depth=2
	s_and_not1_saveexec_b32 s10, s10
; %bb.10418:                            ;   in Loop: Header=BB6_10302 Depth=2
	s_delay_alu instid0(VALU_DEP_1)
	v_bfe_u32 v7, v20, 23, 1
; %bb.10419:                            ;   in Loop: Header=BB6_10302 Depth=2
	s_or_b32 exec_lo, exec_lo, s10
	s_delay_alu instid0(VALU_DEP_2) | instskip(NEXT) | instid1(VALU_DEP_2)
	v_lshrrev_b64 v[20:21], 20, v[20:21]
	v_cmp_gt_i32_e32 vcc_lo, 16, v7
	v_min_i32_e32 v8, 15, v7
	v_cmp_eq_u32_e64 s10, 0, v7
	s_delay_alu instid0(VALU_DEP_2) | instskip(SKIP_1) | instid1(VALU_DEP_2)
	v_dual_cndmask_b32 v21, 0, v21 :: v_dual_lshlrev_b32 v8, 3, v8
	v_cndmask_b32_e32 v20, 7, v20, vcc_lo
	v_and_b32_e32 v8, 0xf8, v8
	s_delay_alu instid0(VALU_DEP_2) | instskip(NEXT) | instid1(VALU_DEP_2)
	v_cmp_eq_u64_e32 vcc_lo, 0, v[20:21]
	v_and_or_b32 v7, v20, 7, v8
	s_and_b32 s10, s10, vcc_lo
	s_delay_alu instid0(VALU_DEP_1) | instid1(SALU_CYCLE_1)
	v_cndmask_b32_e64 v7, v7, 0, s10
	s_delay_alu instid0(VALU_DEP_1)
	v_or_b32_e32 v24, v7, v5
.LBB6_10420:                            ;   in Loop: Header=BB6_10302 Depth=2
	s_or_b32 exec_lo, exec_lo, s43
                                        ; implicit-def: $vgpr5
.LBB6_10421:                            ;   in Loop: Header=BB6_10302 Depth=2
	s_and_not1_saveexec_b32 s10, s42
; %bb.10422:                            ;   in Loop: Header=BB6_10302 Depth=2
	v_or_b32_e32 v24, 0x7e, v5
; %bb.10423:                            ;   in Loop: Header=BB6_10302 Depth=2
	s_or_b32 exec_lo, exec_lo, s10
                                        ; implicit-def: $vgpr5
.LBB6_10424:                            ;   in Loop: Header=BB6_10302 Depth=2
	s_and_not1_saveexec_b32 s10, s41
; %bb.10425:                            ;   in Loop: Header=BB6_10302 Depth=2
	v_or_b32_e32 v24, 0x7f, v5
; %bb.10426:                            ;   in Loop: Header=BB6_10302 Depth=2
	s_or_b32 exec_lo, exec_lo, s10
	v_lshrrev_b16 v7, 8, v52
	v_mov_b32_e32 v5, 0
	s_mov_b32 s10, exec_lo
	s_delay_alu instid0(VALU_DEP_2)
	v_cmpx_ne_u16_e32 0, v7
	s_cbranch_execz .LBB6_10434
; %bb.10427:                            ;   in Loop: Header=BB6_10302 Depth=2
	v_bfrev_b32_e32 v5, 1
	s_mov_b32 s41, exec_lo
	v_cmpx_ne_u16_e32 0x80, v7
	s_cbranch_execz .LBB6_10433
; %bb.10428:                            ;   in Loop: Header=BB6_10302 Depth=2
	v_and_b32_e32 v8, 0xffff, v7
	v_mov_b32_e32 v5, 0x7f800001
	s_mov_b32 s42, exec_lo
	s_delay_alu instid0(VALU_DEP_2) | instskip(NEXT) | instid1(VALU_DEP_1)
	v_and_b32_e32 v7, 0x7f, v8
	v_cmpx_ne_u32_e32 0x7f, v7
	s_cbranch_execz .LBB6_10432
; %bb.10429:                            ;   in Loop: Header=BB6_10302 Depth=2
	v_dual_mov_b32 v21, v53 :: v_dual_bitop2_b32 v20, 7, v8 bitop3:0x40
	v_lshrrev_b32_e32 v5, 3, v7
	s_mov_b32 s43, exec_lo
	v_cmpx_gt_u32_e32 8, v7
; %bb.10430:                            ;   in Loop: Header=BB6_10302 Depth=2
	s_delay_alu instid0(VALU_DEP_3) | instskip(NEXT) | instid1(VALU_DEP_1)
	v_clz_i32_u32_e32 v5, v20
	v_min_u32_e32 v5, 32, v5
	s_delay_alu instid0(VALU_DEP_1) | instskip(NEXT) | instid1(VALU_DEP_1)
	v_subrev_nc_u32_e32 v7, 28, v5
	v_lshlrev_b64_e32 v[20:21], v7, v[20:21]
	s_delay_alu instid0(VALU_DEP_1)
	v_dual_sub_nc_u32 v5, 29, v5 :: v_dual_bitop2_b32 v20, 7, v20 bitop3:0x40
; %bb.10431:                            ;   in Loop: Header=BB6_10302 Depth=2
	s_or_b32 exec_lo, exec_lo, s43
	v_lshlrev_b32_e32 v7, 16, v52
	s_delay_alu instid0(VALU_DEP_2) | instskip(NEXT) | instid1(VALU_DEP_3)
	v_lshlrev_b32_e32 v8, 20, v20
	v_lshl_add_u32 v5, v5, 23, 0x3c000000
	s_delay_alu instid0(VALU_DEP_3) | instskip(NEXT) | instid1(VALU_DEP_1)
	v_and_b32_e32 v7, 0x80000000, v7
	v_or3_b32 v5, v8, v7, v5
.LBB6_10432:                            ;   in Loop: Header=BB6_10302 Depth=2
	s_or_b32 exec_lo, exec_lo, s42
.LBB6_10433:                            ;   in Loop: Header=BB6_10302 Depth=2
	s_delay_alu instid0(SALU_CYCLE_1)
	s_or_b32 exec_lo, exec_lo, s41
.LBB6_10434:                            ;   in Loop: Header=BB6_10302 Depth=2
	s_delay_alu instid0(SALU_CYCLE_1) | instskip(NEXT) | instid1(VALU_DEP_1)
	s_or_b32 exec_lo, exec_lo, s10
	v_mul_f32_e32 v7, s11, v5
                                        ; implicit-def: $vgpr25
	s_mov_b32 s10, exec_lo
	s_delay_alu instid0(VALU_DEP_1) | instskip(SKIP_1) | instid1(VALU_DEP_2)
	v_and_b32_e32 v52, 0x7f800000, v7
	v_lshrrev_b32_e32 v5, 24, v7
	v_cmpx_ne_u64_e32 0x7f800000, v[52:53]
	s_xor_b32 s41, exec_lo, s10
	s_cbranch_execz .LBB6_10448
; %bb.10435:                            ;   in Loop: Header=BB6_10302 Depth=2
	v_and_b32_e32 v52, 0x7fffffff, v7
	v_and_b32_e32 v5, 0x80, v5
                                        ; implicit-def: $vgpr25
	s_mov_b32 s10, exec_lo
	s_delay_alu instid0(VALU_DEP_2)
	v_cmpx_gt_u64_e32 0x43e00001, v[52:53]
	s_xor_b32 s42, exec_lo, s10
	s_cbranch_execz .LBB6_10445
; %bb.10436:                            ;   in Loop: Header=BB6_10302 Depth=2
	v_mov_b32_e32 v25, 0
	s_mov_b32 s43, exec_lo
	v_cmpx_ne_u32_e32 0, v7
	s_cbranch_execz .LBB6_10444
; %bb.10437:                            ;   in Loop: Header=BB6_10302 Depth=2
	v_bfe_u32 v8, v7, 23, 8
	v_and_b32_e32 v7, 0x7fffff, v7
	s_delay_alu instid0(VALU_DEP_2) | instskip(SKIP_1) | instid1(VALU_DEP_3)
	v_sub_nc_u32_e32 v20, 0x79, v8
	v_cmp_gt_u32_e32 vcc_lo, 0x7a, v8
	v_or_b32_e32 v22, 0x800000, v7
	s_delay_alu instid0(VALU_DEP_3) | instskip(SKIP_1) | instid1(VALU_DEP_2)
	v_cndmask_b32_e32 v20, 0, v20, vcc_lo
	v_cmp_eq_u32_e32 vcc_lo, 0, v8
	v_cndmask_b32_e64 v25, v20, 0x78, vcc_lo
	s_delay_alu instid0(VALU_DEP_1) | instskip(SKIP_1) | instid1(VALU_DEP_2)
	v_dual_cndmask_b32 v52, v22, v7, vcc_lo :: v_dual_add_nc_u32 v20, 20, v25
	v_add_nc_u32_e32 v23, 19, v25
	v_lshlrev_b64_e64 v[20:21], v20, -1
	s_delay_alu instid0(VALU_DEP_2) | instskip(NEXT) | instid1(VALU_DEP_2)
	v_lshlrev_b64_e64 v[22:23], v23, 1
	v_bfi_b32 v27, v21, 0, 0
	s_delay_alu instid0(VALU_DEP_3) | instskip(SKIP_1) | instid1(VALU_DEP_2)
	v_bfi_b32 v26, v20, 0, v52
	v_lshrrev_b64 v[20:21], v25, v[52:53]
	v_cmp_eq_u64_e64 s10, v[26:27], v[22:23]
	s_delay_alu instid0(VALU_DEP_2)
	v_mov_b64_e32 v[22:23], v[20:21]
	s_and_saveexec_b32 s44, s10
; %bb.10438:                            ;   in Loop: Header=BB6_10302 Depth=2
	v_bfe_u32 v52, v20, 20, 1
	s_delay_alu instid0(VALU_DEP_1) | instskip(NEXT) | instid1(VALU_DEP_1)
	v_add_nc_u64_e32 v[22:23], v[20:21], v[52:53]
	v_add_nc_u64_e32 v[22:23], -1, v[22:23]
; %bb.10439:                            ;   in Loop: Header=BB6_10302 Depth=2
	s_or_b32 exec_lo, exec_lo, s44
	v_add_nc_u32_e32 v7, 0xffffff81, v8
	v_lshrrev_b32_e32 v8, 23, v20
	s_mov_b32 s10, exec_lo
	s_delay_alu instid0(VALU_DEP_2) | instskip(NEXT) | instid1(VALU_DEP_1)
	v_cndmask_b32_e64 v7, v7, 0xffffff82, vcc_lo
	v_add3_u32 v8, v25, v7, v8
	v_and_b32_e32 v7, 0xfffff, v22
	s_delay_alu instid0(VALU_DEP_2) | instskip(NEXT) | instid1(VALU_DEP_2)
	v_add_nc_u32_e32 v22, 6, v8
	v_add_nc_u32_e32 v52, v7, v20
                                        ; implicit-def: $vgpr20_vgpr21
                                        ; implicit-def: $vgpr7
	s_delay_alu instid0(VALU_DEP_2)
	v_cmpx_ne_u32_e32 0, v22
	s_xor_b32 s10, exec_lo, s10
; %bb.10440:                            ;   in Loop: Header=BB6_10302 Depth=2
	s_delay_alu instid0(VALU_DEP_2) | instskip(SKIP_2) | instid1(VALU_DEP_2)
	v_cmp_lt_u64_e32 vcc_lo, 0xffffff, v[52:53]
	v_add_nc_u32_e32 v7, 7, v8
	v_cndmask_b32_e64 v8, 0, 1, vcc_lo
	v_cndmask_b32_e32 v7, v22, v7, vcc_lo
	s_delay_alu instid0(VALU_DEP_2)
	v_lshrrev_b64 v[20:21], v8, v[52:53]
; %bb.10441:                            ;   in Loop: Header=BB6_10302 Depth=2
	s_and_not1_saveexec_b32 s10, s10
; %bb.10442:                            ;   in Loop: Header=BB6_10302 Depth=2
	v_mov_b64_e32 v[20:21], v[52:53]
	v_bfe_u32 v7, v52, 23, 1
; %bb.10443:                            ;   in Loop: Header=BB6_10302 Depth=2
	s_or_b32 exec_lo, exec_lo, s10
	s_delay_alu instid0(VALU_DEP_2) | instskip(NEXT) | instid1(VALU_DEP_2)
	v_lshrrev_b64 v[20:21], 20, v[20:21]
	v_cmp_gt_i32_e32 vcc_lo, 16, v7
	v_min_i32_e32 v8, 15, v7
	v_cmp_eq_u32_e64 s10, 0, v7
	s_delay_alu instid0(VALU_DEP_2) | instskip(SKIP_1) | instid1(VALU_DEP_2)
	v_dual_cndmask_b32 v21, 0, v21 :: v_dual_lshlrev_b32 v8, 3, v8
	v_cndmask_b32_e32 v20, 7, v20, vcc_lo
	v_and_b32_e32 v8, 0xf8, v8
	s_delay_alu instid0(VALU_DEP_2) | instskip(NEXT) | instid1(VALU_DEP_2)
	v_cmp_eq_u64_e32 vcc_lo, 0, v[20:21]
	v_and_or_b32 v7, v20, 7, v8
	s_and_b32 s10, s10, vcc_lo
	s_delay_alu instid0(VALU_DEP_1) | instid1(SALU_CYCLE_1)
	v_cndmask_b32_e64 v7, v7, 0, s10
	s_delay_alu instid0(VALU_DEP_1)
	v_or_b32_e32 v25, v7, v5
.LBB6_10444:                            ;   in Loop: Header=BB6_10302 Depth=2
	s_or_b32 exec_lo, exec_lo, s43
                                        ; implicit-def: $vgpr5
.LBB6_10445:                            ;   in Loop: Header=BB6_10302 Depth=2
	s_and_not1_saveexec_b32 s10, s42
; %bb.10446:                            ;   in Loop: Header=BB6_10302 Depth=2
	v_or_b32_e32 v25, 0x7e, v5
; %bb.10447:                            ;   in Loop: Header=BB6_10302 Depth=2
	s_or_b32 exec_lo, exec_lo, s10
                                        ; implicit-def: $vgpr5
.LBB6_10448:                            ;   in Loop: Header=BB6_10302 Depth=2
	s_and_not1_saveexec_b32 s10, s41
; %bb.10449:                            ;   in Loop: Header=BB6_10302 Depth=2
	v_or_b32_e32 v25, 0x7f, v5
; %bb.10450:                            ;   in Loop: Header=BB6_10302 Depth=2
	s_or_b32 exec_lo, exec_lo, s10
	v_dual_lshrrev_b32 v5, 16, v11 :: v_dual_mov_b32 v7, 0
	s_mov_b32 s10, exec_lo
	s_delay_alu instid0(VALU_DEP_1) | instskip(NEXT) | instid1(VALU_DEP_1)
	v_and_b32_e32 v8, 0xff, v5
	v_cmpx_ne_u16_e32 0, v8
	s_cbranch_execz .LBB6_10458
; %bb.10451:                            ;   in Loop: Header=BB6_10302 Depth=2
	v_bfrev_b32_e32 v7, 1
	s_mov_b32 s41, exec_lo
	v_cmpx_ne_u16_e32 0x80, v8
	s_cbranch_execz .LBB6_10457
; %bb.10452:                            ;   in Loop: Header=BB6_10302 Depth=2
	v_bfe_u32 v8, v11, 16, 7
	v_mov_b32_e32 v7, 0x7f800001
	s_mov_b32 s42, exec_lo
	s_delay_alu instid0(VALU_DEP_2)
	v_cmpx_ne_u32_e32 0x7f, v8
	s_cbranch_execz .LBB6_10456
; %bb.10453:                            ;   in Loop: Header=BB6_10302 Depth=2
	v_dual_lshrrev_b32 v7, 3, v8 :: v_dual_bitop2_b32 v52, 7, v5 bitop3:0x40
	s_mov_b32 s43, exec_lo
	s_delay_alu instid0(VALU_DEP_1)
	v_mov_b64_e32 v[20:21], v[52:53]
	v_cmpx_gt_u32_e32 8, v8
; %bb.10454:                            ;   in Loop: Header=BB6_10302 Depth=2
	v_clz_i32_u32_e32 v7, v52
	s_delay_alu instid0(VALU_DEP_1) | instskip(NEXT) | instid1(VALU_DEP_1)
	v_min_u32_e32 v7, 32, v7
	v_subrev_nc_u32_e32 v8, 28, v7
	s_delay_alu instid0(VALU_DEP_1) | instskip(NEXT) | instid1(VALU_DEP_1)
	v_lshlrev_b64_e32 v[20:21], v8, v[52:53]
	v_dual_sub_nc_u32 v7, 29, v7 :: v_dual_bitop2_b32 v20, 7, v20 bitop3:0x40
; %bb.10455:                            ;   in Loop: Header=BB6_10302 Depth=2
	s_or_b32 exec_lo, exec_lo, s43
	s_delay_alu instid0(VALU_DEP_1) | instskip(NEXT) | instid1(VALU_DEP_2)
	v_dual_lshlrev_b32 v5, 24, v5 :: v_dual_lshlrev_b32 v8, 20, v20
	v_lshl_add_u32 v7, v7, 23, 0x3c000000
	s_delay_alu instid0(VALU_DEP_2) | instskip(NEXT) | instid1(VALU_DEP_1)
	v_and_b32_e32 v5, 0x80000000, v5
	v_or3_b32 v7, v8, v5, v7
.LBB6_10456:                            ;   in Loop: Header=BB6_10302 Depth=2
	s_or_b32 exec_lo, exec_lo, s42
.LBB6_10457:                            ;   in Loop: Header=BB6_10302 Depth=2
	s_delay_alu instid0(SALU_CYCLE_1)
	s_or_b32 exec_lo, exec_lo, s41
.LBB6_10458:                            ;   in Loop: Header=BB6_10302 Depth=2
	s_delay_alu instid0(SALU_CYCLE_1) | instskip(NEXT) | instid1(VALU_DEP_1)
	s_or_b32 exec_lo, exec_lo, s10
	v_mul_f32_e32 v7, s11, v7
                                        ; implicit-def: $vgpr34
	s_mov_b32 s10, exec_lo
	s_delay_alu instid0(VALU_DEP_1) | instskip(SKIP_1) | instid1(VALU_DEP_2)
	v_and_b32_e32 v52, 0x7f800000, v7
	v_lshrrev_b32_e32 v5, 24, v7
	v_cmpx_ne_u64_e32 0x7f800000, v[52:53]
	s_xor_b32 s41, exec_lo, s10
	s_cbranch_execz .LBB6_10472
; %bb.10459:                            ;   in Loop: Header=BB6_10302 Depth=2
	v_and_b32_e32 v52, 0x7fffffff, v7
	v_and_b32_e32 v5, 0x80, v5
                                        ; implicit-def: $vgpr34
	s_mov_b32 s10, exec_lo
	s_delay_alu instid0(VALU_DEP_2)
	v_cmpx_gt_u64_e32 0x43e00001, v[52:53]
	s_xor_b32 s42, exec_lo, s10
	s_cbranch_execz .LBB6_10469
; %bb.10460:                            ;   in Loop: Header=BB6_10302 Depth=2
	v_mov_b32_e32 v34, 0
	s_mov_b32 s43, exec_lo
	v_cmpx_ne_u32_e32 0, v7
	s_cbranch_execz .LBB6_10468
; %bb.10461:                            ;   in Loop: Header=BB6_10302 Depth=2
	v_bfe_u32 v8, v7, 23, 8
	v_and_b32_e32 v7, 0x7fffff, v7
	s_delay_alu instid0(VALU_DEP_2) | instskip(SKIP_1) | instid1(VALU_DEP_3)
	v_sub_nc_u32_e32 v20, 0x79, v8
	v_cmp_gt_u32_e32 vcc_lo, 0x7a, v8
	v_or_b32_e32 v22, 0x800000, v7
	s_delay_alu instid0(VALU_DEP_3) | instskip(SKIP_1) | instid1(VALU_DEP_2)
	v_cndmask_b32_e32 v20, 0, v20, vcc_lo
	v_cmp_eq_u32_e32 vcc_lo, 0, v8
	v_cndmask_b32_e64 v26, v20, 0x78, vcc_lo
	s_delay_alu instid0(VALU_DEP_1) | instskip(SKIP_1) | instid1(VALU_DEP_2)
	v_dual_cndmask_b32 v52, v22, v7, vcc_lo :: v_dual_add_nc_u32 v20, 20, v26
	v_add_nc_u32_e32 v23, 19, v26
	v_lshlrev_b64_e64 v[20:21], v20, -1
	s_delay_alu instid0(VALU_DEP_2) | instskip(NEXT) | instid1(VALU_DEP_2)
	v_lshlrev_b64_e64 v[22:23], v23, 1
	v_bfi_b32 v31, v21, 0, 0
	s_delay_alu instid0(VALU_DEP_3) | instskip(SKIP_1) | instid1(VALU_DEP_2)
	v_bfi_b32 v30, v20, 0, v52
	v_lshrrev_b64 v[20:21], v26, v[52:53]
	v_cmp_eq_u64_e64 s10, v[30:31], v[22:23]
	s_delay_alu instid0(VALU_DEP_2)
	v_mov_b64_e32 v[22:23], v[20:21]
	s_and_saveexec_b32 s44, s10
; %bb.10462:                            ;   in Loop: Header=BB6_10302 Depth=2
	v_bfe_u32 v52, v20, 20, 1
	s_delay_alu instid0(VALU_DEP_1) | instskip(NEXT) | instid1(VALU_DEP_1)
	v_add_nc_u64_e32 v[22:23], v[20:21], v[52:53]
	v_add_nc_u64_e32 v[22:23], -1, v[22:23]
; %bb.10463:                            ;   in Loop: Header=BB6_10302 Depth=2
	s_or_b32 exec_lo, exec_lo, s44
	v_add_nc_u32_e32 v7, 0xffffff81, v8
	v_lshrrev_b32_e32 v8, 23, v20
	s_mov_b32 s10, exec_lo
	s_delay_alu instid0(VALU_DEP_2) | instskip(NEXT) | instid1(VALU_DEP_1)
	v_cndmask_b32_e64 v7, v7, 0xffffff82, vcc_lo
	v_add3_u32 v8, v26, v7, v8
	v_and_b32_e32 v7, 0xfffff, v22
	s_delay_alu instid0(VALU_DEP_2) | instskip(NEXT) | instid1(VALU_DEP_2)
	v_add_nc_u32_e32 v22, 6, v8
	v_add_nc_u32_e32 v52, v7, v20
                                        ; implicit-def: $vgpr20_vgpr21
                                        ; implicit-def: $vgpr7
	s_delay_alu instid0(VALU_DEP_2)
	v_cmpx_ne_u32_e32 0, v22
	s_xor_b32 s10, exec_lo, s10
; %bb.10464:                            ;   in Loop: Header=BB6_10302 Depth=2
	s_delay_alu instid0(VALU_DEP_2) | instskip(SKIP_2) | instid1(VALU_DEP_2)
	v_cmp_lt_u64_e32 vcc_lo, 0xffffff, v[52:53]
	v_add_nc_u32_e32 v7, 7, v8
	v_cndmask_b32_e64 v8, 0, 1, vcc_lo
	v_cndmask_b32_e32 v7, v22, v7, vcc_lo
	s_delay_alu instid0(VALU_DEP_2)
	v_lshrrev_b64 v[20:21], v8, v[52:53]
; %bb.10465:                            ;   in Loop: Header=BB6_10302 Depth=2
	s_and_not1_saveexec_b32 s10, s10
; %bb.10466:                            ;   in Loop: Header=BB6_10302 Depth=2
	v_mov_b64_e32 v[20:21], v[52:53]
	v_bfe_u32 v7, v52, 23, 1
; %bb.10467:                            ;   in Loop: Header=BB6_10302 Depth=2
	s_or_b32 exec_lo, exec_lo, s10
	s_delay_alu instid0(VALU_DEP_2) | instskip(NEXT) | instid1(VALU_DEP_2)
	v_lshrrev_b64 v[20:21], 20, v[20:21]
	v_cmp_gt_i32_e32 vcc_lo, 16, v7
	v_min_i32_e32 v8, 15, v7
	v_cmp_eq_u32_e64 s10, 0, v7
	s_delay_alu instid0(VALU_DEP_2) | instskip(SKIP_1) | instid1(VALU_DEP_2)
	v_dual_cndmask_b32 v21, 0, v21 :: v_dual_lshlrev_b32 v8, 3, v8
	v_cndmask_b32_e32 v20, 7, v20, vcc_lo
	v_and_b32_e32 v8, 0xf8, v8
	s_delay_alu instid0(VALU_DEP_2) | instskip(NEXT) | instid1(VALU_DEP_2)
	v_cmp_eq_u64_e32 vcc_lo, 0, v[20:21]
	v_and_or_b32 v7, v20, 7, v8
	s_and_b32 s10, s10, vcc_lo
	s_delay_alu instid0(VALU_DEP_1) | instid1(SALU_CYCLE_1)
	v_cndmask_b32_e64 v7, v7, 0, s10
	s_delay_alu instid0(VALU_DEP_1)
	v_or_b32_e32 v34, v7, v5
.LBB6_10468:                            ;   in Loop: Header=BB6_10302 Depth=2
	s_or_b32 exec_lo, exec_lo, s43
                                        ; implicit-def: $vgpr5
.LBB6_10469:                            ;   in Loop: Header=BB6_10302 Depth=2
	s_and_not1_saveexec_b32 s10, s42
; %bb.10470:                            ;   in Loop: Header=BB6_10302 Depth=2
	v_or_b32_e32 v34, 0x7e, v5
; %bb.10471:                            ;   in Loop: Header=BB6_10302 Depth=2
	s_or_b32 exec_lo, exec_lo, s10
                                        ; implicit-def: $vgpr5
.LBB6_10472:                            ;   in Loop: Header=BB6_10302 Depth=2
	s_and_not1_saveexec_b32 s10, s41
; %bb.10473:                            ;   in Loop: Header=BB6_10302 Depth=2
	v_or_b32_e32 v34, 0x7f, v5
; %bb.10474:                            ;   in Loop: Header=BB6_10302 Depth=2
	s_or_b32 exec_lo, exec_lo, s10
	v_mov_b32_e32 v7, 0
	s_mov_b32 s10, exec_lo
	v_cmpx_lt_u64_e64 s[12:13], v[10:11]
	s_cbranch_execz .LBB6_10482
; %bb.10475:                            ;   in Loop: Header=BB6_10302 Depth=2
	v_lshrrev_b32_e32 v5, 24, v11
	v_bfrev_b32_e32 v7, 1
	s_mov_b32 s41, exec_lo
	s_delay_alu instid0(VALU_DEP_2)
	v_cmpx_ne_u32_e32 0x80, v5
	s_cbranch_execz .LBB6_10481
; %bb.10476:                            ;   in Loop: Header=BB6_10302 Depth=2
	v_bfe_u32 v8, v11, 24, 7
	v_mov_b32_e32 v7, 0x7f800001
	s_mov_b32 s42, exec_lo
	s_delay_alu instid0(VALU_DEP_2)
	v_cmpx_ne_u32_e32 0x7f, v8
	s_cbranch_execz .LBB6_10480
; %bb.10477:                            ;   in Loop: Header=BB6_10302 Depth=2
	v_dual_lshrrev_b32 v7, 3, v8 :: v_dual_bitop2_b32 v52, 7, v5 bitop3:0x40
	s_mov_b32 s43, exec_lo
	s_delay_alu instid0(VALU_DEP_1)
	v_mov_b64_e32 v[10:11], v[52:53]
	v_cmpx_gt_u32_e32 8, v8
; %bb.10478:                            ;   in Loop: Header=BB6_10302 Depth=2
	v_clz_i32_u32_e32 v7, v52
	s_delay_alu instid0(VALU_DEP_1) | instskip(NEXT) | instid1(VALU_DEP_1)
	v_min_u32_e32 v7, 32, v7
	v_subrev_nc_u32_e32 v8, 28, v7
	s_delay_alu instid0(VALU_DEP_1) | instskip(NEXT) | instid1(VALU_DEP_1)
	v_lshlrev_b64_e32 v[10:11], v8, v[52:53]
	v_dual_sub_nc_u32 v7, 29, v7 :: v_dual_bitop2_b32 v10, 7, v10 bitop3:0x40
; %bb.10479:                            ;   in Loop: Header=BB6_10302 Depth=2
	s_or_b32 exec_lo, exec_lo, s43
	s_delay_alu instid0(VALU_DEP_1) | instskip(NEXT) | instid1(VALU_DEP_2)
	v_dual_lshlrev_b32 v5, 24, v5 :: v_dual_lshlrev_b32 v8, 20, v10
	v_lshl_add_u32 v7, v7, 23, 0x3c000000
	s_delay_alu instid0(VALU_DEP_2) | instskip(NEXT) | instid1(VALU_DEP_1)
	v_and_b32_e32 v5, 0x80000000, v5
	v_or3_b32 v7, v8, v5, v7
.LBB6_10480:                            ;   in Loop: Header=BB6_10302 Depth=2
	s_or_b32 exec_lo, exec_lo, s42
.LBB6_10481:                            ;   in Loop: Header=BB6_10302 Depth=2
	s_delay_alu instid0(SALU_CYCLE_1)
	s_or_b32 exec_lo, exec_lo, s41
.LBB6_10482:                            ;   in Loop: Header=BB6_10302 Depth=2
	s_delay_alu instid0(SALU_CYCLE_1) | instskip(NEXT) | instid1(VALU_DEP_1)
	s_or_b32 exec_lo, exec_lo, s10
	v_mul_f32_e32 v7, s11, v7
                                        ; implicit-def: $vgpr35
	s_mov_b32 s10, exec_lo
	s_delay_alu instid0(VALU_DEP_1) | instskip(SKIP_1) | instid1(VALU_DEP_2)
	v_and_b32_e32 v52, 0x7f800000, v7
	v_lshrrev_b32_e32 v5, 24, v7
	v_cmpx_ne_u64_e32 0x7f800000, v[52:53]
	s_xor_b32 s41, exec_lo, s10
	s_cbranch_execz .LBB6_10496
; %bb.10483:                            ;   in Loop: Header=BB6_10302 Depth=2
	v_and_b32_e32 v52, 0x7fffffff, v7
	v_and_b32_e32 v5, 0x80, v5
                                        ; implicit-def: $vgpr35
	s_mov_b32 s10, exec_lo
	s_delay_alu instid0(VALU_DEP_2)
	v_cmpx_gt_u64_e32 0x43e00001, v[52:53]
	s_xor_b32 s42, exec_lo, s10
	s_cbranch_execz .LBB6_10493
; %bb.10484:                            ;   in Loop: Header=BB6_10302 Depth=2
	v_mov_b32_e32 v35, 0
	s_mov_b32 s43, exec_lo
	v_cmpx_ne_u32_e32 0, v7
	s_cbranch_execz .LBB6_10492
; %bb.10485:                            ;   in Loop: Header=BB6_10302 Depth=2
	v_bfe_u32 v8, v7, 23, 8
	v_and_b32_e32 v7, 0x7fffff, v7
	s_delay_alu instid0(VALU_DEP_2) | instskip(SKIP_1) | instid1(VALU_DEP_3)
	v_sub_nc_u32_e32 v10, 0x79, v8
	v_cmp_gt_u32_e32 vcc_lo, 0x7a, v8
	v_or_b32_e32 v20, 0x800000, v7
	s_delay_alu instid0(VALU_DEP_3) | instskip(SKIP_1) | instid1(VALU_DEP_3)
	v_cndmask_b32_e32 v10, 0, v10, vcc_lo
	v_cmp_eq_u32_e32 vcc_lo, 0, v8
	v_cndmask_b32_e32 v52, v20, v7, vcc_lo
	s_delay_alu instid0(VALU_DEP_3) | instskip(NEXT) | instid1(VALU_DEP_1)
	v_cndmask_b32_e64 v22, v10, 0x78, vcc_lo
	v_dual_add_nc_u32 v10, 20, v22 :: v_dual_add_nc_u32 v21, 19, v22
	s_delay_alu instid0(VALU_DEP_1) | instskip(NEXT) | instid1(VALU_DEP_2)
	v_lshlrev_b64_e64 v[10:11], v10, -1
	v_lshlrev_b64_e64 v[20:21], v21, 1
	s_delay_alu instid0(VALU_DEP_2) | instskip(NEXT) | instid1(VALU_DEP_3)
	v_bfi_b32 v27, v11, 0, 0
	v_bfi_b32 v26, v10, 0, v52
	v_lshrrev_b64 v[10:11], v22, v[52:53]
	s_delay_alu instid0(VALU_DEP_2) | instskip(NEXT) | instid1(VALU_DEP_2)
	v_cmp_eq_u64_e64 s10, v[26:27], v[20:21]
	v_mov_b64_e32 v[20:21], v[10:11]
	s_and_saveexec_b32 s44, s10
; %bb.10486:                            ;   in Loop: Header=BB6_10302 Depth=2
	v_bfe_u32 v52, v10, 20, 1
	s_delay_alu instid0(VALU_DEP_1) | instskip(NEXT) | instid1(VALU_DEP_1)
	v_add_nc_u64_e32 v[20:21], v[10:11], v[52:53]
	v_add_nc_u64_e32 v[20:21], -1, v[20:21]
; %bb.10487:                            ;   in Loop: Header=BB6_10302 Depth=2
	s_or_b32 exec_lo, exec_lo, s44
	v_add_nc_u32_e32 v7, 0xffffff81, v8
	v_lshrrev_b32_e32 v8, 23, v10
	s_mov_b32 s10, exec_lo
	s_delay_alu instid0(VALU_DEP_2) | instskip(NEXT) | instid1(VALU_DEP_1)
	v_cndmask_b32_e64 v7, v7, 0xffffff82, vcc_lo
	v_add3_u32 v8, v22, v7, v8
	v_and_b32_e32 v7, 0xfffff, v20
	s_delay_alu instid0(VALU_DEP_1) | instskip(NEXT) | instid1(VALU_DEP_1)
	v_dual_add_nc_u32 v20, 6, v8 :: v_dual_add_nc_u32 v52, v7, v10
                                        ; implicit-def: $vgpr10_vgpr11
                                        ; implicit-def: $vgpr7
	v_cmpx_ne_u32_e32 0, v20
	s_xor_b32 s10, exec_lo, s10
; %bb.10488:                            ;   in Loop: Header=BB6_10302 Depth=2
	s_delay_alu instid0(VALU_DEP_2) | instskip(SKIP_2) | instid1(VALU_DEP_2)
	v_cmp_lt_u64_e32 vcc_lo, 0xffffff, v[52:53]
	v_add_nc_u32_e32 v7, 7, v8
	v_cndmask_b32_e64 v8, 0, 1, vcc_lo
	v_cndmask_b32_e32 v7, v20, v7, vcc_lo
	s_delay_alu instid0(VALU_DEP_2)
	v_lshrrev_b64 v[10:11], v8, v[52:53]
; %bb.10489:                            ;   in Loop: Header=BB6_10302 Depth=2
	s_and_not1_saveexec_b32 s10, s10
; %bb.10490:                            ;   in Loop: Header=BB6_10302 Depth=2
	v_mov_b64_e32 v[10:11], v[52:53]
	v_bfe_u32 v7, v52, 23, 1
; %bb.10491:                            ;   in Loop: Header=BB6_10302 Depth=2
	s_or_b32 exec_lo, exec_lo, s10
	s_delay_alu instid0(VALU_DEP_2) | instskip(NEXT) | instid1(VALU_DEP_2)
	v_lshrrev_b64 v[10:11], 20, v[10:11]
	v_cmp_gt_i32_e32 vcc_lo, 16, v7
	v_min_i32_e32 v8, 15, v7
	v_cmp_eq_u32_e64 s10, 0, v7
	s_delay_alu instid0(VALU_DEP_2) | instskip(SKIP_1) | instid1(VALU_DEP_2)
	v_dual_cndmask_b32 v10, 7, v10, vcc_lo :: v_dual_lshlrev_b32 v8, 3, v8
	v_cndmask_b32_e32 v11, 0, v11, vcc_lo
	v_and_b32_e32 v8, 0xf8, v8
	s_delay_alu instid0(VALU_DEP_2) | instskip(NEXT) | instid1(VALU_DEP_2)
	v_cmp_eq_u64_e32 vcc_lo, 0, v[10:11]
	v_and_or_b32 v7, v10, 7, v8
	s_and_b32 s10, s10, vcc_lo
	s_delay_alu instid0(VALU_DEP_1) | instid1(SALU_CYCLE_1)
	v_cndmask_b32_e64 v7, v7, 0, s10
	s_delay_alu instid0(VALU_DEP_1)
	v_or_b32_e32 v35, v7, v5
.LBB6_10492:                            ;   in Loop: Header=BB6_10302 Depth=2
	s_or_b32 exec_lo, exec_lo, s43
                                        ; implicit-def: $vgpr5
.LBB6_10493:                            ;   in Loop: Header=BB6_10302 Depth=2
	s_and_not1_saveexec_b32 s10, s42
; %bb.10494:                            ;   in Loop: Header=BB6_10302 Depth=2
	v_or_b32_e32 v35, 0x7e, v5
; %bb.10495:                            ;   in Loop: Header=BB6_10302 Depth=2
	s_or_b32 exec_lo, exec_lo, s10
                                        ; implicit-def: $vgpr5
.LBB6_10496:                            ;   in Loop: Header=BB6_10302 Depth=2
	s_and_not1_saveexec_b32 s10, s41
; %bb.10497:                            ;   in Loop: Header=BB6_10302 Depth=2
	v_or_b32_e32 v35, 0x7f, v5
; %bb.10498:                            ;   in Loop: Header=BB6_10302 Depth=2
	s_or_b32 exec_lo, exec_lo, s10
	v_and_b32_e32 v7, 0xff, v12
	v_mov_b32_e32 v5, 0
	s_mov_b32 s10, exec_lo
	s_delay_alu instid0(VALU_DEP_2)
	v_cmpx_ne_u16_e32 0, v7
	s_cbranch_execz .LBB6_10504
; %bb.10499:                            ;   in Loop: Header=BB6_10302 Depth=2
	v_bfrev_b32_e32 v5, 1
	s_mov_b32 s41, exec_lo
	v_cmpx_ne_u16_e32 0x80, v7
	s_cbranch_execz .LBB6_10503
; %bb.10500:                            ;   in Loop: Header=BB6_10302 Depth=2
	v_and_b32_e32 v7, 0x7f, v12
	v_mov_b32_e32 v5, 0x7f800001
	s_mov_b32 s42, exec_lo
	s_delay_alu instid0(VALU_DEP_2)
	v_cmpx_ne_u32_e32 0x7f, v7
	s_cbranch_execz .LBB6_10502
; %bb.10501:                            ;   in Loop: Header=BB6_10302 Depth=2
	v_dual_lshrrev_b32 v8, 3, v7 :: v_dual_bitop2_b32 v5, 7, v12 bitop3:0x40
	v_cmp_gt_u32_e32 vcc_lo, 8, v7
	s_delay_alu instid0(VALU_DEP_2) | instskip(NEXT) | instid1(VALU_DEP_1)
	v_clz_i32_u32_e32 v5, v5
	v_min_u32_e32 v5, 32, v5
	s_delay_alu instid0(VALU_DEP_1) | instskip(NEXT) | instid1(VALU_DEP_1)
	v_subrev_nc_u32_e32 v10, 28, v5
	v_dual_sub_nc_u32 v5, 29, v5 :: v_dual_cndmask_b32 v7, 0, v10, vcc_lo
	s_delay_alu instid0(VALU_DEP_1) | instskip(NEXT) | instid1(VALU_DEP_2)
	v_cndmask_b32_e32 v5, v8, v5, vcc_lo
	v_lshlrev_b64_e32 v[10:11], v7, v[12:13]
	v_lshlrev_b32_e32 v7, 24, v12
	s_delay_alu instid0(VALU_DEP_3) | instskip(NEXT) | instid1(VALU_DEP_2)
	v_lshl_add_u32 v5, v5, 23, 0x3c000000
	v_and_b32_e32 v7, 0x80000000, v7
	s_delay_alu instid0(VALU_DEP_4) | instskip(NEXT) | instid1(VALU_DEP_1)
	v_lshlrev_b32_e32 v8, 20, v10
	v_and_b32_e32 v8, 0x700000, v8
	s_delay_alu instid0(VALU_DEP_1)
	v_or3_b32 v5, v8, v7, v5
.LBB6_10502:                            ;   in Loop: Header=BB6_10302 Depth=2
	s_or_b32 exec_lo, exec_lo, s42
.LBB6_10503:                            ;   in Loop: Header=BB6_10302 Depth=2
	s_delay_alu instid0(SALU_CYCLE_1)
	s_or_b32 exec_lo, exec_lo, s41
.LBB6_10504:                            ;   in Loop: Header=BB6_10302 Depth=2
	s_delay_alu instid0(SALU_CYCLE_1) | instskip(NEXT) | instid1(VALU_DEP_1)
	s_or_b32 exec_lo, exec_lo, s10
	v_mul_f32_e32 v7, s11, v5
                                        ; implicit-def: $vgpr8
	s_mov_b32 s10, exec_lo
	s_delay_alu instid0(VALU_DEP_1) | instskip(SKIP_1) | instid1(VALU_DEP_2)
	v_and_b32_e32 v52, 0x7f800000, v7
	v_lshrrev_b32_e32 v5, 24, v7
	v_cmpx_ne_u64_e32 0x7f800000, v[52:53]
	s_xor_b32 s41, exec_lo, s10
	s_cbranch_execz .LBB6_10518
; %bb.10505:                            ;   in Loop: Header=BB6_10302 Depth=2
	v_and_b32_e32 v52, 0x7fffffff, v7
	v_and_b32_e32 v5, 0x80, v5
                                        ; implicit-def: $vgpr8
	s_mov_b32 s10, exec_lo
	s_delay_alu instid0(VALU_DEP_2)
	v_cmpx_gt_u64_e32 0x43e00001, v[52:53]
	s_xor_b32 s42, exec_lo, s10
	s_cbranch_execz .LBB6_10515
; %bb.10506:                            ;   in Loop: Header=BB6_10302 Depth=2
	v_mov_b32_e32 v8, 0
	s_mov_b32 s43, exec_lo
	v_cmpx_ne_u32_e32 0, v7
	s_cbranch_execz .LBB6_10514
; %bb.10507:                            ;   in Loop: Header=BB6_10302 Depth=2
	v_bfe_u32 v8, v7, 23, 8
	v_and_b32_e32 v7, 0x7fffff, v7
	s_delay_alu instid0(VALU_DEP_2) | instskip(SKIP_1) | instid1(VALU_DEP_3)
	v_sub_nc_u32_e32 v10, 0x79, v8
	v_cmp_gt_u32_e32 vcc_lo, 0x7a, v8
	v_or_b32_e32 v20, 0x800000, v7
	s_delay_alu instid0(VALU_DEP_3) | instskip(SKIP_1) | instid1(VALU_DEP_3)
	v_cndmask_b32_e32 v10, 0, v10, vcc_lo
	v_cmp_eq_u32_e32 vcc_lo, 0, v8
	v_cndmask_b32_e32 v52, v20, v7, vcc_lo
	s_delay_alu instid0(VALU_DEP_3) | instskip(NEXT) | instid1(VALU_DEP_1)
	v_cndmask_b32_e64 v22, v10, 0x78, vcc_lo
	v_dual_add_nc_u32 v10, 20, v22 :: v_dual_add_nc_u32 v21, 19, v22
	s_delay_alu instid0(VALU_DEP_1) | instskip(NEXT) | instid1(VALU_DEP_2)
	v_lshlrev_b64_e64 v[10:11], v10, -1
	v_lshlrev_b64_e64 v[20:21], v21, 1
	s_delay_alu instid0(VALU_DEP_2) | instskip(NEXT) | instid1(VALU_DEP_3)
	v_bfi_b32 v27, v11, 0, 0
	v_bfi_b32 v26, v10, 0, v52
	v_lshrrev_b64 v[10:11], v22, v[52:53]
	s_delay_alu instid0(VALU_DEP_2) | instskip(NEXT) | instid1(VALU_DEP_2)
	v_cmp_eq_u64_e64 s10, v[26:27], v[20:21]
	v_mov_b64_e32 v[20:21], v[10:11]
	s_and_saveexec_b32 s44, s10
; %bb.10508:                            ;   in Loop: Header=BB6_10302 Depth=2
	v_bfe_u32 v52, v10, 20, 1
	s_delay_alu instid0(VALU_DEP_1) | instskip(NEXT) | instid1(VALU_DEP_1)
	v_add_nc_u64_e32 v[20:21], v[10:11], v[52:53]
	v_add_nc_u64_e32 v[20:21], -1, v[20:21]
; %bb.10509:                            ;   in Loop: Header=BB6_10302 Depth=2
	s_or_b32 exec_lo, exec_lo, s44
	v_add_nc_u32_e32 v7, 0xffffff81, v8
	v_lshrrev_b32_e32 v8, 23, v10
	s_mov_b32 s10, exec_lo
	s_delay_alu instid0(VALU_DEP_2) | instskip(NEXT) | instid1(VALU_DEP_1)
	v_cndmask_b32_e64 v7, v7, 0xffffff82, vcc_lo
	v_add3_u32 v8, v22, v7, v8
	v_and_b32_e32 v7, 0xfffff, v20
	s_delay_alu instid0(VALU_DEP_1) | instskip(NEXT) | instid1(VALU_DEP_1)
	v_dual_add_nc_u32 v20, 6, v8 :: v_dual_add_nc_u32 v52, v7, v10
                                        ; implicit-def: $vgpr10_vgpr11
                                        ; implicit-def: $vgpr7
	v_cmpx_ne_u32_e32 0, v20
	s_xor_b32 s10, exec_lo, s10
; %bb.10510:                            ;   in Loop: Header=BB6_10302 Depth=2
	s_delay_alu instid0(VALU_DEP_2) | instskip(SKIP_2) | instid1(VALU_DEP_2)
	v_cmp_lt_u64_e32 vcc_lo, 0xffffff, v[52:53]
	v_add_nc_u32_e32 v7, 7, v8
	v_cndmask_b32_e64 v8, 0, 1, vcc_lo
	v_cndmask_b32_e32 v7, v20, v7, vcc_lo
	s_delay_alu instid0(VALU_DEP_2)
	v_lshrrev_b64 v[10:11], v8, v[52:53]
; %bb.10511:                            ;   in Loop: Header=BB6_10302 Depth=2
	s_and_not1_saveexec_b32 s10, s10
; %bb.10512:                            ;   in Loop: Header=BB6_10302 Depth=2
	v_mov_b64_e32 v[10:11], v[52:53]
	v_bfe_u32 v7, v52, 23, 1
; %bb.10513:                            ;   in Loop: Header=BB6_10302 Depth=2
	s_or_b32 exec_lo, exec_lo, s10
	s_delay_alu instid0(VALU_DEP_2) | instskip(NEXT) | instid1(VALU_DEP_2)
	v_lshrrev_b64 v[10:11], 20, v[10:11]
	v_cmp_gt_i32_e32 vcc_lo, 16, v7
	v_min_i32_e32 v8, 15, v7
	v_cmp_eq_u32_e64 s10, 0, v7
	s_delay_alu instid0(VALU_DEP_2) | instskip(SKIP_1) | instid1(VALU_DEP_2)
	v_dual_cndmask_b32 v10, 7, v10, vcc_lo :: v_dual_lshlrev_b32 v8, 3, v8
	v_cndmask_b32_e32 v11, 0, v11, vcc_lo
	v_and_b32_e32 v8, 0xf8, v8
	s_delay_alu instid0(VALU_DEP_2) | instskip(NEXT) | instid1(VALU_DEP_2)
	v_cmp_eq_u64_e32 vcc_lo, 0, v[10:11]
	v_and_or_b32 v7, v10, 7, v8
	s_and_b32 s10, s10, vcc_lo
	s_delay_alu instid0(VALU_DEP_1) | instid1(SALU_CYCLE_1)
	v_cndmask_b32_e64 v7, v7, 0, s10
	s_delay_alu instid0(VALU_DEP_1)
	v_or_b32_e32 v8, v7, v5
.LBB6_10514:                            ;   in Loop: Header=BB6_10302 Depth=2
	s_or_b32 exec_lo, exec_lo, s43
                                        ; implicit-def: $vgpr5
.LBB6_10515:                            ;   in Loop: Header=BB6_10302 Depth=2
	s_and_not1_saveexec_b32 s10, s42
; %bb.10516:                            ;   in Loop: Header=BB6_10302 Depth=2
	v_or_b32_e32 v8, 0x7e, v5
; %bb.10517:                            ;   in Loop: Header=BB6_10302 Depth=2
	s_or_b32 exec_lo, exec_lo, s10
                                        ; implicit-def: $vgpr5
.LBB6_10518:                            ;   in Loop: Header=BB6_10302 Depth=2
	s_and_not1_saveexec_b32 s10, s41
; %bb.10519:                            ;   in Loop: Header=BB6_10302 Depth=2
	v_or_b32_e32 v8, 0x7f, v5
; %bb.10520:                            ;   in Loop: Header=BB6_10302 Depth=2
	s_or_b32 exec_lo, exec_lo, s10
	v_lshrrev_b16 v7, 8, v12
	v_mov_b32_e32 v5, 0
	s_mov_b32 s10, exec_lo
	s_delay_alu instid0(VALU_DEP_2)
	v_cmpx_ne_u16_e32 0, v7
	s_cbranch_execz .LBB6_10528
; %bb.10521:                            ;   in Loop: Header=BB6_10302 Depth=2
	v_bfrev_b32_e32 v5, 1
	s_mov_b32 s41, exec_lo
	v_cmpx_ne_u16_e32 0x80, v7
	s_cbranch_execz .LBB6_10527
; %bb.10522:                            ;   in Loop: Header=BB6_10302 Depth=2
	v_and_b32_e32 v10, 0xffff, v7
	v_mov_b32_e32 v5, 0x7f800001
	s_mov_b32 s42, exec_lo
	s_delay_alu instid0(VALU_DEP_2) | instskip(NEXT) | instid1(VALU_DEP_1)
	v_and_b32_e32 v7, 0x7f, v10
	v_cmpx_ne_u32_e32 0x7f, v7
	s_cbranch_execz .LBB6_10526
; %bb.10523:                            ;   in Loop: Header=BB6_10302 Depth=2
	v_dual_lshrrev_b32 v5, 3, v7 :: v_dual_bitop2_b32 v52, 7, v10 bitop3:0x40
	s_mov_b32 s43, exec_lo
	s_delay_alu instid0(VALU_DEP_1)
	v_mov_b64_e32 v[10:11], v[52:53]
	v_cmpx_gt_u32_e32 8, v7
; %bb.10524:                            ;   in Loop: Header=BB6_10302 Depth=2
	v_clz_i32_u32_e32 v5, v52
	s_delay_alu instid0(VALU_DEP_1) | instskip(NEXT) | instid1(VALU_DEP_1)
	v_min_u32_e32 v5, 32, v5
	v_subrev_nc_u32_e32 v7, 28, v5
	s_delay_alu instid0(VALU_DEP_1) | instskip(NEXT) | instid1(VALU_DEP_1)
	v_lshlrev_b64_e32 v[10:11], v7, v[52:53]
	v_dual_sub_nc_u32 v5, 29, v5 :: v_dual_bitop2_b32 v10, 7, v10 bitop3:0x40
; %bb.10525:                            ;   in Loop: Header=BB6_10302 Depth=2
	s_or_b32 exec_lo, exec_lo, s43
	s_delay_alu instid0(VALU_DEP_1) | instskip(NEXT) | instid1(VALU_DEP_2)
	v_dual_lshlrev_b32 v7, 16, v12 :: v_dual_lshlrev_b32 v10, 20, v10
	v_lshl_add_u32 v5, v5, 23, 0x3c000000
	s_delay_alu instid0(VALU_DEP_2) | instskip(NEXT) | instid1(VALU_DEP_1)
	v_and_b32_e32 v7, 0x80000000, v7
	v_or3_b32 v5, v10, v7, v5
.LBB6_10526:                            ;   in Loop: Header=BB6_10302 Depth=2
	s_or_b32 exec_lo, exec_lo, s42
.LBB6_10527:                            ;   in Loop: Header=BB6_10302 Depth=2
	s_delay_alu instid0(SALU_CYCLE_1)
	s_or_b32 exec_lo, exec_lo, s41
.LBB6_10528:                            ;   in Loop: Header=BB6_10302 Depth=2
	s_delay_alu instid0(SALU_CYCLE_1) | instskip(NEXT) | instid1(VALU_DEP_1)
	s_or_b32 exec_lo, exec_lo, s10
	v_mul_f32_e32 v7, s11, v5
                                        ; implicit-def: $vgpr27
	s_mov_b32 s10, exec_lo
	s_delay_alu instid0(VALU_DEP_1) | instskip(SKIP_1) | instid1(VALU_DEP_2)
	v_and_b32_e32 v52, 0x7f800000, v7
	v_lshrrev_b32_e32 v5, 24, v7
	v_cmpx_ne_u64_e32 0x7f800000, v[52:53]
	s_xor_b32 s41, exec_lo, s10
	s_cbranch_execz .LBB6_10542
; %bb.10529:                            ;   in Loop: Header=BB6_10302 Depth=2
	v_and_b32_e32 v52, 0x7fffffff, v7
	v_and_b32_e32 v5, 0x80, v5
                                        ; implicit-def: $vgpr27
	s_mov_b32 s10, exec_lo
	s_delay_alu instid0(VALU_DEP_2)
	v_cmpx_gt_u64_e32 0x43e00001, v[52:53]
	s_xor_b32 s42, exec_lo, s10
	s_cbranch_execz .LBB6_10539
; %bb.10530:                            ;   in Loop: Header=BB6_10302 Depth=2
	v_mov_b32_e32 v27, 0
	s_mov_b32 s43, exec_lo
	v_cmpx_ne_u32_e32 0, v7
	s_cbranch_execz .LBB6_10538
; %bb.10531:                            ;   in Loop: Header=BB6_10302 Depth=2
	v_bfe_u32 v22, v7, 23, 8
	v_and_b32_e32 v7, 0x7fffff, v7
	s_delay_alu instid0(VALU_DEP_2) | instskip(SKIP_1) | instid1(VALU_DEP_3)
	v_sub_nc_u32_e32 v10, 0x79, v22
	v_cmp_gt_u32_e32 vcc_lo, 0x7a, v22
	v_or_b32_e32 v20, 0x800000, v7
	s_delay_alu instid0(VALU_DEP_3) | instskip(SKIP_1) | instid1(VALU_DEP_2)
	v_cndmask_b32_e32 v10, 0, v10, vcc_lo
	v_cmp_eq_u32_e32 vcc_lo, 0, v22
	v_cndmask_b32_e64 v23, v10, 0x78, vcc_lo
	s_delay_alu instid0(VALU_DEP_4) | instskip(NEXT) | instid1(VALU_DEP_2)
	v_cndmask_b32_e32 v52, v20, v7, vcc_lo
	v_dual_add_nc_u32 v10, 20, v23 :: v_dual_add_nc_u32 v21, 19, v23
	s_delay_alu instid0(VALU_DEP_1) | instskip(NEXT) | instid1(VALU_DEP_2)
	v_lshlrev_b64_e64 v[10:11], v10, -1
	v_lshlrev_b64_e64 v[20:21], v21, 1
	s_delay_alu instid0(VALU_DEP_2) | instskip(NEXT) | instid1(VALU_DEP_3)
	v_bfi_b32 v27, v11, 0, 0
	v_bfi_b32 v26, v10, 0, v52
	v_lshrrev_b64 v[10:11], v23, v[52:53]
	s_delay_alu instid0(VALU_DEP_2) | instskip(NEXT) | instid1(VALU_DEP_2)
	v_cmp_eq_u64_e64 s10, v[26:27], v[20:21]
	v_mov_b64_e32 v[20:21], v[10:11]
	s_and_saveexec_b32 s44, s10
; %bb.10532:                            ;   in Loop: Header=BB6_10302 Depth=2
	v_bfe_u32 v52, v10, 20, 1
	s_delay_alu instid0(VALU_DEP_1) | instskip(NEXT) | instid1(VALU_DEP_1)
	v_add_nc_u64_e32 v[20:21], v[10:11], v[52:53]
	v_add_nc_u64_e32 v[20:21], -1, v[20:21]
; %bb.10533:                            ;   in Loop: Header=BB6_10302 Depth=2
	s_or_b32 exec_lo, exec_lo, s44
	v_add_nc_u32_e32 v7, 0xffffff81, v22
	v_lshrrev_b32_e32 v11, 23, v10
	s_mov_b32 s10, exec_lo
	s_delay_alu instid0(VALU_DEP_2) | instskip(NEXT) | instid1(VALU_DEP_1)
	v_cndmask_b32_e64 v7, v7, 0xffffff82, vcc_lo
	v_add3_u32 v21, v23, v7, v11
	v_and_b32_e32 v7, 0xfffff, v20
	s_delay_alu instid0(VALU_DEP_1) | instskip(NEXT) | instid1(VALU_DEP_1)
	v_dual_add_nc_u32 v20, 6, v21 :: v_dual_add_nc_u32 v52, v7, v10
                                        ; implicit-def: $vgpr10_vgpr11
                                        ; implicit-def: $vgpr7
	v_cmpx_ne_u32_e32 0, v20
	s_xor_b32 s10, exec_lo, s10
; %bb.10534:                            ;   in Loop: Header=BB6_10302 Depth=2
	s_delay_alu instid0(VALU_DEP_2) | instskip(SKIP_2) | instid1(VALU_DEP_2)
	v_cmp_lt_u64_e32 vcc_lo, 0xffffff, v[52:53]
	v_add_nc_u32_e32 v7, 7, v21
	v_cndmask_b32_e64 v10, 0, 1, vcc_lo
	v_cndmask_b32_e32 v7, v20, v7, vcc_lo
	s_delay_alu instid0(VALU_DEP_2)
	v_lshrrev_b64 v[10:11], v10, v[52:53]
; %bb.10535:                            ;   in Loop: Header=BB6_10302 Depth=2
	s_and_not1_saveexec_b32 s10, s10
; %bb.10536:                            ;   in Loop: Header=BB6_10302 Depth=2
	v_mov_b64_e32 v[10:11], v[52:53]
	v_bfe_u32 v7, v52, 23, 1
; %bb.10537:                            ;   in Loop: Header=BB6_10302 Depth=2
	s_or_b32 exec_lo, exec_lo, s10
	s_delay_alu instid0(VALU_DEP_2) | instskip(NEXT) | instid1(VALU_DEP_2)
	v_lshrrev_b64 v[10:11], 20, v[10:11]
	v_cmp_gt_i32_e32 vcc_lo, 16, v7
	v_min_i32_e32 v20, 15, v7
	v_cmp_eq_u32_e64 s10, 0, v7
	s_delay_alu instid0(VALU_DEP_2) | instskip(SKIP_1) | instid1(VALU_DEP_2)
	v_dual_cndmask_b32 v10, 7, v10, vcc_lo :: v_dual_lshlrev_b32 v20, 3, v20
	v_cndmask_b32_e32 v11, 0, v11, vcc_lo
	v_and_b32_e32 v20, 0xf8, v20
	s_delay_alu instid0(VALU_DEP_2) | instskip(NEXT) | instid1(VALU_DEP_2)
	v_cmp_eq_u64_e32 vcc_lo, 0, v[10:11]
	v_and_or_b32 v7, v10, 7, v20
	s_and_b32 s10, s10, vcc_lo
	s_delay_alu instid0(VALU_DEP_1) | instid1(SALU_CYCLE_1)
	v_cndmask_b32_e64 v7, v7, 0, s10
	s_delay_alu instid0(VALU_DEP_1)
	v_or_b32_e32 v27, v7, v5
.LBB6_10538:                            ;   in Loop: Header=BB6_10302 Depth=2
	s_or_b32 exec_lo, exec_lo, s43
                                        ; implicit-def: $vgpr5
.LBB6_10539:                            ;   in Loop: Header=BB6_10302 Depth=2
	s_and_not1_saveexec_b32 s10, s42
; %bb.10540:                            ;   in Loop: Header=BB6_10302 Depth=2
	v_or_b32_e32 v27, 0x7e, v5
; %bb.10541:                            ;   in Loop: Header=BB6_10302 Depth=2
	s_or_b32 exec_lo, exec_lo, s10
                                        ; implicit-def: $vgpr5
.LBB6_10542:                            ;   in Loop: Header=BB6_10302 Depth=2
	s_and_not1_saveexec_b32 s10, s41
; %bb.10543:                            ;   in Loop: Header=BB6_10302 Depth=2
	v_or_b32_e32 v27, 0x7f, v5
; %bb.10544:                            ;   in Loop: Header=BB6_10302 Depth=2
	s_or_b32 exec_lo, exec_lo, s10
	v_dual_lshrrev_b32 v5, 16, v12 :: v_dual_mov_b32 v7, 0
	s_mov_b32 s10, exec_lo
	s_delay_alu instid0(VALU_DEP_1) | instskip(NEXT) | instid1(VALU_DEP_1)
	v_and_b32_e32 v10, 0xff, v5
	v_cmpx_ne_u16_e32 0, v10
	s_cbranch_execz .LBB6_10552
; %bb.10545:                            ;   in Loop: Header=BB6_10302 Depth=2
	v_bfrev_b32_e32 v7, 1
	s_mov_b32 s41, exec_lo
	v_cmpx_ne_u16_e32 0x80, v10
	s_cbranch_execz .LBB6_10551
; %bb.10546:                            ;   in Loop: Header=BB6_10302 Depth=2
	v_bfe_u32 v10, v12, 16, 7
	v_mov_b32_e32 v7, 0x7f800001
	s_mov_b32 s42, exec_lo
	s_delay_alu instid0(VALU_DEP_2)
	v_cmpx_ne_u32_e32 0x7f, v10
	s_cbranch_execz .LBB6_10550
; %bb.10547:                            ;   in Loop: Header=BB6_10302 Depth=2
	v_dual_lshrrev_b32 v7, 3, v10 :: v_dual_bitop2_b32 v52, 7, v5 bitop3:0x40
	v_cmp_gt_u32_e32 vcc_lo, 8, v10
	s_delay_alu instid0(VALU_DEP_2)
	v_mov_b64_e32 v[10:11], v[52:53]
	s_and_saveexec_b32 s43, vcc_lo
; %bb.10548:                            ;   in Loop: Header=BB6_10302 Depth=2
	v_clz_i32_u32_e32 v7, v52
	s_delay_alu instid0(VALU_DEP_1) | instskip(NEXT) | instid1(VALU_DEP_1)
	v_min_u32_e32 v7, 32, v7
	v_subrev_nc_u32_e32 v10, 28, v7
	s_delay_alu instid0(VALU_DEP_1) | instskip(NEXT) | instid1(VALU_DEP_1)
	v_lshlrev_b64_e32 v[10:11], v10, v[52:53]
	v_dual_sub_nc_u32 v7, 29, v7 :: v_dual_bitop2_b32 v10, 7, v10 bitop3:0x40
; %bb.10549:                            ;   in Loop: Header=BB6_10302 Depth=2
	s_or_b32 exec_lo, exec_lo, s43
	s_delay_alu instid0(VALU_DEP_1) | instskip(NEXT) | instid1(VALU_DEP_2)
	v_dual_lshlrev_b32 v5, 24, v5 :: v_dual_lshlrev_b32 v10, 20, v10
	v_lshl_add_u32 v7, v7, 23, 0x3c000000
	s_delay_alu instid0(VALU_DEP_2) | instskip(NEXT) | instid1(VALU_DEP_1)
	v_and_b32_e32 v5, 0x80000000, v5
	v_or3_b32 v7, v10, v5, v7
.LBB6_10550:                            ;   in Loop: Header=BB6_10302 Depth=2
	s_or_b32 exec_lo, exec_lo, s42
.LBB6_10551:                            ;   in Loop: Header=BB6_10302 Depth=2
	s_delay_alu instid0(SALU_CYCLE_1)
	s_or_b32 exec_lo, exec_lo, s41
.LBB6_10552:                            ;   in Loop: Header=BB6_10302 Depth=2
	s_delay_alu instid0(SALU_CYCLE_1) | instskip(NEXT) | instid1(VALU_DEP_1)
	s_or_b32 exec_lo, exec_lo, s10
	v_mul_f32_e32 v7, s11, v7
                                        ; implicit-def: $vgpr30
	s_mov_b32 s10, exec_lo
	s_delay_alu instid0(VALU_DEP_1) | instskip(SKIP_1) | instid1(VALU_DEP_2)
	v_and_b32_e32 v52, 0x7f800000, v7
	v_lshrrev_b32_e32 v5, 24, v7
	v_cmpx_ne_u64_e32 0x7f800000, v[52:53]
	s_xor_b32 s41, exec_lo, s10
	s_cbranch_execz .LBB6_10566
; %bb.10553:                            ;   in Loop: Header=BB6_10302 Depth=2
	v_and_b32_e32 v52, 0x7fffffff, v7
	v_and_b32_e32 v5, 0x80, v5
                                        ; implicit-def: $vgpr30
	s_mov_b32 s10, exec_lo
	s_delay_alu instid0(VALU_DEP_2)
	v_cmpx_gt_u64_e32 0x43e00001, v[52:53]
	s_xor_b32 s42, exec_lo, s10
	s_cbranch_execz .LBB6_10563
; %bb.10554:                            ;   in Loop: Header=BB6_10302 Depth=2
	v_mov_b32_e32 v30, 0
	s_mov_b32 s43, exec_lo
	v_cmpx_ne_u32_e32 0, v7
	s_cbranch_execz .LBB6_10562
; %bb.10555:                            ;   in Loop: Header=BB6_10302 Depth=2
	v_bfe_u32 v22, v7, 23, 8
	v_and_b32_e32 v7, 0x7fffff, v7
	s_delay_alu instid0(VALU_DEP_2) | instskip(SKIP_1) | instid1(VALU_DEP_3)
	v_sub_nc_u32_e32 v10, 0x79, v22
	v_cmp_gt_u32_e32 vcc_lo, 0x7a, v22
	v_or_b32_e32 v20, 0x800000, v7
	s_delay_alu instid0(VALU_DEP_3) | instskip(SKIP_1) | instid1(VALU_DEP_2)
	v_cndmask_b32_e32 v10, 0, v10, vcc_lo
	v_cmp_eq_u32_e32 vcc_lo, 0, v22
	v_cndmask_b32_e64 v23, v10, 0x78, vcc_lo
	s_delay_alu instid0(VALU_DEP_4) | instskip(NEXT) | instid1(VALU_DEP_2)
	v_cndmask_b32_e32 v52, v20, v7, vcc_lo
	v_dual_add_nc_u32 v10, 20, v23 :: v_dual_add_nc_u32 v21, 19, v23
	s_delay_alu instid0(VALU_DEP_1) | instskip(NEXT) | instid1(VALU_DEP_2)
	v_lshlrev_b64_e64 v[10:11], v10, -1
	v_lshlrev_b64_e64 v[20:21], v21, 1
	s_delay_alu instid0(VALU_DEP_2) | instskip(NEXT) | instid1(VALU_DEP_3)
	v_bfi_b32 v31, v11, 0, 0
	v_bfi_b32 v30, v10, 0, v52
	v_lshrrev_b64 v[10:11], v23, v[52:53]
	s_delay_alu instid0(VALU_DEP_2) | instskip(NEXT) | instid1(VALU_DEP_2)
	v_cmp_eq_u64_e64 s10, v[30:31], v[20:21]
	v_mov_b64_e32 v[20:21], v[10:11]
	s_and_saveexec_b32 s44, s10
; %bb.10556:                            ;   in Loop: Header=BB6_10302 Depth=2
	v_bfe_u32 v52, v10, 20, 1
	s_delay_alu instid0(VALU_DEP_1) | instskip(NEXT) | instid1(VALU_DEP_1)
	v_add_nc_u64_e32 v[20:21], v[10:11], v[52:53]
	v_add_nc_u64_e32 v[20:21], -1, v[20:21]
; %bb.10557:                            ;   in Loop: Header=BB6_10302 Depth=2
	s_or_b32 exec_lo, exec_lo, s44
	v_add_nc_u32_e32 v7, 0xffffff81, v22
	v_lshrrev_b32_e32 v11, 23, v10
	s_mov_b32 s10, exec_lo
	s_delay_alu instid0(VALU_DEP_2) | instskip(NEXT) | instid1(VALU_DEP_1)
	v_cndmask_b32_e64 v7, v7, 0xffffff82, vcc_lo
	v_add3_u32 v21, v23, v7, v11
	v_and_b32_e32 v7, 0xfffff, v20
	s_delay_alu instid0(VALU_DEP_1) | instskip(NEXT) | instid1(VALU_DEP_1)
	v_dual_add_nc_u32 v20, 6, v21 :: v_dual_add_nc_u32 v52, v7, v10
                                        ; implicit-def: $vgpr10_vgpr11
                                        ; implicit-def: $vgpr7
	v_cmpx_ne_u32_e32 0, v20
	s_xor_b32 s10, exec_lo, s10
; %bb.10558:                            ;   in Loop: Header=BB6_10302 Depth=2
	s_delay_alu instid0(VALU_DEP_2) | instskip(SKIP_2) | instid1(VALU_DEP_2)
	v_cmp_lt_u64_e32 vcc_lo, 0xffffff, v[52:53]
	v_add_nc_u32_e32 v7, 7, v21
	v_cndmask_b32_e64 v10, 0, 1, vcc_lo
	v_cndmask_b32_e32 v7, v20, v7, vcc_lo
	s_delay_alu instid0(VALU_DEP_2)
	v_lshrrev_b64 v[10:11], v10, v[52:53]
; %bb.10559:                            ;   in Loop: Header=BB6_10302 Depth=2
	s_and_not1_saveexec_b32 s10, s10
; %bb.10560:                            ;   in Loop: Header=BB6_10302 Depth=2
	v_mov_b64_e32 v[10:11], v[52:53]
	v_bfe_u32 v7, v52, 23, 1
; %bb.10561:                            ;   in Loop: Header=BB6_10302 Depth=2
	s_or_b32 exec_lo, exec_lo, s10
	s_delay_alu instid0(VALU_DEP_2) | instskip(NEXT) | instid1(VALU_DEP_2)
	v_lshrrev_b64 v[10:11], 20, v[10:11]
	v_cmp_gt_i32_e32 vcc_lo, 16, v7
	v_min_i32_e32 v20, 15, v7
	v_cmp_eq_u32_e64 s10, 0, v7
	s_delay_alu instid0(VALU_DEP_2) | instskip(SKIP_1) | instid1(VALU_DEP_2)
	v_dual_cndmask_b32 v10, 7, v10, vcc_lo :: v_dual_lshlrev_b32 v20, 3, v20
	v_cndmask_b32_e32 v11, 0, v11, vcc_lo
	v_and_b32_e32 v20, 0xf8, v20
	s_delay_alu instid0(VALU_DEP_2) | instskip(NEXT) | instid1(VALU_DEP_2)
	v_cmp_eq_u64_e32 vcc_lo, 0, v[10:11]
	v_and_or_b32 v7, v10, 7, v20
	s_and_b32 s10, s10, vcc_lo
	s_delay_alu instid0(VALU_DEP_1) | instid1(SALU_CYCLE_1)
	v_cndmask_b32_e64 v7, v7, 0, s10
	s_delay_alu instid0(VALU_DEP_1)
	v_or_b32_e32 v30, v7, v5
.LBB6_10562:                            ;   in Loop: Header=BB6_10302 Depth=2
	s_or_b32 exec_lo, exec_lo, s43
                                        ; implicit-def: $vgpr5
.LBB6_10563:                            ;   in Loop: Header=BB6_10302 Depth=2
	s_and_not1_saveexec_b32 s10, s42
; %bb.10564:                            ;   in Loop: Header=BB6_10302 Depth=2
	v_or_b32_e32 v30, 0x7e, v5
; %bb.10565:                            ;   in Loop: Header=BB6_10302 Depth=2
	s_or_b32 exec_lo, exec_lo, s10
                                        ; implicit-def: $vgpr5
.LBB6_10566:                            ;   in Loop: Header=BB6_10302 Depth=2
	s_and_not1_saveexec_b32 s10, s41
; %bb.10567:                            ;   in Loop: Header=BB6_10302 Depth=2
	v_or_b32_e32 v30, 0x7f, v5
; %bb.10568:                            ;   in Loop: Header=BB6_10302 Depth=2
	s_or_b32 exec_lo, exec_lo, s10
	v_mov_b32_e32 v7, 0
	s_mov_b32 s10, exec_lo
	v_cmpx_lt_u32_e32 0xffffff, v12
	s_cbranch_execz .LBB6_10576
; %bb.10569:                            ;   in Loop: Header=BB6_10302 Depth=2
	v_lshrrev_b32_e32 v5, 24, v12
	v_bfrev_b32_e32 v7, 1
	s_mov_b32 s41, exec_lo
	s_delay_alu instid0(VALU_DEP_2)
	v_cmpx_ne_u32_e32 0x80, v5
	s_cbranch_execz .LBB6_10575
; %bb.10570:                            ;   in Loop: Header=BB6_10302 Depth=2
	v_bfe_u32 v10, v12, 24, 7
	v_mov_b32_e32 v7, 0x7f800001
	s_mov_b32 s42, exec_lo
	s_delay_alu instid0(VALU_DEP_2)
	v_cmpx_ne_u32_e32 0x7f, v10
	s_cbranch_execz .LBB6_10574
; %bb.10571:                            ;   in Loop: Header=BB6_10302 Depth=2
	v_dual_lshrrev_b32 v7, 3, v10 :: v_dual_bitop2_b32 v52, 7, v5 bitop3:0x40
	v_cmp_gt_u32_e32 vcc_lo, 8, v10
	s_delay_alu instid0(VALU_DEP_2)
	v_mov_b64_e32 v[10:11], v[52:53]
	s_and_saveexec_b32 s43, vcc_lo
; %bb.10572:                            ;   in Loop: Header=BB6_10302 Depth=2
	v_clz_i32_u32_e32 v7, v52
	s_delay_alu instid0(VALU_DEP_1) | instskip(NEXT) | instid1(VALU_DEP_1)
	v_min_u32_e32 v7, 32, v7
	v_subrev_nc_u32_e32 v10, 28, v7
	s_delay_alu instid0(VALU_DEP_1) | instskip(NEXT) | instid1(VALU_DEP_1)
	v_lshlrev_b64_e32 v[10:11], v10, v[52:53]
	v_dual_sub_nc_u32 v7, 29, v7 :: v_dual_bitop2_b32 v10, 7, v10 bitop3:0x40
; %bb.10573:                            ;   in Loop: Header=BB6_10302 Depth=2
	s_or_b32 exec_lo, exec_lo, s43
	s_delay_alu instid0(VALU_DEP_1) | instskip(NEXT) | instid1(VALU_DEP_2)
	v_dual_lshlrev_b32 v5, 24, v5 :: v_dual_lshlrev_b32 v10, 20, v10
	v_lshl_add_u32 v7, v7, 23, 0x3c000000
	s_delay_alu instid0(VALU_DEP_2) | instskip(NEXT) | instid1(VALU_DEP_1)
	v_and_b32_e32 v5, 0x80000000, v5
	v_or3_b32 v7, v10, v5, v7
.LBB6_10574:                            ;   in Loop: Header=BB6_10302 Depth=2
	s_or_b32 exec_lo, exec_lo, s42
.LBB6_10575:                            ;   in Loop: Header=BB6_10302 Depth=2
	s_delay_alu instid0(SALU_CYCLE_1)
	s_or_b32 exec_lo, exec_lo, s41
.LBB6_10576:                            ;   in Loop: Header=BB6_10302 Depth=2
	s_delay_alu instid0(SALU_CYCLE_1) | instskip(NEXT) | instid1(VALU_DEP_1)
	s_or_b32 exec_lo, exec_lo, s10
	v_mul_f32_e32 v7, s11, v7
                                        ; implicit-def: $vgpr31
	s_mov_b32 s10, exec_lo
	s_delay_alu instid0(VALU_DEP_1) | instskip(SKIP_1) | instid1(VALU_DEP_2)
	v_and_b32_e32 v52, 0x7f800000, v7
	v_lshrrev_b32_e32 v5, 24, v7
	v_cmpx_ne_u64_e32 0x7f800000, v[52:53]
	s_xor_b32 s41, exec_lo, s10
	s_cbranch_execz .LBB6_10590
; %bb.10577:                            ;   in Loop: Header=BB6_10302 Depth=2
	v_and_b32_e32 v52, 0x7fffffff, v7
	v_and_b32_e32 v5, 0x80, v5
                                        ; implicit-def: $vgpr31
	s_mov_b32 s10, exec_lo
	s_delay_alu instid0(VALU_DEP_2)
	v_cmpx_gt_u64_e32 0x43e00001, v[52:53]
	s_xor_b32 s42, exec_lo, s10
	s_cbranch_execz .LBB6_10587
; %bb.10578:                            ;   in Loop: Header=BB6_10302 Depth=2
	v_mov_b32_e32 v31, 0
	s_mov_b32 s43, exec_lo
	v_cmpx_ne_u32_e32 0, v7
	s_cbranch_execz .LBB6_10586
; %bb.10579:                            ;   in Loop: Header=BB6_10302 Depth=2
	v_bfe_u32 v22, v7, 23, 8
	v_and_b32_e32 v7, 0x7fffff, v7
	s_delay_alu instid0(VALU_DEP_2) | instskip(SKIP_1) | instid1(VALU_DEP_3)
	v_sub_nc_u32_e32 v10, 0x79, v22
	v_cmp_gt_u32_e32 vcc_lo, 0x7a, v22
	v_or_b32_e32 v20, 0x800000, v7
	s_delay_alu instid0(VALU_DEP_3) | instskip(SKIP_1) | instid1(VALU_DEP_2)
	v_cndmask_b32_e32 v10, 0, v10, vcc_lo
	v_cmp_eq_u32_e32 vcc_lo, 0, v22
	v_cndmask_b32_e64 v23, v10, 0x78, vcc_lo
	s_delay_alu instid0(VALU_DEP_4) | instskip(NEXT) | instid1(VALU_DEP_2)
	v_cndmask_b32_e32 v52, v20, v7, vcc_lo
	v_dual_add_nc_u32 v10, 20, v23 :: v_dual_add_nc_u32 v21, 19, v23
	s_delay_alu instid0(VALU_DEP_1) | instskip(NEXT) | instid1(VALU_DEP_2)
	v_lshlrev_b64_e64 v[10:11], v10, -1
	v_lshlrev_b64_e64 v[20:21], v21, 1
	s_delay_alu instid0(VALU_DEP_2) | instskip(NEXT) | instid1(VALU_DEP_3)
	v_bfi_b32 v37, v11, 0, 0
	v_bfi_b32 v36, v10, 0, v52
	v_lshrrev_b64 v[10:11], v23, v[52:53]
	s_delay_alu instid0(VALU_DEP_2) | instskip(NEXT) | instid1(VALU_DEP_2)
	v_cmp_eq_u64_e64 s10, v[36:37], v[20:21]
	v_mov_b64_e32 v[20:21], v[10:11]
	s_and_saveexec_b32 s44, s10
; %bb.10580:                            ;   in Loop: Header=BB6_10302 Depth=2
	v_bfe_u32 v52, v10, 20, 1
	s_delay_alu instid0(VALU_DEP_1) | instskip(NEXT) | instid1(VALU_DEP_1)
	v_add_nc_u64_e32 v[20:21], v[10:11], v[52:53]
	v_add_nc_u64_e32 v[20:21], -1, v[20:21]
; %bb.10581:                            ;   in Loop: Header=BB6_10302 Depth=2
	s_or_b32 exec_lo, exec_lo, s44
	v_add_nc_u32_e32 v7, 0xffffff81, v22
	v_lshrrev_b32_e32 v11, 23, v10
	s_mov_b32 s10, exec_lo
	s_delay_alu instid0(VALU_DEP_2) | instskip(NEXT) | instid1(VALU_DEP_1)
	v_cndmask_b32_e64 v7, v7, 0xffffff82, vcc_lo
	v_add3_u32 v21, v23, v7, v11
	v_and_b32_e32 v7, 0xfffff, v20
	s_delay_alu instid0(VALU_DEP_1) | instskip(NEXT) | instid1(VALU_DEP_1)
	v_dual_add_nc_u32 v20, 6, v21 :: v_dual_add_nc_u32 v52, v7, v10
                                        ; implicit-def: $vgpr10_vgpr11
                                        ; implicit-def: $vgpr7
	v_cmpx_ne_u32_e32 0, v20
	s_xor_b32 s10, exec_lo, s10
; %bb.10582:                            ;   in Loop: Header=BB6_10302 Depth=2
	s_delay_alu instid0(VALU_DEP_2) | instskip(SKIP_2) | instid1(VALU_DEP_2)
	v_cmp_lt_u64_e32 vcc_lo, 0xffffff, v[52:53]
	v_add_nc_u32_e32 v7, 7, v21
	v_cndmask_b32_e64 v10, 0, 1, vcc_lo
	v_cndmask_b32_e32 v7, v20, v7, vcc_lo
	s_delay_alu instid0(VALU_DEP_2)
	v_lshrrev_b64 v[10:11], v10, v[52:53]
; %bb.10583:                            ;   in Loop: Header=BB6_10302 Depth=2
	s_and_not1_saveexec_b32 s10, s10
; %bb.10584:                            ;   in Loop: Header=BB6_10302 Depth=2
	v_mov_b64_e32 v[10:11], v[52:53]
	v_bfe_u32 v7, v52, 23, 1
; %bb.10585:                            ;   in Loop: Header=BB6_10302 Depth=2
	s_or_b32 exec_lo, exec_lo, s10
	s_delay_alu instid0(VALU_DEP_2) | instskip(NEXT) | instid1(VALU_DEP_2)
	v_lshrrev_b64 v[10:11], 20, v[10:11]
	v_cmp_gt_i32_e32 vcc_lo, 16, v7
	v_min_i32_e32 v20, 15, v7
	v_cmp_eq_u32_e64 s10, 0, v7
	s_delay_alu instid0(VALU_DEP_2) | instskip(SKIP_1) | instid1(VALU_DEP_2)
	v_dual_cndmask_b32 v10, 7, v10, vcc_lo :: v_dual_lshlrev_b32 v20, 3, v20
	v_cndmask_b32_e32 v11, 0, v11, vcc_lo
	v_and_b32_e32 v20, 0xf8, v20
	s_delay_alu instid0(VALU_DEP_2) | instskip(NEXT) | instid1(VALU_DEP_2)
	v_cmp_eq_u64_e32 vcc_lo, 0, v[10:11]
	v_and_or_b32 v7, v10, 7, v20
	s_and_b32 s10, s10, vcc_lo
	s_delay_alu instid0(VALU_DEP_1) | instid1(SALU_CYCLE_1)
	v_cndmask_b32_e64 v7, v7, 0, s10
	s_delay_alu instid0(VALU_DEP_1)
	v_or_b32_e32 v31, v7, v5
.LBB6_10586:                            ;   in Loop: Header=BB6_10302 Depth=2
	s_or_b32 exec_lo, exec_lo, s43
                                        ; implicit-def: $vgpr5
.LBB6_10587:                            ;   in Loop: Header=BB6_10302 Depth=2
	s_and_not1_saveexec_b32 s10, s42
; %bb.10588:                            ;   in Loop: Header=BB6_10302 Depth=2
	v_or_b32_e32 v31, 0x7e, v5
; %bb.10589:                            ;   in Loop: Header=BB6_10302 Depth=2
	s_or_b32 exec_lo, exec_lo, s10
                                        ; implicit-def: $vgpr5
.LBB6_10590:                            ;   in Loop: Header=BB6_10302 Depth=2
	s_and_not1_saveexec_b32 s10, s41
; %bb.10591:                            ;   in Loop: Header=BB6_10302 Depth=2
	v_or_b32_e32 v31, 0x7f, v5
; %bb.10592:                            ;   in Loop: Header=BB6_10302 Depth=2
	s_or_b32 exec_lo, exec_lo, s10
	v_and_b32_e32 v7, 0xff, v13
	v_dual_mov_b32 v52, v13 :: v_dual_mov_b32 v5, 0
	s_mov_b32 s10, exec_lo
	s_delay_alu instid0(VALU_DEP_2)
	v_cmpx_ne_u16_e32 0, v7
	s_cbranch_execz .LBB6_10598
; %bb.10593:                            ;   in Loop: Header=BB6_10302 Depth=2
	v_bfrev_b32_e32 v5, 1
	s_mov_b32 s41, exec_lo
	v_cmpx_ne_u16_e32 0x80, v7
	s_cbranch_execz .LBB6_10597
; %bb.10594:                            ;   in Loop: Header=BB6_10302 Depth=2
	v_and_b32_e32 v7, 0x7f, v13
	v_mov_b32_e32 v5, 0x7f800001
	s_mov_b32 s42, exec_lo
	s_delay_alu instid0(VALU_DEP_2)
	v_cmpx_ne_u32_e32 0x7f, v7
	s_cbranch_execz .LBB6_10596
; %bb.10595:                            ;   in Loop: Header=BB6_10302 Depth=2
	v_dual_lshrrev_b32 v10, 3, v7 :: v_dual_bitop2_b32 v5, 7, v13 bitop3:0x40
	v_cmp_gt_u32_e32 vcc_lo, 8, v7
	s_delay_alu instid0(VALU_DEP_2) | instskip(NEXT) | instid1(VALU_DEP_1)
	v_clz_i32_u32_e32 v5, v5
	v_min_u32_e32 v5, 32, v5
	s_delay_alu instid0(VALU_DEP_1) | instskip(NEXT) | instid1(VALU_DEP_1)
	v_subrev_nc_u32_e32 v11, 28, v5
	v_dual_sub_nc_u32 v5, 29, v5 :: v_dual_cndmask_b32 v7, 0, v11, vcc_lo
	s_delay_alu instid0(VALU_DEP_1) | instskip(NEXT) | instid1(VALU_DEP_2)
	v_cndmask_b32_e32 v5, v10, v5, vcc_lo
	v_lshlrev_b64_e32 v[10:11], v7, v[52:53]
	v_lshlrev_b32_e32 v7, 24, v52
	s_delay_alu instid0(VALU_DEP_3) | instskip(NEXT) | instid1(VALU_DEP_2)
	v_lshl_add_u32 v5, v5, 23, 0x3c000000
	v_and_b32_e32 v7, 0x80000000, v7
	s_delay_alu instid0(VALU_DEP_4) | instskip(NEXT) | instid1(VALU_DEP_1)
	v_lshlrev_b32_e32 v10, 20, v10
	v_and_b32_e32 v10, 0x700000, v10
	s_delay_alu instid0(VALU_DEP_1)
	v_or3_b32 v5, v10, v7, v5
.LBB6_10596:                            ;   in Loop: Header=BB6_10302 Depth=2
	s_or_b32 exec_lo, exec_lo, s42
.LBB6_10597:                            ;   in Loop: Header=BB6_10302 Depth=2
	s_delay_alu instid0(SALU_CYCLE_1)
	s_or_b32 exec_lo, exec_lo, s41
.LBB6_10598:                            ;   in Loop: Header=BB6_10302 Depth=2
	s_delay_alu instid0(SALU_CYCLE_1) | instskip(NEXT) | instid1(VALU_DEP_1)
	s_or_b32 exec_lo, exec_lo, s10
	v_dual_mul_f32 v10, s11, v5 :: v_dual_mov_b32 v21, v53
                                        ; implicit-def: $vgpr5
	s_mov_b32 s10, exec_lo
	s_delay_alu instid0(VALU_DEP_1) | instskip(SKIP_1) | instid1(VALU_DEP_2)
	v_and_b32_e32 v20, 0x7f800000, v10
	v_lshrrev_b32_e32 v7, 24, v10
	v_cmpx_ne_u64_e32 0x7f800000, v[20:21]
	s_xor_b32 s41, exec_lo, s10
	s_cbranch_execz .LBB6_10612
; %bb.10599:                            ;   in Loop: Header=BB6_10302 Depth=2
	v_and_b32_e32 v20, 0x7fffffff, v10
	v_mov_b32_e32 v21, v53
	v_and_b32_e32 v7, 0x80, v7
                                        ; implicit-def: $vgpr5
	s_mov_b32 s10, exec_lo
	s_delay_alu instid0(VALU_DEP_2)
	v_cmpx_gt_u64_e32 0x43e00001, v[20:21]
	s_xor_b32 s42, exec_lo, s10
	s_cbranch_execz .LBB6_10609
; %bb.10600:                            ;   in Loop: Header=BB6_10302 Depth=2
	v_mov_b32_e32 v5, 0
	s_mov_b32 s43, exec_lo
	v_cmpx_ne_u32_e32 0, v10
	s_cbranch_execz .LBB6_10608
; %bb.10601:                            ;   in Loop: Header=BB6_10302 Depth=2
	v_bfe_u32 v5, v10, 23, 8
	v_and_b32_e32 v20, 0x7fffff, v10
	s_mov_b32 s44, exec_lo
	s_delay_alu instid0(VALU_DEP_2) | instskip(NEXT) | instid1(VALU_DEP_2)
	v_cmp_gt_u32_e32 vcc_lo, 0x7a, v5
	v_or_b32_e32 v21, 0x800000, v20
	v_sub_nc_u32_e32 v11, 0x79, v5
	s_delay_alu instid0(VALU_DEP_1) | instskip(SKIP_1) | instid1(VALU_DEP_2)
	v_cndmask_b32_e32 v11, 0, v11, vcc_lo
	v_cmp_eq_u32_e32 vcc_lo, 0, v5
	v_cndmask_b32_e64 v22, v11, 0x78, vcc_lo
	v_cndmask_b32_e32 v20, v21, v20, vcc_lo
	s_delay_alu instid0(VALU_DEP_2) | instskip(SKIP_1) | instid1(VALU_DEP_2)
	v_dual_mov_b32 v21, v53 :: v_dual_add_nc_u32 v23, 19, v22
	v_add_nc_u32_e32 v10, 20, v22
	v_lshlrev_b64_e64 v[36:37], v23, 1
	s_delay_alu instid0(VALU_DEP_2) | instskip(NEXT) | instid1(VALU_DEP_1)
	v_lshlrev_b64_e64 v[10:11], v10, -1
	v_bfi_b32 v39, v11, 0, 0
	s_delay_alu instid0(VALU_DEP_2) | instskip(SKIP_1) | instid1(VALU_DEP_1)
	v_bfi_b32 v38, v10, 0, v20
	v_lshrrev_b64 v[10:11], v22, v[20:21]
	v_mov_b64_e32 v[20:21], v[10:11]
	s_delay_alu instid0(VALU_DEP_3)
	v_cmpx_eq_u64_e64 v[38:39], v[36:37]
; %bb.10602:                            ;   in Loop: Header=BB6_10302 Depth=2
	v_bfe_u32 v20, v10, 20, 1
	v_mov_b32_e32 v21, v53
	s_delay_alu instid0(VALU_DEP_1) | instskip(NEXT) | instid1(VALU_DEP_1)
	v_add_nc_u64_e32 v[20:21], v[10:11], v[20:21]
	v_add_nc_u64_e32 v[20:21], -1, v[20:21]
; %bb.10603:                            ;   in Loop: Header=BB6_10302 Depth=2
	s_or_b32 exec_lo, exec_lo, s44
	v_add_nc_u32_e32 v5, 0xffffff81, v5
	v_lshrrev_b32_e32 v11, 23, v10
	s_mov_b32 s10, exec_lo
	s_delay_alu instid0(VALU_DEP_2) | instskip(NEXT) | instid1(VALU_DEP_1)
	v_cndmask_b32_e64 v5, v5, 0xffffff82, vcc_lo
	v_add3_u32 v21, v22, v5, v11
	v_and_b32_e32 v5, 0xfffff, v20
	s_delay_alu instid0(VALU_DEP_2) | instskip(NEXT) | instid1(VALU_DEP_2)
	v_dual_mov_b32 v11, v53 :: v_dual_add_nc_u32 v20, 6, v21
	v_add_nc_u32_e32 v10, v5, v10
                                        ; implicit-def: $vgpr5
	s_delay_alu instid0(VALU_DEP_2)
	v_cmpx_ne_u32_e32 0, v20
	s_xor_b32 s10, exec_lo, s10
; %bb.10604:                            ;   in Loop: Header=BB6_10302 Depth=2
	s_delay_alu instid0(VALU_DEP_2) | instskip(SKIP_1) | instid1(VALU_DEP_1)
	v_cmp_lt_u64_e32 vcc_lo, 0xffffff, v[10:11]
	v_add_nc_u32_e32 v5, 7, v21
	v_cndmask_b32_e32 v5, v20, v5, vcc_lo
	v_cndmask_b32_e64 v20, 0, 1, vcc_lo
	s_delay_alu instid0(VALU_DEP_1)
	v_lshrrev_b64 v[10:11], v20, v[10:11]
; %bb.10605:                            ;   in Loop: Header=BB6_10302 Depth=2
	s_and_not1_saveexec_b32 s10, s10
; %bb.10606:                            ;   in Loop: Header=BB6_10302 Depth=2
	s_delay_alu instid0(VALU_DEP_1)
	v_bfe_u32 v5, v10, 23, 1
; %bb.10607:                            ;   in Loop: Header=BB6_10302 Depth=2
	s_or_b32 exec_lo, exec_lo, s10
	s_delay_alu instid0(VALU_DEP_2) | instskip(NEXT) | instid1(VALU_DEP_2)
	v_lshrrev_b64 v[10:11], 20, v[10:11]
	v_cmp_gt_i32_e32 vcc_lo, 16, v5
	v_min_i32_e32 v20, 15, v5
	v_cmp_eq_u32_e64 s10, 0, v5
	s_delay_alu instid0(VALU_DEP_2) | instskip(SKIP_1) | instid1(VALU_DEP_2)
	v_dual_cndmask_b32 v11, 0, v11 :: v_dual_lshlrev_b32 v20, 3, v20
	v_cndmask_b32_e32 v10, 7, v10, vcc_lo
	v_and_b32_e32 v20, 0xf8, v20
	s_delay_alu instid0(VALU_DEP_2) | instskip(NEXT) | instid1(VALU_DEP_2)
	v_cmp_eq_u64_e32 vcc_lo, 0, v[10:11]
	v_and_or_b32 v5, v10, 7, v20
	s_and_b32 s10, s10, vcc_lo
	s_delay_alu instid0(VALU_DEP_1) | instid1(SALU_CYCLE_1)
	v_cndmask_b32_e64 v5, v5, 0, s10
	s_delay_alu instid0(VALU_DEP_1)
	v_or_b32_e32 v5, v5, v7
.LBB6_10608:                            ;   in Loop: Header=BB6_10302 Depth=2
	s_or_b32 exec_lo, exec_lo, s43
                                        ; implicit-def: $vgpr7
.LBB6_10609:                            ;   in Loop: Header=BB6_10302 Depth=2
	s_and_not1_saveexec_b32 s10, s42
; %bb.10610:                            ;   in Loop: Header=BB6_10302 Depth=2
	v_or_b32_e32 v5, 0x7e, v7
; %bb.10611:                            ;   in Loop: Header=BB6_10302 Depth=2
	s_or_b32 exec_lo, exec_lo, s10
                                        ; implicit-def: $vgpr7
.LBB6_10612:                            ;   in Loop: Header=BB6_10302 Depth=2
	s_and_not1_saveexec_b32 s10, s41
; %bb.10613:                            ;   in Loop: Header=BB6_10302 Depth=2
	v_or_b32_e32 v5, 0x7f, v7
; %bb.10614:                            ;   in Loop: Header=BB6_10302 Depth=2
	s_or_b32 exec_lo, exec_lo, s10
	v_lshrrev_b16 v10, 8, v52
	v_mov_b32_e32 v7, 0
	s_mov_b32 s10, exec_lo
	s_delay_alu instid0(VALU_DEP_2)
	v_cmpx_ne_u16_e32 0, v10
	s_cbranch_execz .LBB6_10622
; %bb.10615:                            ;   in Loop: Header=BB6_10302 Depth=2
	v_bfrev_b32_e32 v7, 1
	s_mov_b32 s41, exec_lo
	v_cmpx_ne_u16_e32 0x80, v10
	s_cbranch_execz .LBB6_10621
; %bb.10616:                            ;   in Loop: Header=BB6_10302 Depth=2
	v_and_b32_e32 v10, 0xffff, v10
	v_mov_b32_e32 v7, 0x7f800001
	s_mov_b32 s42, exec_lo
	s_delay_alu instid0(VALU_DEP_2) | instskip(NEXT) | instid1(VALU_DEP_1)
	v_and_b32_e32 v20, 0x7f, v10
	v_cmpx_ne_u32_e32 0x7f, v20
	s_cbranch_execz .LBB6_10620
; %bb.10617:                            ;   in Loop: Header=BB6_10302 Depth=2
	v_dual_mov_b32 v11, v53 :: v_dual_bitop2_b32 v10, 7, v10 bitop3:0x40
	v_lshrrev_b32_e32 v7, 3, v20
	s_mov_b32 s43, exec_lo
	v_cmpx_gt_u32_e32 8, v20
; %bb.10618:                            ;   in Loop: Header=BB6_10302 Depth=2
	s_delay_alu instid0(VALU_DEP_3) | instskip(NEXT) | instid1(VALU_DEP_1)
	v_clz_i32_u32_e32 v7, v10
	v_min_u32_e32 v7, 32, v7
	s_delay_alu instid0(VALU_DEP_1) | instskip(NEXT) | instid1(VALU_DEP_1)
	v_subrev_nc_u32_e32 v20, 28, v7
	v_lshlrev_b64_e32 v[10:11], v20, v[10:11]
	s_delay_alu instid0(VALU_DEP_1)
	v_dual_sub_nc_u32 v7, 29, v7 :: v_dual_bitop2_b32 v10, 7, v10 bitop3:0x40
; %bb.10619:                            ;   in Loop: Header=BB6_10302 Depth=2
	s_or_b32 exec_lo, exec_lo, s43
	s_delay_alu instid0(VALU_DEP_1) | instskip(NEXT) | instid1(VALU_DEP_2)
	v_dual_lshlrev_b32 v11, 16, v52 :: v_dual_lshlrev_b32 v10, 20, v10
	v_lshl_add_u32 v7, v7, 23, 0x3c000000
	s_delay_alu instid0(VALU_DEP_2) | instskip(NEXT) | instid1(VALU_DEP_1)
	v_and_b32_e32 v11, 0x80000000, v11
	v_or3_b32 v7, v10, v11, v7
.LBB6_10620:                            ;   in Loop: Header=BB6_10302 Depth=2
	s_or_b32 exec_lo, exec_lo, s42
.LBB6_10621:                            ;   in Loop: Header=BB6_10302 Depth=2
	s_delay_alu instid0(SALU_CYCLE_1)
	s_or_b32 exec_lo, exec_lo, s41
.LBB6_10622:                            ;   in Loop: Header=BB6_10302 Depth=2
	s_delay_alu instid0(SALU_CYCLE_1) | instskip(NEXT) | instid1(VALU_DEP_1)
	s_or_b32 exec_lo, exec_lo, s10
	v_mul_f32_e32 v10, s11, v7
                                        ; implicit-def: $vgpr7
	s_mov_b32 s10, exec_lo
	s_delay_alu instid0(VALU_DEP_1) | instskip(SKIP_1) | instid1(VALU_DEP_2)
	v_and_b32_e32 v52, 0x7f800000, v10
	v_lshrrev_b32_e32 v11, 24, v10
	v_cmpx_ne_u64_e32 0x7f800000, v[52:53]
	s_xor_b32 s41, exec_lo, s10
	s_cbranch_execz .LBB6_10636
; %bb.10623:                            ;   in Loop: Header=BB6_10302 Depth=2
	v_and_b32_e32 v52, 0x7fffffff, v10
	v_and_b32_e32 v22, 0x80, v11
                                        ; implicit-def: $vgpr7
	s_mov_b32 s10, exec_lo
	s_delay_alu instid0(VALU_DEP_2)
	v_cmpx_gt_u64_e32 0x43e00001, v[52:53]
	s_xor_b32 s42, exec_lo, s10
	s_cbranch_execz .LBB6_10633
; %bb.10624:                            ;   in Loop: Header=BB6_10302 Depth=2
	v_mov_b32_e32 v7, 0
	s_mov_b32 s43, exec_lo
	v_cmpx_ne_u32_e32 0, v10
	s_cbranch_execz .LBB6_10632
; %bb.10625:                            ;   in Loop: Header=BB6_10302 Depth=2
	v_bfe_u32 v7, v10, 23, 8
	v_and_b32_e32 v20, 0x7fffff, v10
	s_delay_alu instid0(VALU_DEP_2) | instskip(NEXT) | instid1(VALU_DEP_2)
	v_cmp_gt_u32_e32 vcc_lo, 0x7a, v7
	v_or_b32_e32 v21, 0x800000, v20
	v_sub_nc_u32_e32 v11, 0x79, v7
	s_delay_alu instid0(VALU_DEP_1) | instskip(SKIP_1) | instid1(VALU_DEP_2)
	v_cndmask_b32_e32 v11, 0, v11, vcc_lo
	v_cmp_eq_u32_e32 vcc_lo, 0, v7
	v_cndmask_b32_e64 v23, v11, 0x78, vcc_lo
	s_delay_alu instid0(VALU_DEP_1) | instskip(SKIP_1) | instid1(VALU_DEP_2)
	v_dual_cndmask_b32 v52, v21, v20, vcc_lo :: v_dual_add_nc_u32 v10, 20, v23
	v_add_nc_u32_e32 v26, 19, v23
	v_lshlrev_b64_e64 v[10:11], v10, -1
	s_delay_alu instid0(VALU_DEP_2) | instskip(NEXT) | instid1(VALU_DEP_2)
	v_lshlrev_b64_e64 v[20:21], v26, 1
	v_bfi_b32 v37, v11, 0, 0
	s_delay_alu instid0(VALU_DEP_3) | instskip(SKIP_1) | instid1(VALU_DEP_2)
	v_bfi_b32 v36, v10, 0, v52
	v_lshrrev_b64 v[10:11], v23, v[52:53]
	v_cmp_eq_u64_e64 s10, v[36:37], v[20:21]
	s_delay_alu instid0(VALU_DEP_2)
	v_mov_b64_e32 v[20:21], v[10:11]
	s_and_saveexec_b32 s44, s10
; %bb.10626:                            ;   in Loop: Header=BB6_10302 Depth=2
	v_bfe_u32 v52, v10, 20, 1
	s_delay_alu instid0(VALU_DEP_1) | instskip(NEXT) | instid1(VALU_DEP_1)
	v_add_nc_u64_e32 v[20:21], v[10:11], v[52:53]
	v_add_nc_u64_e32 v[20:21], -1, v[20:21]
; %bb.10627:                            ;   in Loop: Header=BB6_10302 Depth=2
	s_or_b32 exec_lo, exec_lo, s44
	v_add_nc_u32_e32 v7, 0xffffff81, v7
	v_lshrrev_b32_e32 v11, 23, v10
	s_mov_b32 s10, exec_lo
	s_delay_alu instid0(VALU_DEP_2) | instskip(NEXT) | instid1(VALU_DEP_1)
	v_cndmask_b32_e64 v7, v7, 0xffffff82, vcc_lo
	v_add3_u32 v21, v23, v7, v11
	v_and_b32_e32 v7, 0xfffff, v20
	s_delay_alu instid0(VALU_DEP_1) | instskip(NEXT) | instid1(VALU_DEP_1)
	v_dual_add_nc_u32 v20, 6, v21 :: v_dual_add_nc_u32 v52, v7, v10
                                        ; implicit-def: $vgpr10_vgpr11
                                        ; implicit-def: $vgpr7
	v_cmpx_ne_u32_e32 0, v20
	s_xor_b32 s10, exec_lo, s10
; %bb.10628:                            ;   in Loop: Header=BB6_10302 Depth=2
	s_delay_alu instid0(VALU_DEP_2) | instskip(SKIP_2) | instid1(VALU_DEP_2)
	v_cmp_lt_u64_e32 vcc_lo, 0xffffff, v[52:53]
	v_add_nc_u32_e32 v7, 7, v21
	v_cndmask_b32_e64 v10, 0, 1, vcc_lo
	v_cndmask_b32_e32 v7, v20, v7, vcc_lo
	s_delay_alu instid0(VALU_DEP_2)
	v_lshrrev_b64 v[10:11], v10, v[52:53]
; %bb.10629:                            ;   in Loop: Header=BB6_10302 Depth=2
	s_and_not1_saveexec_b32 s10, s10
; %bb.10630:                            ;   in Loop: Header=BB6_10302 Depth=2
	v_mov_b64_e32 v[10:11], v[52:53]
	v_bfe_u32 v7, v52, 23, 1
; %bb.10631:                            ;   in Loop: Header=BB6_10302 Depth=2
	s_or_b32 exec_lo, exec_lo, s10
	s_delay_alu instid0(VALU_DEP_2) | instskip(NEXT) | instid1(VALU_DEP_2)
	v_lshrrev_b64 v[10:11], 20, v[10:11]
	v_cmp_gt_i32_e32 vcc_lo, 16, v7
	v_min_i32_e32 v20, 15, v7
	v_cmp_eq_u32_e64 s10, 0, v7
	s_delay_alu instid0(VALU_DEP_2) | instskip(SKIP_1) | instid1(VALU_DEP_2)
	v_dual_cndmask_b32 v10, 7, v10, vcc_lo :: v_dual_lshlrev_b32 v20, 3, v20
	v_cndmask_b32_e32 v11, 0, v11, vcc_lo
	v_and_b32_e32 v20, 0xf8, v20
	s_delay_alu instid0(VALU_DEP_2) | instskip(NEXT) | instid1(VALU_DEP_2)
	v_cmp_eq_u64_e32 vcc_lo, 0, v[10:11]
	v_and_or_b32 v7, v10, 7, v20
	s_and_b32 s10, s10, vcc_lo
	s_delay_alu instid0(VALU_DEP_1) | instid1(SALU_CYCLE_1)
	v_cndmask_b32_e64 v7, v7, 0, s10
	s_delay_alu instid0(VALU_DEP_1)
	v_or_b32_e32 v7, v7, v22
.LBB6_10632:                            ;   in Loop: Header=BB6_10302 Depth=2
	s_or_b32 exec_lo, exec_lo, s43
                                        ; implicit-def: $vgpr22
.LBB6_10633:                            ;   in Loop: Header=BB6_10302 Depth=2
	s_and_not1_saveexec_b32 s10, s42
; %bb.10634:                            ;   in Loop: Header=BB6_10302 Depth=2
	v_or_b32_e32 v7, 0x7e, v22
; %bb.10635:                            ;   in Loop: Header=BB6_10302 Depth=2
	s_or_b32 exec_lo, exec_lo, s10
                                        ; implicit-def: $vgpr11
.LBB6_10636:                            ;   in Loop: Header=BB6_10302 Depth=2
	s_and_not1_saveexec_b32 s10, s41
; %bb.10637:                            ;   in Loop: Header=BB6_10302 Depth=2
	v_or_b32_e32 v7, 0x7f, v11
; %bb.10638:                            ;   in Loop: Header=BB6_10302 Depth=2
	s_or_b32 exec_lo, exec_lo, s10
	v_dual_lshrrev_b32 v20, 16, v13 :: v_dual_mov_b32 v10, 0
	s_mov_b32 s10, exec_lo
	s_delay_alu instid0(VALU_DEP_1) | instskip(NEXT) | instid1(VALU_DEP_1)
	v_and_b32_e32 v11, 0xff, v20
	v_cmpx_ne_u16_e32 0, v11
	s_cbranch_execz .LBB6_10646
; %bb.10639:                            ;   in Loop: Header=BB6_10302 Depth=2
	v_bfrev_b32_e32 v10, 1
	s_mov_b32 s41, exec_lo
	v_cmpx_ne_u16_e32 0x80, v11
	s_cbranch_execz .LBB6_10645
; %bb.10640:                            ;   in Loop: Header=BB6_10302 Depth=2
	v_bfe_u32 v11, v13, 16, 7
	v_mov_b32_e32 v10, 0x7f800001
	s_mov_b32 s42, exec_lo
	s_delay_alu instid0(VALU_DEP_2)
	v_cmpx_ne_u32_e32 0x7f, v11
	s_cbranch_execz .LBB6_10644
; %bb.10641:                            ;   in Loop: Header=BB6_10302 Depth=2
	v_dual_lshrrev_b32 v21, 3, v11 :: v_dual_bitop2_b32 v52, 7, v20 bitop3:0x40
	v_cmp_gt_u32_e32 vcc_lo, 8, v11
	s_delay_alu instid0(VALU_DEP_2)
	v_mov_b64_e32 v[10:11], v[52:53]
	s_and_saveexec_b32 s43, vcc_lo
; %bb.10642:                            ;   in Loop: Header=BB6_10302 Depth=2
	v_clz_i32_u32_e32 v10, v52
	s_delay_alu instid0(VALU_DEP_1) | instskip(NEXT) | instid1(VALU_DEP_1)
	v_min_u32_e32 v21, 32, v10
	v_subrev_nc_u32_e32 v10, 28, v21
	s_delay_alu instid0(VALU_DEP_1) | instskip(NEXT) | instid1(VALU_DEP_1)
	v_lshlrev_b64_e32 v[10:11], v10, v[52:53]
	v_dual_sub_nc_u32 v21, 29, v21 :: v_dual_bitop2_b32 v10, 7, v10 bitop3:0x40
; %bb.10643:                            ;   in Loop: Header=BB6_10302 Depth=2
	s_or_b32 exec_lo, exec_lo, s43
	s_delay_alu instid0(VALU_DEP_1) | instskip(NEXT) | instid1(VALU_DEP_2)
	v_dual_lshlrev_b32 v11, 24, v20 :: v_dual_lshlrev_b32 v10, 20, v10
	v_lshl_add_u32 v20, v21, 23, 0x3c000000
	s_delay_alu instid0(VALU_DEP_2) | instskip(NEXT) | instid1(VALU_DEP_1)
	v_and_b32_e32 v11, 0x80000000, v11
	v_or3_b32 v10, v10, v11, v20
.LBB6_10644:                            ;   in Loop: Header=BB6_10302 Depth=2
	s_or_b32 exec_lo, exec_lo, s42
.LBB6_10645:                            ;   in Loop: Header=BB6_10302 Depth=2
	s_delay_alu instid0(SALU_CYCLE_1)
	s_or_b32 exec_lo, exec_lo, s41
.LBB6_10646:                            ;   in Loop: Header=BB6_10302 Depth=2
	s_delay_alu instid0(SALU_CYCLE_1) | instskip(NEXT) | instid1(VALU_DEP_1)
	s_or_b32 exec_lo, exec_lo, s10
	v_mul_f32_e32 v10, s11, v10
                                        ; implicit-def: $vgpr26
	s_mov_b32 s10, exec_lo
	s_delay_alu instid0(VALU_DEP_1) | instskip(SKIP_1) | instid1(VALU_DEP_2)
	v_and_b32_e32 v52, 0x7f800000, v10
	v_lshrrev_b32_e32 v11, 24, v10
	v_cmpx_ne_u64_e32 0x7f800000, v[52:53]
	s_xor_b32 s41, exec_lo, s10
	s_cbranch_execz .LBB6_10660
; %bb.10647:                            ;   in Loop: Header=BB6_10302 Depth=2
	v_and_b32_e32 v52, 0x7fffffff, v10
	v_and_b32_e32 v22, 0x80, v11
                                        ; implicit-def: $vgpr26
	s_mov_b32 s10, exec_lo
	s_delay_alu instid0(VALU_DEP_2)
	v_cmpx_gt_u64_e32 0x43e00001, v[52:53]
	s_xor_b32 s42, exec_lo, s10
	s_cbranch_execz .LBB6_10657
; %bb.10648:                            ;   in Loop: Header=BB6_10302 Depth=2
	v_mov_b32_e32 v26, 0
	s_mov_b32 s43, exec_lo
	v_cmpx_ne_u32_e32 0, v10
	s_cbranch_execz .LBB6_10656
; %bb.10649:                            ;   in Loop: Header=BB6_10302 Depth=2
	v_bfe_u32 v23, v10, 23, 8
	v_and_b32_e32 v20, 0x7fffff, v10
	s_delay_alu instid0(VALU_DEP_2) | instskip(NEXT) | instid1(VALU_DEP_2)
	v_cmp_gt_u32_e32 vcc_lo, 0x7a, v23
	v_or_b32_e32 v21, 0x800000, v20
	v_sub_nc_u32_e32 v11, 0x79, v23
	s_delay_alu instid0(VALU_DEP_1) | instskip(SKIP_1) | instid1(VALU_DEP_2)
	v_cndmask_b32_e32 v11, 0, v11, vcc_lo
	v_cmp_eq_u32_e32 vcc_lo, 0, v23
	v_cndmask_b32_e64 v26, v11, 0x78, vcc_lo
	s_delay_alu instid0(VALU_DEP_1) | instskip(SKIP_1) | instid1(VALU_DEP_2)
	v_dual_cndmask_b32 v52, v21, v20, vcc_lo :: v_dual_add_nc_u32 v10, 20, v26
	v_add_nc_u32_e32 v29, 19, v26
	v_lshlrev_b64_e64 v[10:11], v10, -1
	s_delay_alu instid0(VALU_DEP_2) | instskip(NEXT) | instid1(VALU_DEP_2)
	v_lshlrev_b64_e64 v[20:21], v29, 1
	v_bfi_b32 v37, v11, 0, 0
	s_delay_alu instid0(VALU_DEP_3) | instskip(SKIP_1) | instid1(VALU_DEP_2)
	v_bfi_b32 v36, v10, 0, v52
	v_lshrrev_b64 v[10:11], v26, v[52:53]
	v_cmp_eq_u64_e64 s10, v[36:37], v[20:21]
	s_delay_alu instid0(VALU_DEP_2)
	v_mov_b64_e32 v[20:21], v[10:11]
	s_and_saveexec_b32 s44, s10
; %bb.10650:                            ;   in Loop: Header=BB6_10302 Depth=2
	v_bfe_u32 v52, v10, 20, 1
	s_delay_alu instid0(VALU_DEP_1) | instskip(NEXT) | instid1(VALU_DEP_1)
	v_add_nc_u64_e32 v[20:21], v[10:11], v[52:53]
	v_add_nc_u64_e32 v[20:21], -1, v[20:21]
; %bb.10651:                            ;   in Loop: Header=BB6_10302 Depth=2
	s_or_b32 exec_lo, exec_lo, s44
	v_add_nc_u32_e32 v11, 0xffffff81, v23
	v_lshrrev_b32_e32 v21, 23, v10
	s_mov_b32 s10, exec_lo
	s_delay_alu instid0(VALU_DEP_2) | instskip(NEXT) | instid1(VALU_DEP_1)
	v_cndmask_b32_e64 v11, v11, 0xffffff82, vcc_lo
	v_add3_u32 v21, v26, v11, v21
	v_and_b32_e32 v11, 0xfffff, v20
                                        ; implicit-def: $vgpr20
	s_delay_alu instid0(VALU_DEP_1) | instskip(NEXT) | instid1(VALU_DEP_1)
	v_dual_add_nc_u32 v23, 6, v21 :: v_dual_add_nc_u32 v52, v11, v10
                                        ; implicit-def: $vgpr10_vgpr11
	v_cmpx_ne_u32_e32 0, v23
	s_xor_b32 s10, exec_lo, s10
; %bb.10652:                            ;   in Loop: Header=BB6_10302 Depth=2
	s_delay_alu instid0(VALU_DEP_2) | instskip(SKIP_1) | instid1(VALU_DEP_1)
	v_cmp_lt_u64_e32 vcc_lo, 0xffffff, v[52:53]
	v_add_nc_u32_e32 v10, 7, v21
	v_cndmask_b32_e32 v20, v23, v10, vcc_lo
	v_cndmask_b32_e64 v10, 0, 1, vcc_lo
	s_delay_alu instid0(VALU_DEP_1)
	v_lshrrev_b64 v[10:11], v10, v[52:53]
; %bb.10653:                            ;   in Loop: Header=BB6_10302 Depth=2
	s_and_not1_saveexec_b32 s10, s10
; %bb.10654:                            ;   in Loop: Header=BB6_10302 Depth=2
	v_mov_b64_e32 v[10:11], v[52:53]
	v_bfe_u32 v20, v52, 23, 1
; %bb.10655:                            ;   in Loop: Header=BB6_10302 Depth=2
	s_or_b32 exec_lo, exec_lo, s10
	s_delay_alu instid0(VALU_DEP_2) | instskip(NEXT) | instid1(VALU_DEP_2)
	v_lshrrev_b64 v[10:11], 20, v[10:11]
	v_cmp_gt_i32_e32 vcc_lo, 16, v20
	v_min_i32_e32 v21, 15, v20
	v_cmp_eq_u32_e64 s10, 0, v20
	s_delay_alu instid0(VALU_DEP_2) | instskip(SKIP_1) | instid1(VALU_DEP_2)
	v_dual_cndmask_b32 v11, 0, v11, vcc_lo :: v_dual_lshlrev_b32 v21, 3, v21
	v_cndmask_b32_e32 v10, 7, v10, vcc_lo
	v_and_b32_e32 v21, 0xf8, v21
	s_delay_alu instid0(VALU_DEP_2) | instskip(NEXT) | instid1(VALU_DEP_2)
	v_cmp_eq_u64_e32 vcc_lo, 0, v[10:11]
	v_and_or_b32 v10, v10, 7, v21
	s_and_b32 s10, s10, vcc_lo
	s_delay_alu instid0(VALU_DEP_1) | instid1(SALU_CYCLE_1)
	v_cndmask_b32_e64 v10, v10, 0, s10
	s_delay_alu instid0(VALU_DEP_1)
	v_or_b32_e32 v26, v10, v22
.LBB6_10656:                            ;   in Loop: Header=BB6_10302 Depth=2
	s_or_b32 exec_lo, exec_lo, s43
                                        ; implicit-def: $vgpr22
.LBB6_10657:                            ;   in Loop: Header=BB6_10302 Depth=2
	s_and_not1_saveexec_b32 s10, s42
; %bb.10658:                            ;   in Loop: Header=BB6_10302 Depth=2
	v_or_b32_e32 v26, 0x7e, v22
; %bb.10659:                            ;   in Loop: Header=BB6_10302 Depth=2
	s_or_b32 exec_lo, exec_lo, s10
                                        ; implicit-def: $vgpr11
.LBB6_10660:                            ;   in Loop: Header=BB6_10302 Depth=2
	s_and_not1_saveexec_b32 s10, s41
; %bb.10661:                            ;   in Loop: Header=BB6_10302 Depth=2
	v_or_b32_e32 v26, 0x7f, v11
; %bb.10662:                            ;   in Loop: Header=BB6_10302 Depth=2
	s_or_b32 exec_lo, exec_lo, s10
	v_mov_b32_e32 v10, 0
	s_mov_b32 s10, exec_lo
	v_cmpx_lt_u64_e64 s[12:13], v[12:13]
	s_cbranch_execz .LBB6_10670
; %bb.10663:                            ;   in Loop: Header=BB6_10302 Depth=2
	v_lshrrev_b32_e32 v12, 24, v13
	v_bfrev_b32_e32 v10, 1
	s_mov_b32 s41, exec_lo
	s_delay_alu instid0(VALU_DEP_2)
	v_cmpx_ne_u32_e32 0x80, v12
	s_cbranch_execz .LBB6_10669
; %bb.10664:                            ;   in Loop: Header=BB6_10302 Depth=2
	v_bfe_u32 v11, v13, 24, 7
	v_mov_b32_e32 v10, 0x7f800001
	s_mov_b32 s42, exec_lo
	s_delay_alu instid0(VALU_DEP_2)
	v_cmpx_ne_u32_e32 0x7f, v11
	s_cbranch_execz .LBB6_10668
; %bb.10665:                            ;   in Loop: Header=BB6_10302 Depth=2
	v_dual_lshrrev_b32 v13, 3, v11 :: v_dual_bitop2_b32 v52, 7, v12 bitop3:0x40
	v_cmp_gt_u32_e32 vcc_lo, 8, v11
	s_delay_alu instid0(VALU_DEP_2)
	v_mov_b64_e32 v[10:11], v[52:53]
	s_and_saveexec_b32 s43, vcc_lo
; %bb.10666:                            ;   in Loop: Header=BB6_10302 Depth=2
	v_clz_i32_u32_e32 v10, v52
	s_delay_alu instid0(VALU_DEP_1) | instskip(NEXT) | instid1(VALU_DEP_1)
	v_min_u32_e32 v13, 32, v10
	v_subrev_nc_u32_e32 v10, 28, v13
	s_delay_alu instid0(VALU_DEP_1) | instskip(NEXT) | instid1(VALU_DEP_1)
	v_lshlrev_b64_e32 v[10:11], v10, v[52:53]
	v_dual_sub_nc_u32 v13, 29, v13 :: v_dual_bitop2_b32 v10, 7, v10 bitop3:0x40
; %bb.10667:                            ;   in Loop: Header=BB6_10302 Depth=2
	s_or_b32 exec_lo, exec_lo, s43
	s_delay_alu instid0(VALU_DEP_1) | instskip(NEXT) | instid1(VALU_DEP_2)
	v_dual_lshlrev_b32 v11, 24, v12 :: v_dual_lshlrev_b32 v10, 20, v10
	v_lshl_add_u32 v12, v13, 23, 0x3c000000
	s_delay_alu instid0(VALU_DEP_2) | instskip(NEXT) | instid1(VALU_DEP_1)
	v_and_b32_e32 v11, 0x80000000, v11
	v_or3_b32 v10, v10, v11, v12
.LBB6_10668:                            ;   in Loop: Header=BB6_10302 Depth=2
	s_or_b32 exec_lo, exec_lo, s42
.LBB6_10669:                            ;   in Loop: Header=BB6_10302 Depth=2
	s_delay_alu instid0(SALU_CYCLE_1)
	s_or_b32 exec_lo, exec_lo, s41
.LBB6_10670:                            ;   in Loop: Header=BB6_10302 Depth=2
	s_delay_alu instid0(SALU_CYCLE_1) | instskip(NEXT) | instid1(VALU_DEP_1)
	s_or_b32 exec_lo, exec_lo, s10
	v_mul_f32_e32 v10, s11, v10
                                        ; implicit-def: $vgpr29
	s_mov_b32 s10, exec_lo
	s_delay_alu instid0(VALU_DEP_1) | instskip(SKIP_1) | instid1(VALU_DEP_2)
	v_and_b32_e32 v52, 0x7f800000, v10
	v_lshrrev_b32_e32 v11, 24, v10
	v_cmpx_ne_u64_e32 0x7f800000, v[52:53]
	s_xor_b32 s11, exec_lo, s10
	s_cbranch_execz .LBB6_10684
; %bb.10671:                            ;   in Loop: Header=BB6_10302 Depth=2
	v_and_b32_e32 v52, 0x7fffffff, v10
	v_and_b32_e32 v20, 0x80, v11
                                        ; implicit-def: $vgpr29
	s_mov_b32 s10, exec_lo
	s_delay_alu instid0(VALU_DEP_2)
	v_cmpx_gt_u64_e32 0x43e00001, v[52:53]
	s_xor_b32 s41, exec_lo, s10
	s_cbranch_execz .LBB6_10681
; %bb.10672:                            ;   in Loop: Header=BB6_10302 Depth=2
	v_mov_b32_e32 v29, 0
	s_mov_b32 s42, exec_lo
	v_cmpx_ne_u32_e32 0, v10
	s_cbranch_execz .LBB6_10680
; %bb.10673:                            ;   in Loop: Header=BB6_10302 Depth=2
	v_bfe_u32 v21, v10, 23, 8
	v_and_b32_e32 v12, 0x7fffff, v10
	s_delay_alu instid0(VALU_DEP_2) | instskip(NEXT) | instid1(VALU_DEP_2)
	v_cmp_gt_u32_e32 vcc_lo, 0x7a, v21
	v_or_b32_e32 v13, 0x800000, v12
	v_sub_nc_u32_e32 v11, 0x79, v21
	s_delay_alu instid0(VALU_DEP_1) | instskip(SKIP_1) | instid1(VALU_DEP_2)
	v_cndmask_b32_e32 v11, 0, v11, vcc_lo
	v_cmp_eq_u32_e32 vcc_lo, 0, v21
	v_cndmask_b32_e64 v22, v11, 0x78, vcc_lo
	s_delay_alu instid0(VALU_DEP_1) | instskip(SKIP_1) | instid1(VALU_DEP_2)
	v_dual_cndmask_b32 v52, v13, v12, vcc_lo :: v_dual_add_nc_u32 v10, 20, v22
	v_add_nc_u32_e32 v23, 19, v22
	v_lshlrev_b64_e64 v[10:11], v10, -1
	s_delay_alu instid0(VALU_DEP_2) | instskip(NEXT) | instid1(VALU_DEP_2)
	v_lshlrev_b64_e64 v[12:13], v23, 1
	v_bfi_b32 v37, v11, 0, 0
	s_delay_alu instid0(VALU_DEP_3) | instskip(SKIP_1) | instid1(VALU_DEP_2)
	v_bfi_b32 v36, v10, 0, v52
	v_lshrrev_b64 v[10:11], v22, v[52:53]
	v_cmp_eq_u64_e64 s10, v[36:37], v[12:13]
	s_delay_alu instid0(VALU_DEP_2)
	v_mov_b64_e32 v[12:13], v[10:11]
	s_and_saveexec_b32 s43, s10
; %bb.10674:                            ;   in Loop: Header=BB6_10302 Depth=2
	v_bfe_u32 v52, v10, 20, 1
	s_delay_alu instid0(VALU_DEP_1) | instskip(NEXT) | instid1(VALU_DEP_1)
	v_add_nc_u64_e32 v[12:13], v[10:11], v[52:53]
	v_add_nc_u64_e32 v[12:13], -1, v[12:13]
; %bb.10675:                            ;   in Loop: Header=BB6_10302 Depth=2
	s_or_b32 exec_lo, exec_lo, s43
	v_add_nc_u32_e32 v11, 0xffffff81, v21
	v_lshrrev_b32_e32 v13, 23, v10
	s_mov_b32 s10, exec_lo
	s_delay_alu instid0(VALU_DEP_2) | instskip(NEXT) | instid1(VALU_DEP_1)
	v_cndmask_b32_e64 v11, v11, 0xffffff82, vcc_lo
	v_add3_u32 v13, v22, v11, v13
	v_and_b32_e32 v11, 0xfffff, v12
                                        ; implicit-def: $vgpr12
	s_delay_alu instid0(VALU_DEP_1) | instskip(NEXT) | instid1(VALU_DEP_1)
	v_dual_add_nc_u32 v21, 6, v13 :: v_dual_add_nc_u32 v52, v11, v10
                                        ; implicit-def: $vgpr10_vgpr11
	v_cmpx_ne_u32_e32 0, v21
	s_xor_b32 s10, exec_lo, s10
; %bb.10676:                            ;   in Loop: Header=BB6_10302 Depth=2
	s_delay_alu instid0(VALU_DEP_2) | instskip(SKIP_1) | instid1(VALU_DEP_1)
	v_cmp_lt_u64_e32 vcc_lo, 0xffffff, v[52:53]
	v_add_nc_u32_e32 v10, 7, v13
	v_cndmask_b32_e32 v12, v21, v10, vcc_lo
	v_cndmask_b32_e64 v10, 0, 1, vcc_lo
	s_delay_alu instid0(VALU_DEP_1)
	v_lshrrev_b64 v[10:11], v10, v[52:53]
; %bb.10677:                            ;   in Loop: Header=BB6_10302 Depth=2
	s_and_not1_saveexec_b32 s10, s10
; %bb.10678:                            ;   in Loop: Header=BB6_10302 Depth=2
	v_mov_b64_e32 v[10:11], v[52:53]
	v_bfe_u32 v12, v52, 23, 1
; %bb.10679:                            ;   in Loop: Header=BB6_10302 Depth=2
	s_or_b32 exec_lo, exec_lo, s10
	s_delay_alu instid0(VALU_DEP_2) | instskip(NEXT) | instid1(VALU_DEP_2)
	v_lshrrev_b64 v[10:11], 20, v[10:11]
	v_cmp_gt_i32_e32 vcc_lo, 16, v12
	v_min_i32_e32 v13, 15, v12
	v_cmp_eq_u32_e64 s10, 0, v12
	s_delay_alu instid0(VALU_DEP_2) | instskip(SKIP_1) | instid1(VALU_DEP_2)
	v_dual_cndmask_b32 v11, 0, v11, vcc_lo :: v_dual_lshlrev_b32 v13, 3, v13
	v_cndmask_b32_e32 v10, 7, v10, vcc_lo
	v_and_b32_e32 v13, 0xf8, v13
	s_delay_alu instid0(VALU_DEP_2) | instskip(NEXT) | instid1(VALU_DEP_2)
	v_cmp_eq_u64_e32 vcc_lo, 0, v[10:11]
	v_and_or_b32 v10, v10, 7, v13
	s_and_b32 s10, s10, vcc_lo
	s_delay_alu instid0(VALU_DEP_1) | instid1(SALU_CYCLE_1)
	v_cndmask_b32_e64 v10, v10, 0, s10
	s_delay_alu instid0(VALU_DEP_1)
	v_or_b32_e32 v29, v10, v20
.LBB6_10680:                            ;   in Loop: Header=BB6_10302 Depth=2
	s_or_b32 exec_lo, exec_lo, s42
                                        ; implicit-def: $vgpr20
.LBB6_10681:                            ;   in Loop: Header=BB6_10302 Depth=2
	s_and_not1_saveexec_b32 s10, s41
; %bb.10682:                            ;   in Loop: Header=BB6_10302 Depth=2
	v_or_b32_e32 v29, 0x7e, v20
; %bb.10683:                            ;   in Loop: Header=BB6_10302 Depth=2
	s_or_b32 exec_lo, exec_lo, s10
                                        ; implicit-def: $vgpr11
.LBB6_10684:                            ;   in Loop: Header=BB6_10302 Depth=2
	s_and_not1_saveexec_b32 s10, s11
; %bb.10685:                            ;   in Loop: Header=BB6_10302 Depth=2
	v_or_b32_e32 v29, 0x7f, v11
; %bb.10686:                            ;   in Loop: Header=BB6_10302 Depth=2
	s_or_b32 exec_lo, exec_lo, s10
	global_load_b128 v[10:13], v[18:19], off th:TH_LOAD_NT
	v_lshl_or_b32 v6, v6, 8, v4
	v_dual_lshlrev_b32 v9, 16, v9 :: v_dual_lshlrev_b32 v20, 24, v28
	s_mov_b32 s10, exec_lo
	s_delay_alu instid0(VALU_DEP_1)
	v_or3_b32 v52, v9, v20, v6
	v_mov_b32_e32 v9, 0
	s_wait_xcnt 0x0
	v_cmpx_ne_u32_e32 0, v4
	s_cbranch_execz .LBB6_10692
; %bb.10687:                            ;   in Loop: Header=BB6_10302 Depth=2
	v_bfrev_b32_e32 v9, 1
	s_mov_b32 s11, exec_lo
	v_cmpx_ne_u32_e32 0x80, v4
	s_cbranch_execz .LBB6_10691
; %bb.10688:                            ;   in Loop: Header=BB6_10302 Depth=2
	v_and_b32_e32 v20, 0x7f, v4
	v_mov_b32_e32 v9, 0x7f800001
	s_mov_b32 s41, exec_lo
	s_delay_alu instid0(VALU_DEP_2)
	v_cmpx_ne_u32_e32 0x7f, v20
	s_cbranch_execz .LBB6_10690
; %bb.10689:                            ;   in Loop: Header=BB6_10302 Depth=2
	v_cmp_gt_u32_e32 vcc_lo, 8, v20
	v_and_b32_e32 v4, 7, v4
	v_lshrrev_b32_e32 v9, 3, v20
	s_delay_alu instid0(VALU_DEP_2) | instskip(NEXT) | instid1(VALU_DEP_1)
	v_clz_i32_u32_e32 v4, v4
	v_min_u32_e32 v4, 32, v4
	s_delay_alu instid0(VALU_DEP_1) | instskip(SKIP_1) | instid1(VALU_DEP_1)
	v_subrev_nc_u32_e32 v21, 28, v4
	v_sub_nc_u32_e32 v4, 29, v4
	v_dual_cndmask_b32 v4, v9, v4 :: v_dual_cndmask_b32 v9, 0, v21
	s_delay_alu instid0(VALU_DEP_1) | instskip(NEXT) | instid1(VALU_DEP_2)
	v_lshl_add_u32 v4, v4, 23, 0x3c000000
	v_lshlrev_b64_e32 v[20:21], v9, v[52:53]
	v_lshlrev_b32_e32 v9, 24, v52
	s_delay_alu instid0(VALU_DEP_1) | instskip(NEXT) | instid1(VALU_DEP_3)
	v_and_b32_e32 v9, 0x80000000, v9
	v_lshlrev_b32_e32 v20, 20, v20
	s_delay_alu instid0(VALU_DEP_1) | instskip(NEXT) | instid1(VALU_DEP_1)
	v_and_b32_e32 v20, 0x700000, v20
	v_or3_b32 v9, v20, v9, v4
.LBB6_10690:                            ;   in Loop: Header=BB6_10302 Depth=2
	s_or_b32 exec_lo, exec_lo, s41
.LBB6_10691:                            ;   in Loop: Header=BB6_10302 Depth=2
	s_delay_alu instid0(SALU_CYCLE_1)
	s_or_b32 exec_lo, exec_lo, s11
.LBB6_10692:                            ;   in Loop: Header=BB6_10302 Depth=2
	s_delay_alu instid0(SALU_CYCLE_1) | instskip(SKIP_4) | instid1(VALU_DEP_1)
	s_or_b32 exec_lo, exec_lo, s10
	s_wait_loadcnt 0x0
	v_and_b32_e32 v20, 0xff, v10
	s_mov_b32 s10, 0
	s_mov_b32 s11, exec_lo
	v_cmpx_lt_i16_e32 0x7f, v20
	s_xor_b32 s11, exec_lo, s11
	s_cbranch_execnz .LBB6_10723
; %bb.10693:                            ;   in Loop: Header=BB6_10302 Depth=2
	s_or_saveexec_b32 s11, s11
	v_bfrev_b32_e32 v4, 1
	s_xor_b32 exec_lo, exec_lo, s11
	s_cbranch_execnz .LBB6_10726
.LBB6_10694:                            ;   in Loop: Header=BB6_10302 Depth=2
	s_or_b32 exec_lo, exec_lo, s11
	s_and_saveexec_b32 s11, s10
	s_cbranch_execz .LBB6_10696
.LBB6_10695:                            ;   in Loop: Header=BB6_10302 Depth=2
	v_and_b32_e32 v22, 0x7f, v10
	v_bfe_u32 v20, v10, 3, 4
	s_delay_alu instid0(VALU_DEP_2) | instskip(SKIP_1) | instid1(VALU_DEP_1)
	v_cmp_gt_u32_e32 vcc_lo, 8, v22
	v_and_b32_e32 v4, 7, v10
	v_clz_i32_u32_e32 v4, v4
	s_delay_alu instid0(VALU_DEP_1) | instskip(NEXT) | instid1(VALU_DEP_1)
	v_min_u32_e32 v4, 32, v4
	v_subrev_nc_u32_e32 v21, 28, v4
	v_sub_nc_u32_e32 v4, 29, v4
	s_delay_alu instid0(VALU_DEP_1) | instskip(SKIP_1) | instid1(VALU_DEP_2)
	v_dual_cndmask_b32 v4, v20, v4, vcc_lo :: v_dual_cndmask_b32 v20, 0, v21, vcc_lo
	v_cmp_ne_u32_e32 vcc_lo, 0x7f, v22
	v_lshl_add_u32 v4, v4, 23, 0x3c000000
	s_delay_alu instid0(VALU_DEP_3) | instskip(SKIP_1) | instid1(VALU_DEP_1)
	v_lshlrev_b64_e32 v[20:21], v20, v[10:11]
	v_lshlrev_b32_e32 v21, 24, v10
	v_and_b32_e32 v21, 0x80000000, v21
	s_delay_alu instid0(VALU_DEP_3) | instskip(NEXT) | instid1(VALU_DEP_1)
	v_lshlrev_b32_e32 v20, 20, v20
	v_and_b32_e32 v20, 0x700000, v20
	s_delay_alu instid0(VALU_DEP_1) | instskip(NEXT) | instid1(VALU_DEP_1)
	v_or3_b32 v4, v20, v21, v4
	v_cndmask_b32_e32 v4, 0x7f800001, v4, vcc_lo
.LBB6_10696:                            ;   in Loop: Header=BB6_10302 Depth=2
	s_or_b32 exec_lo, exec_lo, s11
	s_delay_alu instid0(VALU_DEP_1) | instskip(SKIP_2) | instid1(VALU_DEP_2)
	v_add_f32_e32 v20, v9, v4
	v_mov_b32_e32 v23, v53
                                        ; implicit-def: $vgpr4
	s_mov_b32 s10, exec_lo
	v_and_b32_e32 v22, 0x7f800000, v20
	v_lshrrev_b32_e32 v9, 24, v20
	s_delay_alu instid0(VALU_DEP_2)
	v_cmpx_ne_u64_e32 0x7f800000, v[22:23]
	s_xor_b32 s11, exec_lo, s10
	s_cbranch_execz .LBB6_10710
; %bb.10697:                            ;   in Loop: Header=BB6_10302 Depth=2
	v_and_b32_e32 v22, 0x7fffffff, v20
	v_mov_b32_e32 v23, v53
	v_and_b32_e32 v9, 0x80, v9
                                        ; implicit-def: $vgpr4
	s_mov_b32 s10, exec_lo
	s_delay_alu instid0(VALU_DEP_2)
	v_cmpx_gt_u64_e32 0x43e00001, v[22:23]
	s_xor_b32 s41, exec_lo, s10
	s_cbranch_execz .LBB6_10707
; %bb.10698:                            ;   in Loop: Header=BB6_10302 Depth=2
	v_mov_b32_e32 v4, 0
	s_mov_b32 s42, exec_lo
	v_cmpx_ne_u32_e32 0, v20
	s_cbranch_execz .LBB6_10706
; %bb.10699:                            ;   in Loop: Header=BB6_10302 Depth=2
	v_bfe_u32 v4, v20, 23, 8
	v_and_b32_e32 v22, 0x7fffff, v20
	s_mov_b32 s43, exec_lo
	s_delay_alu instid0(VALU_DEP_2) | instskip(NEXT) | instid1(VALU_DEP_2)
	v_cmp_gt_u32_e32 vcc_lo, 0x7a, v4
	v_or_b32_e32 v23, 0x800000, v22
	v_sub_nc_u32_e32 v21, 0x79, v4
	s_delay_alu instid0(VALU_DEP_1) | instskip(SKIP_1) | instid1(VALU_DEP_2)
	v_cndmask_b32_e32 v21, 0, v21, vcc_lo
	v_cmp_eq_u32_e32 vcc_lo, 0, v4
	v_cndmask_b32_e64 v28, v21, 0x78, vcc_lo
	v_dual_cndmask_b32 v22, v23, v22 :: v_dual_mov_b32 v23, v53
	s_delay_alu instid0(VALU_DEP_2) | instskip(NEXT) | instid1(VALU_DEP_1)
	v_dual_add_nc_u32 v36, 19, v28 :: v_dual_add_nc_u32 v20, 20, v28
	v_lshlrev_b64_e64 v[36:37], v36, 1
	s_delay_alu instid0(VALU_DEP_2) | instskip(NEXT) | instid1(VALU_DEP_1)
	v_lshlrev_b64_e64 v[20:21], v20, -1
	v_bfi_b32 v39, v21, 0, 0
	s_delay_alu instid0(VALU_DEP_2) | instskip(SKIP_1) | instid1(VALU_DEP_1)
	v_bfi_b32 v38, v20, 0, v22
	v_lshrrev_b64 v[20:21], v28, v[22:23]
	v_mov_b64_e32 v[22:23], v[20:21]
	s_delay_alu instid0(VALU_DEP_3)
	v_cmpx_eq_u64_e64 v[38:39], v[36:37]
; %bb.10700:                            ;   in Loop: Header=BB6_10302 Depth=2
	v_bfe_u32 v22, v20, 20, 1
	v_mov_b32_e32 v23, v53
	s_delay_alu instid0(VALU_DEP_1) | instskip(NEXT) | instid1(VALU_DEP_1)
	v_add_nc_u64_e32 v[22:23], v[20:21], v[22:23]
	v_add_nc_u64_e32 v[22:23], -1, v[22:23]
; %bb.10701:                            ;   in Loop: Header=BB6_10302 Depth=2
	s_or_b32 exec_lo, exec_lo, s43
	v_add_nc_u32_e32 v4, 0xffffff81, v4
	v_lshrrev_b32_e32 v21, 23, v20
	s_mov_b32 s10, exec_lo
	s_delay_alu instid0(VALU_DEP_2) | instskip(NEXT) | instid1(VALU_DEP_1)
	v_cndmask_b32_e64 v4, v4, 0xffffff82, vcc_lo
	v_add3_u32 v23, v28, v4, v21
	v_and_b32_e32 v4, 0xfffff, v22
	s_delay_alu instid0(VALU_DEP_2) | instskip(NEXT) | instid1(VALU_DEP_2)
	v_dual_mov_b32 v21, v53 :: v_dual_add_nc_u32 v22, 6, v23
	v_add_nc_u32_e32 v20, v4, v20
                                        ; implicit-def: $vgpr4
	s_delay_alu instid0(VALU_DEP_2)
	v_cmpx_ne_u32_e32 0, v22
	s_xor_b32 s10, exec_lo, s10
; %bb.10702:                            ;   in Loop: Header=BB6_10302 Depth=2
	s_delay_alu instid0(VALU_DEP_2) | instskip(SKIP_1) | instid1(VALU_DEP_1)
	v_cmp_lt_u64_e32 vcc_lo, 0xffffff, v[20:21]
	v_add_nc_u32_e32 v4, 7, v23
	v_cndmask_b32_e32 v4, v22, v4, vcc_lo
	v_cndmask_b32_e64 v22, 0, 1, vcc_lo
	s_delay_alu instid0(VALU_DEP_1)
	v_lshrrev_b64 v[20:21], v22, v[20:21]
; %bb.10703:                            ;   in Loop: Header=BB6_10302 Depth=2
	s_and_not1_saveexec_b32 s10, s10
; %bb.10704:                            ;   in Loop: Header=BB6_10302 Depth=2
	s_delay_alu instid0(VALU_DEP_1)
	v_bfe_u32 v4, v20, 23, 1
; %bb.10705:                            ;   in Loop: Header=BB6_10302 Depth=2
	s_or_b32 exec_lo, exec_lo, s10
	s_delay_alu instid0(VALU_DEP_2) | instskip(NEXT) | instid1(VALU_DEP_2)
	v_lshrrev_b64 v[20:21], 20, v[20:21]
	v_cmp_gt_i32_e32 vcc_lo, 16, v4
	v_min_i32_e32 v22, 15, v4
	v_cmp_eq_u32_e64 s10, 0, v4
	s_delay_alu instid0(VALU_DEP_2) | instskip(SKIP_1) | instid1(VALU_DEP_2)
	v_dual_cndmask_b32 v21, 0, v21 :: v_dual_lshlrev_b32 v22, 3, v22
	v_cndmask_b32_e32 v20, 7, v20, vcc_lo
	v_and_b32_e32 v22, 0xf8, v22
	s_delay_alu instid0(VALU_DEP_2) | instskip(NEXT) | instid1(VALU_DEP_2)
	v_cmp_eq_u64_e32 vcc_lo, 0, v[20:21]
	v_and_or_b32 v4, v20, 7, v22
	s_and_b32 s10, s10, vcc_lo
	s_delay_alu instid0(VALU_DEP_1) | instid1(SALU_CYCLE_1)
	v_cndmask_b32_e64 v4, v4, 0, s10
	s_delay_alu instid0(VALU_DEP_1)
	v_or_b32_e32 v4, v4, v9
.LBB6_10706:                            ;   in Loop: Header=BB6_10302 Depth=2
	s_or_b32 exec_lo, exec_lo, s42
                                        ; implicit-def: $vgpr9
.LBB6_10707:                            ;   in Loop: Header=BB6_10302 Depth=2
	s_and_not1_saveexec_b32 s10, s41
; %bb.10708:                            ;   in Loop: Header=BB6_10302 Depth=2
	v_or_b32_e32 v4, 0x7e, v9
; %bb.10709:                            ;   in Loop: Header=BB6_10302 Depth=2
	s_or_b32 exec_lo, exec_lo, s10
                                        ; implicit-def: $vgpr9
.LBB6_10710:                            ;   in Loop: Header=BB6_10302 Depth=2
	s_and_not1_saveexec_b32 s10, s11
; %bb.10711:                            ;   in Loop: Header=BB6_10302 Depth=2
	v_or_b32_e32 v4, 0x7f, v9
; %bb.10712:                            ;   in Loop: Header=BB6_10302 Depth=2
	s_or_b32 exec_lo, exec_lo, s10
	v_lshrrev_b16 v20, 8, v6
	v_mov_b32_e32 v9, 0
	s_mov_b32 s10, exec_lo
	s_delay_alu instid0(VALU_DEP_2)
	v_cmpx_ne_u16_e32 0, v20
	s_cbranch_execz .LBB6_10720
; %bb.10713:                            ;   in Loop: Header=BB6_10302 Depth=2
	v_bfrev_b32_e32 v9, 1
	s_mov_b32 s11, exec_lo
	v_cmpx_ne_u16_e32 0x80, v20
	s_cbranch_execz .LBB6_10719
; %bb.10714:                            ;   in Loop: Header=BB6_10302 Depth=2
	v_and_b32_e32 v20, 0xffff, v20
	v_mov_b32_e32 v9, 0x7f800001
	s_mov_b32 s41, exec_lo
	s_delay_alu instid0(VALU_DEP_2) | instskip(NEXT) | instid1(VALU_DEP_1)
	v_and_b32_e32 v22, 0x7f, v20
	v_cmpx_ne_u32_e32 0x7f, v22
	s_cbranch_execz .LBB6_10718
; %bb.10715:                            ;   in Loop: Header=BB6_10302 Depth=2
	v_dual_mov_b32 v21, v53 :: v_dual_bitop2_b32 v20, 7, v20 bitop3:0x40
	v_lshrrev_b32_e32 v9, 3, v22
	s_mov_b32 s42, exec_lo
	v_cmpx_gt_u32_e32 8, v22
; %bb.10716:                            ;   in Loop: Header=BB6_10302 Depth=2
	s_delay_alu instid0(VALU_DEP_3) | instskip(NEXT) | instid1(VALU_DEP_1)
	v_clz_i32_u32_e32 v9, v20
	v_min_u32_e32 v9, 32, v9
	s_delay_alu instid0(VALU_DEP_1) | instskip(NEXT) | instid1(VALU_DEP_1)
	v_subrev_nc_u32_e32 v22, 28, v9
	v_lshlrev_b64_e32 v[20:21], v22, v[20:21]
	s_delay_alu instid0(VALU_DEP_1)
	v_dual_sub_nc_u32 v9, 29, v9 :: v_dual_bitop2_b32 v20, 7, v20 bitop3:0x40
; %bb.10717:                            ;   in Loop: Header=BB6_10302 Depth=2
	s_or_b32 exec_lo, exec_lo, s42
	s_delay_alu instid0(VALU_DEP_1) | instskip(NEXT) | instid1(VALU_DEP_2)
	v_dual_lshlrev_b32 v6, 16, v6 :: v_dual_lshlrev_b32 v20, 20, v20
	v_lshl_add_u32 v9, v9, 23, 0x3c000000
	s_delay_alu instid0(VALU_DEP_2) | instskip(NEXT) | instid1(VALU_DEP_1)
	v_and_b32_e32 v6, 0x80000000, v6
	v_or3_b32 v9, v20, v6, v9
.LBB6_10718:                            ;   in Loop: Header=BB6_10302 Depth=2
	s_or_b32 exec_lo, exec_lo, s41
.LBB6_10719:                            ;   in Loop: Header=BB6_10302 Depth=2
	s_delay_alu instid0(SALU_CYCLE_1)
	s_or_b32 exec_lo, exec_lo, s11
.LBB6_10720:                            ;   in Loop: Header=BB6_10302 Depth=2
	s_delay_alu instid0(SALU_CYCLE_1) | instskip(SKIP_3) | instid1(VALU_DEP_1)
	s_or_b32 exec_lo, exec_lo, s10
	v_lshrrev_b16 v6, 8, v10
	s_mov_b32 s11, 0
	s_mov_b32 s10, exec_lo
	v_cmpx_lt_i16_e32 0x7f, v6
	s_xor_b32 s10, exec_lo, s10
	s_cbranch_execnz .LBB6_10727
; %bb.10721:                            ;   in Loop: Header=BB6_10302 Depth=2
	s_or_saveexec_b32 s10, s10
	v_bfrev_b32_e32 v21, 1
	s_xor_b32 exec_lo, exec_lo, s10
	s_cbranch_execnz .LBB6_10730
.LBB6_10722:                            ;   in Loop: Header=BB6_10302 Depth=2
	s_or_b32 exec_lo, exec_lo, s10
	s_and_saveexec_b32 s10, s11
	s_cbranch_execnz .LBB6_10731
	s_branch .LBB6_10734
.LBB6_10723:                            ;   in Loop: Header=BB6_10302 Depth=2
	s_mov_b32 s10, -1
	s_mov_b32 s41, exec_lo
	v_cmpx_eq_u16_e32 0x80, v20
; %bb.10724:                            ;   in Loop: Header=BB6_10302 Depth=2
	s_xor_b32 s10, exec_lo, -1
; %bb.10725:                            ;   in Loop: Header=BB6_10302 Depth=2
	s_or_b32 exec_lo, exec_lo, s41
	s_delay_alu instid0(SALU_CYCLE_1)
	s_and_b32 s10, s10, exec_lo
                                        ; implicit-def: $vgpr20
	s_or_saveexec_b32 s11, s11
	v_bfrev_b32_e32 v4, 1
	s_xor_b32 exec_lo, exec_lo, s11
	s_cbranch_execz .LBB6_10694
.LBB6_10726:                            ;   in Loop: Header=BB6_10302 Depth=2
	v_cmp_ne_u16_e32 vcc_lo, 0, v20
	v_mov_b32_e32 v4, 0
	s_and_not1_b32 s10, s10, exec_lo
	s_and_b32 s41, vcc_lo, exec_lo
	s_delay_alu instid0(SALU_CYCLE_1)
	s_or_b32 s10, s10, s41
	s_or_b32 exec_lo, exec_lo, s11
	s_and_saveexec_b32 s11, s10
	s_cbranch_execnz .LBB6_10695
	s_branch .LBB6_10696
.LBB6_10727:                            ;   in Loop: Header=BB6_10302 Depth=2
	s_mov_b32 s11, -1
	s_mov_b32 s41, exec_lo
	v_cmpx_eq_u16_e32 0x80, v6
; %bb.10728:                            ;   in Loop: Header=BB6_10302 Depth=2
	s_xor_b32 s11, exec_lo, -1
; %bb.10729:                            ;   in Loop: Header=BB6_10302 Depth=2
	s_or_b32 exec_lo, exec_lo, s41
	s_delay_alu instid0(SALU_CYCLE_1)
	s_and_b32 s11, s11, exec_lo
	s_or_saveexec_b32 s10, s10
	v_bfrev_b32_e32 v21, 1
	s_xor_b32 exec_lo, exec_lo, s10
	s_cbranch_execz .LBB6_10722
.LBB6_10730:                            ;   in Loop: Header=BB6_10302 Depth=2
	v_cmp_ne_u16_e32 vcc_lo, 0, v6
	v_mov_b32_e32 v21, 0
	s_and_not1_b32 s11, s11, exec_lo
	s_and_b32 s41, vcc_lo, exec_lo
	s_delay_alu instid0(SALU_CYCLE_1)
	s_or_b32 s11, s11, s41
	s_or_b32 exec_lo, exec_lo, s10
	s_and_saveexec_b32 s10, s11
	s_cbranch_execz .LBB6_10734
.LBB6_10731:                            ;   in Loop: Header=BB6_10302 Depth=2
	v_and_b32_e32 v20, 0xffff, v6
	v_mov_b32_e32 v21, 0x7f800001
	s_mov_b32 s11, exec_lo
	s_delay_alu instid0(VALU_DEP_2) | instskip(NEXT) | instid1(VALU_DEP_1)
	v_and_b32_e32 v22, 0x7f, v20
	v_cmpx_ne_u32_e32 0x7f, v22
	s_cbranch_execz .LBB6_10733
; %bb.10732:                            ;   in Loop: Header=BB6_10302 Depth=2
	v_and_b32_e32 v23, 7, v20
	v_cmp_gt_u32_e32 vcc_lo, 8, v22
	v_lshlrev_b32_e32 v6, 24, v6
	s_delay_alu instid0(VALU_DEP_3) | instskip(NEXT) | instid1(VALU_DEP_2)
	v_clz_i32_u32_e32 v21, v23
	v_and_b32_e32 v6, 0x80000000, v6
	s_delay_alu instid0(VALU_DEP_2) | instskip(NEXT) | instid1(VALU_DEP_1)
	v_min_u32_e32 v28, 32, v21
	v_subrev_nc_u32_e32 v21, 28, v28
	v_sub_nc_u32_e32 v28, 29, v28
	s_delay_alu instid0(VALU_DEP_2) | instskip(SKIP_1) | instid1(VALU_DEP_1)
	v_lshlrev_b64_e32 v[20:21], v21, v[20:21]
	v_lshrrev_b32_e32 v21, 3, v22
	v_cndmask_b32_e32 v21, v21, v28, vcc_lo
	s_delay_alu instid0(VALU_DEP_3) | instskip(NEXT) | instid1(VALU_DEP_2)
	v_and_b32_e32 v20, 7, v20
	v_lshl_add_u32 v21, v21, 23, 0x3c000000
	s_delay_alu instid0(VALU_DEP_2) | instskip(NEXT) | instid1(VALU_DEP_1)
	v_cndmask_b32_e32 v20, v23, v20, vcc_lo
	v_lshlrev_b32_e32 v20, 20, v20
	s_delay_alu instid0(VALU_DEP_1)
	v_or3_b32 v21, v20, v6, v21
.LBB6_10733:                            ;   in Loop: Header=BB6_10302 Depth=2
	s_or_b32 exec_lo, exec_lo, s11
.LBB6_10734:                            ;   in Loop: Header=BB6_10302 Depth=2
	s_delay_alu instid0(SALU_CYCLE_1) | instskip(NEXT) | instid1(VALU_DEP_1)
	s_or_b32 exec_lo, exec_lo, s10
	v_add_f32_e32 v20, v9, v21
	v_mov_b32_e32 v23, v53
                                        ; implicit-def: $vgpr6
	s_mov_b32 s10, exec_lo
	s_delay_alu instid0(VALU_DEP_2) | instskip(SKIP_1) | instid1(VALU_DEP_2)
	v_and_b32_e32 v22, 0x7f800000, v20
	v_lshrrev_b32_e32 v9, 24, v20
	v_cmpx_ne_u64_e32 0x7f800000, v[22:23]
	s_xor_b32 s11, exec_lo, s10
	s_cbranch_execz .LBB6_10748
; %bb.10735:                            ;   in Loop: Header=BB6_10302 Depth=2
	v_and_b32_e32 v22, 0x7fffffff, v20
	v_mov_b32_e32 v23, v53
	v_and_b32_e32 v9, 0x80, v9
                                        ; implicit-def: $vgpr6
	s_mov_b32 s10, exec_lo
	s_delay_alu instid0(VALU_DEP_2)
	v_cmpx_gt_u64_e32 0x43e00001, v[22:23]
	s_xor_b32 s41, exec_lo, s10
	s_cbranch_execz .LBB6_10745
; %bb.10736:                            ;   in Loop: Header=BB6_10302 Depth=2
	v_mov_b32_e32 v6, 0
	s_mov_b32 s42, exec_lo
	v_cmpx_ne_u32_e32 0, v20
	s_cbranch_execz .LBB6_10744
; %bb.10737:                            ;   in Loop: Header=BB6_10302 Depth=2
	v_bfe_u32 v6, v20, 23, 8
	v_and_b32_e32 v22, 0x7fffff, v20
	s_mov_b32 s43, exec_lo
	s_delay_alu instid0(VALU_DEP_2) | instskip(SKIP_1) | instid1(VALU_DEP_3)
	v_sub_nc_u32_e32 v21, 0x79, v6
	v_cmp_gt_u32_e32 vcc_lo, 0x7a, v6
	v_or_b32_e32 v23, 0x800000, v22
	s_delay_alu instid0(VALU_DEP_3) | instskip(SKIP_1) | instid1(VALU_DEP_2)
	v_cndmask_b32_e32 v21, 0, v21, vcc_lo
	v_cmp_eq_u32_e32 vcc_lo, 0, v6
	v_cndmask_b32_e64 v28, v21, 0x78, vcc_lo
	s_delay_alu instid0(VALU_DEP_4) | instskip(NEXT) | instid1(VALU_DEP_2)
	v_dual_cndmask_b32 v22, v23, v22 :: v_dual_mov_b32 v23, v53
	v_dual_add_nc_u32 v20, 20, v28 :: v_dual_add_nc_u32 v36, 19, v28
	s_delay_alu instid0(VALU_DEP_1) | instskip(NEXT) | instid1(VALU_DEP_2)
	v_lshlrev_b64_e64 v[20:21], v20, -1
	v_lshlrev_b64_e64 v[36:37], v36, 1
	s_delay_alu instid0(VALU_DEP_2) | instskip(NEXT) | instid1(VALU_DEP_3)
	v_bfi_b32 v39, v21, 0, 0
	v_bfi_b32 v38, v20, 0, v22
	v_lshrrev_b64 v[20:21], v28, v[22:23]
	s_delay_alu instid0(VALU_DEP_1) | instskip(NEXT) | instid1(VALU_DEP_3)
	v_mov_b64_e32 v[22:23], v[20:21]
	v_cmpx_eq_u64_e64 v[38:39], v[36:37]
; %bb.10738:                            ;   in Loop: Header=BB6_10302 Depth=2
	v_bfe_u32 v22, v20, 20, 1
	v_mov_b32_e32 v23, v53
	s_delay_alu instid0(VALU_DEP_1) | instskip(NEXT) | instid1(VALU_DEP_1)
	v_add_nc_u64_e32 v[22:23], v[20:21], v[22:23]
	v_add_nc_u64_e32 v[22:23], -1, v[22:23]
; %bb.10739:                            ;   in Loop: Header=BB6_10302 Depth=2
	s_or_b32 exec_lo, exec_lo, s43
	v_add_nc_u32_e32 v6, 0xffffff81, v6
	v_lshrrev_b32_e32 v21, 23, v20
	s_mov_b32 s10, exec_lo
	s_delay_alu instid0(VALU_DEP_2) | instskip(NEXT) | instid1(VALU_DEP_1)
	v_cndmask_b32_e64 v6, v6, 0xffffff82, vcc_lo
	v_add3_u32 v23, v28, v6, v21
	v_and_b32_e32 v6, 0xfffff, v22
	s_delay_alu instid0(VALU_DEP_2) | instskip(NEXT) | instid1(VALU_DEP_2)
	v_dual_mov_b32 v21, v53 :: v_dual_add_nc_u32 v22, 6, v23
	v_add_nc_u32_e32 v20, v6, v20
                                        ; implicit-def: $vgpr6
	s_delay_alu instid0(VALU_DEP_2)
	v_cmpx_ne_u32_e32 0, v22
	s_xor_b32 s10, exec_lo, s10
; %bb.10740:                            ;   in Loop: Header=BB6_10302 Depth=2
	s_delay_alu instid0(VALU_DEP_2) | instskip(SKIP_1) | instid1(VALU_DEP_1)
	v_cmp_lt_u64_e32 vcc_lo, 0xffffff, v[20:21]
	v_add_nc_u32_e32 v6, 7, v23
	v_cndmask_b32_e32 v6, v22, v6, vcc_lo
	v_cndmask_b32_e64 v22, 0, 1, vcc_lo
	s_delay_alu instid0(VALU_DEP_1)
	v_lshrrev_b64 v[20:21], v22, v[20:21]
; %bb.10741:                            ;   in Loop: Header=BB6_10302 Depth=2
	s_and_not1_saveexec_b32 s10, s10
; %bb.10742:                            ;   in Loop: Header=BB6_10302 Depth=2
	s_delay_alu instid0(VALU_DEP_1)
	v_bfe_u32 v6, v20, 23, 1
; %bb.10743:                            ;   in Loop: Header=BB6_10302 Depth=2
	s_or_b32 exec_lo, exec_lo, s10
	s_delay_alu instid0(VALU_DEP_2) | instskip(NEXT) | instid1(VALU_DEP_2)
	v_lshrrev_b64 v[20:21], 20, v[20:21]
	v_cmp_gt_i32_e32 vcc_lo, 16, v6
	v_min_i32_e32 v22, 15, v6
	v_cmp_eq_u32_e64 s10, 0, v6
	s_delay_alu instid0(VALU_DEP_2) | instskip(SKIP_1) | instid1(VALU_DEP_2)
	v_dual_cndmask_b32 v21, 0, v21 :: v_dual_lshlrev_b32 v22, 3, v22
	v_cndmask_b32_e32 v20, 7, v20, vcc_lo
	v_and_b32_e32 v22, 0xf8, v22
	s_delay_alu instid0(VALU_DEP_2) | instskip(NEXT) | instid1(VALU_DEP_2)
	v_cmp_eq_u64_e32 vcc_lo, 0, v[20:21]
	v_and_or_b32 v6, v20, 7, v22
	s_and_b32 s10, s10, vcc_lo
	s_delay_alu instid0(VALU_DEP_1) | instid1(SALU_CYCLE_1)
	v_cndmask_b32_e64 v6, v6, 0, s10
	s_delay_alu instid0(VALU_DEP_1)
	v_or_b32_e32 v6, v6, v9
.LBB6_10744:                            ;   in Loop: Header=BB6_10302 Depth=2
	s_or_b32 exec_lo, exec_lo, s42
                                        ; implicit-def: $vgpr9
.LBB6_10745:                            ;   in Loop: Header=BB6_10302 Depth=2
	s_and_not1_saveexec_b32 s10, s41
; %bb.10746:                            ;   in Loop: Header=BB6_10302 Depth=2
	v_or_b32_e32 v6, 0x7e, v9
; %bb.10747:                            ;   in Loop: Header=BB6_10302 Depth=2
	s_or_b32 exec_lo, exec_lo, s10
                                        ; implicit-def: $vgpr9
.LBB6_10748:                            ;   in Loop: Header=BB6_10302 Depth=2
	s_and_not1_saveexec_b32 s10, s11
; %bb.10749:                            ;   in Loop: Header=BB6_10302 Depth=2
	v_or_b32_e32 v6, 0x7f, v9
; %bb.10750:                            ;   in Loop: Header=BB6_10302 Depth=2
	s_or_b32 exec_lo, exec_lo, s10
	v_dual_mov_b32 v9, 0 :: v_dual_lshrrev_b32 v22, 16, v52
	s_mov_b32 s10, exec_lo
	s_delay_alu instid0(VALU_DEP_1) | instskip(NEXT) | instid1(VALU_DEP_1)
	v_and_b32_e32 v20, 0xff, v22
	v_cmpx_ne_u16_e32 0, v20
	s_cbranch_execz .LBB6_10758
; %bb.10751:                            ;   in Loop: Header=BB6_10302 Depth=2
	v_bfrev_b32_e32 v9, 1
	s_mov_b32 s11, exec_lo
	v_cmpx_ne_u16_e32 0x80, v20
	s_cbranch_execz .LBB6_10757
; %bb.10752:                            ;   in Loop: Header=BB6_10302 Depth=2
	v_bfe_u32 v23, v52, 16, 7
	v_mov_b32_e32 v9, 0x7f800001
	s_mov_b32 s41, exec_lo
	s_delay_alu instid0(VALU_DEP_2)
	v_cmpx_ne_u32_e32 0x7f, v23
	s_cbranch_execz .LBB6_10756
; %bb.10753:                            ;   in Loop: Header=BB6_10302 Depth=2
	v_dual_mov_b32 v21, v53 :: v_dual_bitop2_b32 v20, 7, v22 bitop3:0x40
	v_lshrrev_b32_e32 v9, 3, v23
	s_mov_b32 s42, exec_lo
	v_cmpx_gt_u32_e32 8, v23
; %bb.10754:                            ;   in Loop: Header=BB6_10302 Depth=2
	s_delay_alu instid0(VALU_DEP_3) | instskip(NEXT) | instid1(VALU_DEP_1)
	v_clz_i32_u32_e32 v9, v20
	v_min_u32_e32 v9, 32, v9
	s_delay_alu instid0(VALU_DEP_1) | instskip(NEXT) | instid1(VALU_DEP_1)
	v_subrev_nc_u32_e32 v23, 28, v9
	v_lshlrev_b64_e32 v[20:21], v23, v[20:21]
	s_delay_alu instid0(VALU_DEP_1)
	v_dual_sub_nc_u32 v9, 29, v9 :: v_dual_bitop2_b32 v20, 7, v20 bitop3:0x40
; %bb.10755:                            ;   in Loop: Header=BB6_10302 Depth=2
	s_or_b32 exec_lo, exec_lo, s42
	s_delay_alu instid0(VALU_DEP_1) | instskip(NEXT) | instid1(VALU_DEP_2)
	v_dual_lshlrev_b32 v21, 24, v22 :: v_dual_lshlrev_b32 v20, 20, v20
	v_lshl_add_u32 v9, v9, 23, 0x3c000000
	s_delay_alu instid0(VALU_DEP_2) | instskip(NEXT) | instid1(VALU_DEP_1)
	v_and_b32_e32 v21, 0x80000000, v21
	v_or3_b32 v9, v20, v21, v9
.LBB6_10756:                            ;   in Loop: Header=BB6_10302 Depth=2
	s_or_b32 exec_lo, exec_lo, s41
.LBB6_10757:                            ;   in Loop: Header=BB6_10302 Depth=2
	s_delay_alu instid0(SALU_CYCLE_1)
	s_or_b32 exec_lo, exec_lo, s11
.LBB6_10758:                            ;   in Loop: Header=BB6_10302 Depth=2
	s_delay_alu instid0(SALU_CYCLE_1) | instskip(SKIP_3) | instid1(VALU_DEP_1)
	s_or_b32 exec_lo, exec_lo, s10
	v_lshrrev_b32_e32 v20, 16, v10
	s_mov_b32 s11, 0
	s_mov_b32 s10, exec_lo
	v_and_b32_e32 v22, 0xff, v20
	s_delay_alu instid0(VALU_DEP_1)
	v_cmpx_lt_i16_e32 0x7f, v22
	s_xor_b32 s10, exec_lo, s10
	s_cbranch_execnz .LBB6_10761
; %bb.10759:                            ;   in Loop: Header=BB6_10302 Depth=2
	s_or_saveexec_b32 s10, s10
	v_bfrev_b32_e32 v21, 1
	s_xor_b32 exec_lo, exec_lo, s10
	s_cbranch_execnz .LBB6_10764
.LBB6_10760:                            ;   in Loop: Header=BB6_10302 Depth=2
	s_or_b32 exec_lo, exec_lo, s10
	s_and_saveexec_b32 s10, s11
	s_cbranch_execnz .LBB6_10765
	s_branch .LBB6_10768
.LBB6_10761:                            ;   in Loop: Header=BB6_10302 Depth=2
	s_mov_b32 s11, -1
	s_mov_b32 s41, exec_lo
	v_cmpx_eq_u16_e32 0x80, v22
; %bb.10762:                            ;   in Loop: Header=BB6_10302 Depth=2
	s_xor_b32 s11, exec_lo, -1
; %bb.10763:                            ;   in Loop: Header=BB6_10302 Depth=2
	s_or_b32 exec_lo, exec_lo, s41
	s_delay_alu instid0(SALU_CYCLE_1)
	s_and_b32 s11, s11, exec_lo
                                        ; implicit-def: $vgpr22
	s_or_saveexec_b32 s10, s10
	v_bfrev_b32_e32 v21, 1
	s_xor_b32 exec_lo, exec_lo, s10
	s_cbranch_execz .LBB6_10760
.LBB6_10764:                            ;   in Loop: Header=BB6_10302 Depth=2
	v_cmp_ne_u16_e32 vcc_lo, 0, v22
	v_mov_b32_e32 v21, 0
	s_and_not1_b32 s11, s11, exec_lo
	s_and_b32 s41, vcc_lo, exec_lo
	s_delay_alu instid0(SALU_CYCLE_1)
	s_or_b32 s11, s11, s41
	s_or_b32 exec_lo, exec_lo, s10
	s_and_saveexec_b32 s10, s11
	s_cbranch_execz .LBB6_10768
.LBB6_10765:                            ;   in Loop: Header=BB6_10302 Depth=2
	v_and_b32_e32 v22, 0x7f, v20
	v_mov_b32_e32 v21, 0x7f800001
	s_mov_b32 s11, exec_lo
	s_delay_alu instid0(VALU_DEP_2)
	v_cmpx_ne_u32_e32 0x7f, v22
	s_cbranch_execz .LBB6_10767
; %bb.10766:                            ;   in Loop: Header=BB6_10302 Depth=2
	v_and_b32_e32 v21, 7, v20
	v_cmp_gt_u32_e32 vcc_lo, 8, v22
	s_delay_alu instid0(VALU_DEP_2) | instskip(NEXT) | instid1(VALU_DEP_1)
	v_clz_i32_u32_e32 v23, v21
	v_min_u32_e32 v23, 32, v23
	s_delay_alu instid0(VALU_DEP_1) | instskip(NEXT) | instid1(VALU_DEP_1)
	v_subrev_nc_u32_e32 v28, 28, v23
	v_lshlrev_b64_e32 v[36:37], v28, v[20:21]
	v_dual_lshrrev_b32 v28, 3, v22 :: v_dual_sub_nc_u32 v23, 29, v23
	s_delay_alu instid0(VALU_DEP_2) | instskip(NEXT) | instid1(VALU_DEP_2)
	v_and_b32_e32 v22, 7, v36
	v_dual_cndmask_b32 v23, v28, v23 :: v_dual_lshlrev_b32 v20, 24, v20
	s_delay_alu instid0(VALU_DEP_2) | instskip(NEXT) | instid1(VALU_DEP_2)
	v_cndmask_b32_e32 v21, v21, v22, vcc_lo
	v_and_b32_e32 v20, 0x80000000, v20
	s_delay_alu instid0(VALU_DEP_3) | instskip(NEXT) | instid1(VALU_DEP_3)
	v_lshl_add_u32 v22, v23, 23, 0x3c000000
	v_lshlrev_b32_e32 v21, 20, v21
	s_delay_alu instid0(VALU_DEP_1)
	v_or3_b32 v21, v21, v20, v22
.LBB6_10767:                            ;   in Loop: Header=BB6_10302 Depth=2
	s_or_b32 exec_lo, exec_lo, s11
.LBB6_10768:                            ;   in Loop: Header=BB6_10302 Depth=2
	s_delay_alu instid0(SALU_CYCLE_1) | instskip(NEXT) | instid1(VALU_DEP_1)
	s_or_b32 exec_lo, exec_lo, s10
	v_add_f32_e32 v20, v9, v21
	v_mov_b32_e32 v23, v53
                                        ; implicit-def: $vgpr9
	s_mov_b32 s10, exec_lo
	s_delay_alu instid0(VALU_DEP_2) | instskip(SKIP_1) | instid1(VALU_DEP_2)
	v_and_b32_e32 v22, 0x7f800000, v20
	v_lshrrev_b32_e32 v21, 24, v20
	v_cmpx_ne_u64_e32 0x7f800000, v[22:23]
	s_xor_b32 s11, exec_lo, s10
	s_cbranch_execz .LBB6_10782
; %bb.10769:                            ;   in Loop: Header=BB6_10302 Depth=2
	v_and_b32_e32 v22, 0x7fffffff, v20
	v_mov_b32_e32 v23, v53
	v_and_b32_e32 v28, 0x80, v21
                                        ; implicit-def: $vgpr9
	s_mov_b32 s10, exec_lo
	s_delay_alu instid0(VALU_DEP_2)
	v_cmpx_gt_u64_e32 0x43e00001, v[22:23]
	s_xor_b32 s41, exec_lo, s10
	s_cbranch_execz .LBB6_10779
; %bb.10770:                            ;   in Loop: Header=BB6_10302 Depth=2
	v_mov_b32_e32 v9, 0
	s_mov_b32 s42, exec_lo
	v_cmpx_ne_u32_e32 0, v20
	s_cbranch_execz .LBB6_10778
; %bb.10771:                            ;   in Loop: Header=BB6_10302 Depth=2
	v_bfe_u32 v9, v20, 23, 8
	v_and_b32_e32 v22, 0x7fffff, v20
	s_mov_b32 s43, exec_lo
	s_delay_alu instid0(VALU_DEP_2) | instskip(NEXT) | instid1(VALU_DEP_2)
	v_cmp_gt_u32_e32 vcc_lo, 0x7a, v9
	v_or_b32_e32 v23, 0x800000, v22
	v_sub_nc_u32_e32 v21, 0x79, v9
	s_delay_alu instid0(VALU_DEP_1) | instskip(SKIP_1) | instid1(VALU_DEP_2)
	v_cndmask_b32_e32 v21, 0, v21, vcc_lo
	v_cmp_eq_u32_e32 vcc_lo, 0, v9
	v_cndmask_b32_e64 v36, v21, 0x78, vcc_lo
	v_dual_cndmask_b32 v22, v23, v22 :: v_dual_mov_b32 v23, v53
	s_delay_alu instid0(VALU_DEP_2) | instskip(NEXT) | instid1(VALU_DEP_1)
	v_dual_add_nc_u32 v37, 19, v36 :: v_dual_add_nc_u32 v20, 20, v36
	v_lshlrev_b64_e64 v[38:39], v37, 1
	s_delay_alu instid0(VALU_DEP_2) | instskip(NEXT) | instid1(VALU_DEP_1)
	v_lshlrev_b64_e64 v[20:21], v20, -1
	v_bfi_b32 v51, v21, 0, 0
	s_delay_alu instid0(VALU_DEP_2) | instskip(SKIP_1) | instid1(VALU_DEP_1)
	v_bfi_b32 v50, v20, 0, v22
	v_lshrrev_b64 v[20:21], v36, v[22:23]
	v_mov_b64_e32 v[22:23], v[20:21]
	s_delay_alu instid0(VALU_DEP_3)
	v_cmpx_eq_u64_e64 v[50:51], v[38:39]
; %bb.10772:                            ;   in Loop: Header=BB6_10302 Depth=2
	v_bfe_u32 v22, v20, 20, 1
	v_mov_b32_e32 v23, v53
	s_delay_alu instid0(VALU_DEP_1) | instskip(NEXT) | instid1(VALU_DEP_1)
	v_add_nc_u64_e32 v[22:23], v[20:21], v[22:23]
	v_add_nc_u64_e32 v[22:23], -1, v[22:23]
; %bb.10773:                            ;   in Loop: Header=BB6_10302 Depth=2
	s_or_b32 exec_lo, exec_lo, s43
	v_add_nc_u32_e32 v9, 0xffffff81, v9
	v_lshrrev_b32_e32 v21, 23, v20
	s_mov_b32 s10, exec_lo
	s_delay_alu instid0(VALU_DEP_2) | instskip(NEXT) | instid1(VALU_DEP_1)
	v_cndmask_b32_e64 v9, v9, 0xffffff82, vcc_lo
	v_add3_u32 v23, v36, v9, v21
	v_and_b32_e32 v9, 0xfffff, v22
	s_delay_alu instid0(VALU_DEP_2) | instskip(NEXT) | instid1(VALU_DEP_2)
	v_dual_mov_b32 v21, v53 :: v_dual_add_nc_u32 v22, 6, v23
	v_add_nc_u32_e32 v20, v9, v20
                                        ; implicit-def: $vgpr9
	s_delay_alu instid0(VALU_DEP_2)
	v_cmpx_ne_u32_e32 0, v22
	s_xor_b32 s10, exec_lo, s10
; %bb.10774:                            ;   in Loop: Header=BB6_10302 Depth=2
	s_delay_alu instid0(VALU_DEP_2) | instskip(SKIP_1) | instid1(VALU_DEP_1)
	v_cmp_lt_u64_e32 vcc_lo, 0xffffff, v[20:21]
	v_add_nc_u32_e32 v9, 7, v23
	v_cndmask_b32_e32 v9, v22, v9, vcc_lo
	v_cndmask_b32_e64 v22, 0, 1, vcc_lo
	s_delay_alu instid0(VALU_DEP_1)
	v_lshrrev_b64 v[20:21], v22, v[20:21]
; %bb.10775:                            ;   in Loop: Header=BB6_10302 Depth=2
	s_and_not1_saveexec_b32 s10, s10
; %bb.10776:                            ;   in Loop: Header=BB6_10302 Depth=2
	s_delay_alu instid0(VALU_DEP_1)
	v_bfe_u32 v9, v20, 23, 1
; %bb.10777:                            ;   in Loop: Header=BB6_10302 Depth=2
	s_or_b32 exec_lo, exec_lo, s10
	s_delay_alu instid0(VALU_DEP_2) | instskip(NEXT) | instid1(VALU_DEP_2)
	v_lshrrev_b64 v[20:21], 20, v[20:21]
	v_cmp_gt_i32_e32 vcc_lo, 16, v9
	v_min_i32_e32 v22, 15, v9
	v_cmp_eq_u32_e64 s10, 0, v9
	s_delay_alu instid0(VALU_DEP_2) | instskip(SKIP_1) | instid1(VALU_DEP_2)
	v_dual_cndmask_b32 v20, 7, v20, vcc_lo :: v_dual_lshlrev_b32 v22, 3, v22
	v_cndmask_b32_e32 v21, 0, v21, vcc_lo
	v_and_b32_e32 v22, 0xf8, v22
	s_delay_alu instid0(VALU_DEP_2) | instskip(NEXT) | instid1(VALU_DEP_2)
	v_cmp_eq_u64_e32 vcc_lo, 0, v[20:21]
	v_and_or_b32 v9, v20, 7, v22
	s_and_b32 s10, s10, vcc_lo
	s_delay_alu instid0(VALU_DEP_1) | instid1(SALU_CYCLE_1)
	v_cndmask_b32_e64 v9, v9, 0, s10
	s_delay_alu instid0(VALU_DEP_1)
	v_or_b32_e32 v9, v9, v28
.LBB6_10778:                            ;   in Loop: Header=BB6_10302 Depth=2
	s_or_b32 exec_lo, exec_lo, s42
                                        ; implicit-def: $vgpr28
.LBB6_10779:                            ;   in Loop: Header=BB6_10302 Depth=2
	s_and_not1_saveexec_b32 s10, s41
; %bb.10780:                            ;   in Loop: Header=BB6_10302 Depth=2
	v_or_b32_e32 v9, 0x7e, v28
; %bb.10781:                            ;   in Loop: Header=BB6_10302 Depth=2
	s_or_b32 exec_lo, exec_lo, s10
                                        ; implicit-def: $vgpr21
.LBB6_10782:                            ;   in Loop: Header=BB6_10302 Depth=2
	s_and_not1_saveexec_b32 s10, s11
; %bb.10783:                            ;   in Loop: Header=BB6_10302 Depth=2
	v_or_b32_e32 v9, 0x7f, v21
; %bb.10784:                            ;   in Loop: Header=BB6_10302 Depth=2
	s_or_b32 exec_lo, exec_lo, s10
	v_mov_b32_e32 v21, 0
	s_mov_b32 s10, exec_lo
	v_cmpx_lt_u32_e32 0xffffff, v52
	s_cbranch_execz .LBB6_10792
; %bb.10785:                            ;   in Loop: Header=BB6_10302 Depth=2
	v_lshrrev_b32_e32 v22, 24, v52
	v_bfrev_b32_e32 v21, 1
	s_mov_b32 s11, exec_lo
	s_delay_alu instid0(VALU_DEP_2)
	v_cmpx_ne_u32_e32 0x80, v22
	s_cbranch_execz .LBB6_10791
; %bb.10786:                            ;   in Loop: Header=BB6_10302 Depth=2
	v_bfe_u32 v20, v52, 24, 7
	v_mov_b32_e32 v21, 0x7f800001
	s_mov_b32 s41, exec_lo
	s_delay_alu instid0(VALU_DEP_2)
	v_cmpx_ne_u32_e32 0x7f, v20
	s_cbranch_execz .LBB6_10790
; %bb.10787:                            ;   in Loop: Header=BB6_10302 Depth=2
	v_dual_lshrrev_b32 v23, 3, v20 :: v_dual_bitop2_b32 v52, 7, v22 bitop3:0x40
	v_cmp_gt_u32_e32 vcc_lo, 8, v20
	s_delay_alu instid0(VALU_DEP_2)
	v_mov_b64_e32 v[20:21], v[52:53]
	s_and_saveexec_b32 s42, vcc_lo
; %bb.10788:                            ;   in Loop: Header=BB6_10302 Depth=2
	v_clz_i32_u32_e32 v20, v52
	s_delay_alu instid0(VALU_DEP_1) | instskip(NEXT) | instid1(VALU_DEP_1)
	v_min_u32_e32 v23, 32, v20
	v_subrev_nc_u32_e32 v20, 28, v23
	s_delay_alu instid0(VALU_DEP_1) | instskip(NEXT) | instid1(VALU_DEP_1)
	v_lshlrev_b64_e32 v[20:21], v20, v[52:53]
	v_dual_sub_nc_u32 v23, 29, v23 :: v_dual_bitop2_b32 v20, 7, v20 bitop3:0x40
; %bb.10789:                            ;   in Loop: Header=BB6_10302 Depth=2
	s_or_b32 exec_lo, exec_lo, s42
	s_delay_alu instid0(VALU_DEP_1) | instskip(NEXT) | instid1(VALU_DEP_2)
	v_dual_lshlrev_b32 v21, 24, v22 :: v_dual_lshlrev_b32 v20, 20, v20
	v_lshl_add_u32 v22, v23, 23, 0x3c000000
	s_delay_alu instid0(VALU_DEP_2) | instskip(NEXT) | instid1(VALU_DEP_1)
	v_and_b32_e32 v21, 0x80000000, v21
	v_or3_b32 v21, v20, v21, v22
.LBB6_10790:                            ;   in Loop: Header=BB6_10302 Depth=2
	s_or_b32 exec_lo, exec_lo, s41
.LBB6_10791:                            ;   in Loop: Header=BB6_10302 Depth=2
	s_delay_alu instid0(SALU_CYCLE_1)
	s_or_b32 exec_lo, exec_lo, s11
.LBB6_10792:                            ;   in Loop: Header=BB6_10302 Depth=2
	s_delay_alu instid0(SALU_CYCLE_1) | instskip(SKIP_3) | instid1(VALU_DEP_3)
	s_or_b32 exec_lo, exec_lo, s10
	v_lshrrev_b32_e32 v20, 24, v10
	v_bfe_u32 v22, v10, 24, 7
	v_cmp_gt_u32_e64 s11, 0x1000000, v10
	v_cmp_eq_u32_e32 vcc_lo, 0x80, v20
	s_delay_alu instid0(VALU_DEP_3) | instskip(SKIP_2) | instid1(VALU_DEP_1)
	v_cmp_eq_u32_e64 s10, 0x7f, v22
	v_cndmask_b32_e32 v23, 0x7f800001, v119, vcc_lo
	s_or_b32 s10, vcc_lo, s10
	v_cndmask_b32_e64 v23, v23, 0, s11
	s_nor_b32 s11, s11, s10
	s_delay_alu instid0(SALU_CYCLE_1)
	s_and_saveexec_b32 s10, s11
	s_cbranch_execz .LBB6_10794
; %bb.10793:                            ;   in Loop: Header=BB6_10302 Depth=2
	v_and_b32_e32 v23, 7, v20
	v_cmp_gt_u32_e32 vcc_lo, 8, v22
	s_delay_alu instid0(VALU_DEP_2) | instskip(NEXT) | instid1(VALU_DEP_1)
	v_clz_i32_u32_e32 v28, v23
	v_min_u32_e32 v28, 32, v28
	s_delay_alu instid0(VALU_DEP_1) | instskip(NEXT) | instid1(VALU_DEP_1)
	v_subrev_nc_u32_e32 v36, 28, v28
	v_lshlrev_b64_e32 v[36:37], v36, v[20:21]
	s_delay_alu instid0(VALU_DEP_1) | instskip(NEXT) | instid1(VALU_DEP_1)
	v_dual_lshrrev_b32 v37, 3, v22 :: v_dual_bitop2_b32 v22, 7, v36 bitop3:0x40
	v_dual_sub_nc_u32 v28, 29, v28 :: v_dual_cndmask_b32 v22, v23, v22, vcc_lo
	v_lshlrev_b32_e32 v20, 24, v20
	s_delay_alu instid0(VALU_DEP_2) | instskip(NEXT) | instid1(VALU_DEP_2)
	v_dual_cndmask_b32 v28, v37, v28, vcc_lo :: v_dual_lshlrev_b32 v22, 20, v22
	v_and_b32_e32 v20, 0x80000000, v20
	s_delay_alu instid0(VALU_DEP_2) | instskip(NEXT) | instid1(VALU_DEP_1)
	v_lshl_add_u32 v23, v28, 23, 0x3c000000
	v_or3_b32 v23, v22, v20, v23
.LBB6_10794:                            ;   in Loop: Header=BB6_10302 Depth=2
	s_or_b32 exec_lo, exec_lo, s10
	s_delay_alu instid0(VALU_DEP_1) | instskip(SKIP_1) | instid1(VALU_DEP_1)
	v_add_f32_e32 v20, v21, v23
                                        ; implicit-def: $vgpr28
	s_mov_b32 s10, exec_lo
	v_and_b32_e32 v52, 0x7f800000, v20
	v_lshrrev_b32_e32 v21, 24, v20
	s_delay_alu instid0(VALU_DEP_2)
	v_cmpx_ne_u64_e32 0x7f800000, v[52:53]
	s_xor_b32 s11, exec_lo, s10
	s_cbranch_execz .LBB6_10808
; %bb.10795:                            ;   in Loop: Header=BB6_10302 Depth=2
	v_and_b32_e32 v52, 0x7fffffff, v20
	v_and_b32_e32 v36, 0x80, v21
                                        ; implicit-def: $vgpr28
	s_mov_b32 s10, exec_lo
	s_delay_alu instid0(VALU_DEP_2)
	v_cmpx_gt_u64_e32 0x43e00001, v[52:53]
	s_xor_b32 s41, exec_lo, s10
	s_cbranch_execz .LBB6_10805
; %bb.10796:                            ;   in Loop: Header=BB6_10302 Depth=2
	v_mov_b32_e32 v28, 0
	s_mov_b32 s42, exec_lo
	v_cmpx_ne_u32_e32 0, v20
	s_cbranch_execz .LBB6_10804
; %bb.10797:                            ;   in Loop: Header=BB6_10302 Depth=2
	v_bfe_u32 v28, v20, 23, 8
	v_and_b32_e32 v22, 0x7fffff, v20
	s_delay_alu instid0(VALU_DEP_2) | instskip(NEXT) | instid1(VALU_DEP_2)
	v_cmp_gt_u32_e32 vcc_lo, 0x7a, v28
	v_or_b32_e32 v23, 0x800000, v22
	v_sub_nc_u32_e32 v21, 0x79, v28
	s_delay_alu instid0(VALU_DEP_1) | instskip(SKIP_1) | instid1(VALU_DEP_2)
	v_cndmask_b32_e32 v21, 0, v21, vcc_lo
	v_cmp_eq_u32_e32 vcc_lo, 0, v28
	v_cndmask_b32_e64 v37, v21, 0x78, vcc_lo
	s_delay_alu instid0(VALU_DEP_1) | instskip(SKIP_1) | instid1(VALU_DEP_2)
	v_dual_cndmask_b32 v52, v23, v22, vcc_lo :: v_dual_add_nc_u32 v20, 20, v37
	v_add_nc_u32_e32 v38, 19, v37
	v_lshlrev_b64_e64 v[20:21], v20, -1
	s_delay_alu instid0(VALU_DEP_2) | instskip(NEXT) | instid1(VALU_DEP_2)
	v_lshlrev_b64_e64 v[22:23], v38, 1
	v_bfi_b32 v39, v21, 0, 0
	s_delay_alu instid0(VALU_DEP_3) | instskip(SKIP_1) | instid1(VALU_DEP_2)
	v_bfi_b32 v38, v20, 0, v52
	v_lshrrev_b64 v[20:21], v37, v[52:53]
	v_cmp_eq_u64_e64 s10, v[38:39], v[22:23]
	s_delay_alu instid0(VALU_DEP_2)
	v_mov_b64_e32 v[22:23], v[20:21]
	s_and_saveexec_b32 s43, s10
; %bb.10798:                            ;   in Loop: Header=BB6_10302 Depth=2
	v_bfe_u32 v52, v20, 20, 1
	s_delay_alu instid0(VALU_DEP_1) | instskip(NEXT) | instid1(VALU_DEP_1)
	v_add_nc_u64_e32 v[22:23], v[20:21], v[52:53]
	v_add_nc_u64_e32 v[22:23], -1, v[22:23]
; %bb.10799:                            ;   in Loop: Header=BB6_10302 Depth=2
	s_or_b32 exec_lo, exec_lo, s43
	v_add_nc_u32_e32 v21, 0xffffff81, v28
	v_lshrrev_b32_e32 v23, 23, v20
	s_mov_b32 s10, exec_lo
	s_delay_alu instid0(VALU_DEP_2) | instskip(NEXT) | instid1(VALU_DEP_1)
	v_cndmask_b32_e64 v21, v21, 0xffffff82, vcc_lo
	v_add3_u32 v23, v37, v21, v23
	v_and_b32_e32 v21, 0xfffff, v22
                                        ; implicit-def: $vgpr22
	s_delay_alu instid0(VALU_DEP_1) | instskip(NEXT) | instid1(VALU_DEP_1)
	v_dual_add_nc_u32 v28, 6, v23 :: v_dual_add_nc_u32 v52, v21, v20
                                        ; implicit-def: $vgpr20_vgpr21
	v_cmpx_ne_u32_e32 0, v28
	s_xor_b32 s10, exec_lo, s10
; %bb.10800:                            ;   in Loop: Header=BB6_10302 Depth=2
	s_delay_alu instid0(VALU_DEP_2) | instskip(SKIP_1) | instid1(VALU_DEP_1)
	v_cmp_lt_u64_e32 vcc_lo, 0xffffff, v[52:53]
	v_add_nc_u32_e32 v20, 7, v23
	v_cndmask_b32_e32 v22, v28, v20, vcc_lo
	v_cndmask_b32_e64 v20, 0, 1, vcc_lo
	s_delay_alu instid0(VALU_DEP_1)
	v_lshrrev_b64 v[20:21], v20, v[52:53]
; %bb.10801:                            ;   in Loop: Header=BB6_10302 Depth=2
	s_and_not1_saveexec_b32 s10, s10
; %bb.10802:                            ;   in Loop: Header=BB6_10302 Depth=2
	v_mov_b64_e32 v[20:21], v[52:53]
	v_bfe_u32 v22, v52, 23, 1
; %bb.10803:                            ;   in Loop: Header=BB6_10302 Depth=2
	s_or_b32 exec_lo, exec_lo, s10
	s_delay_alu instid0(VALU_DEP_2) | instskip(NEXT) | instid1(VALU_DEP_2)
	v_lshrrev_b64 v[20:21], 20, v[20:21]
	v_cmp_gt_i32_e32 vcc_lo, 16, v22
	v_min_i32_e32 v23, 15, v22
	v_cmp_eq_u32_e64 s10, 0, v22
	s_delay_alu instid0(VALU_DEP_2) | instskip(SKIP_1) | instid1(VALU_DEP_2)
	v_dual_cndmask_b32 v21, 0, v21, vcc_lo :: v_dual_lshlrev_b32 v23, 3, v23
	v_cndmask_b32_e32 v20, 7, v20, vcc_lo
	v_and_b32_e32 v23, 0xf8, v23
	s_delay_alu instid0(VALU_DEP_2) | instskip(NEXT) | instid1(VALU_DEP_2)
	v_cmp_eq_u64_e32 vcc_lo, 0, v[20:21]
	v_and_or_b32 v20, v20, 7, v23
	s_and_b32 s10, s10, vcc_lo
	s_delay_alu instid0(VALU_DEP_1) | instid1(SALU_CYCLE_1)
	v_cndmask_b32_e64 v20, v20, 0, s10
	s_delay_alu instid0(VALU_DEP_1)
	v_or_b32_e32 v28, v20, v36
.LBB6_10804:                            ;   in Loop: Header=BB6_10302 Depth=2
	s_or_b32 exec_lo, exec_lo, s42
                                        ; implicit-def: $vgpr36
.LBB6_10805:                            ;   in Loop: Header=BB6_10302 Depth=2
	s_and_not1_saveexec_b32 s10, s41
; %bb.10806:                            ;   in Loop: Header=BB6_10302 Depth=2
	v_or_b32_e32 v28, 0x7e, v36
; %bb.10807:                            ;   in Loop: Header=BB6_10302 Depth=2
	s_or_b32 exec_lo, exec_lo, s10
                                        ; implicit-def: $vgpr21
.LBB6_10808:                            ;   in Loop: Header=BB6_10302 Depth=2
	s_and_not1_saveexec_b32 s10, s11
; %bb.10809:                            ;   in Loop: Header=BB6_10302 Depth=2
	v_or_b32_e32 v28, 0x7f, v21
; %bb.10810:                            ;   in Loop: Header=BB6_10302 Depth=2
	s_or_b32 exec_lo, exec_lo, s10
	v_lshl_or_b32 v36, v25, 8, v24
	v_dual_lshlrev_b32 v20, 16, v34 :: v_dual_lshlrev_b32 v21, 24, v35
	v_mov_b32_e32 v22, 0
	s_mov_b32 s10, exec_lo
	s_delay_alu instid0(VALU_DEP_2)
	v_or3_b32 v52, v20, v21, v36
	v_cmpx_ne_u32_e32 0, v24
	s_cbranch_execz .LBB6_10816
; %bb.10811:                            ;   in Loop: Header=BB6_10302 Depth=2
	v_bfrev_b32_e32 v22, 1
	s_mov_b32 s11, exec_lo
	v_cmpx_ne_u32_e32 0x80, v24
	s_cbranch_execz .LBB6_10815
; %bb.10812:                            ;   in Loop: Header=BB6_10302 Depth=2
	v_and_b32_e32 v20, 0x7f, v24
	v_mov_b32_e32 v22, 0x7f800001
	s_mov_b32 s41, exec_lo
	s_delay_alu instid0(VALU_DEP_2)
	v_cmpx_ne_u32_e32 0x7f, v20
	s_cbranch_execz .LBB6_10814
; %bb.10813:                            ;   in Loop: Header=BB6_10302 Depth=2
	v_cmp_gt_u32_e32 vcc_lo, 8, v20
	v_and_b32_e32 v21, 7, v24
	s_delay_alu instid0(VALU_DEP_1) | instskip(NEXT) | instid1(VALU_DEP_1)
	v_clz_i32_u32_e32 v21, v21
	v_min_u32_e32 v21, 32, v21
	v_lshrrev_b32_e32 v22, 3, v20
	s_delay_alu instid0(VALU_DEP_2) | instskip(NEXT) | instid1(VALU_DEP_1)
	v_subrev_nc_u32_e32 v23, 28, v21
	v_dual_cndmask_b32 v20, 0, v23 :: v_dual_sub_nc_u32 v21, 29, v21
	s_delay_alu instid0(VALU_DEP_1) | instskip(NEXT) | instid1(VALU_DEP_2)
	v_cndmask_b32_e32 v22, v22, v21, vcc_lo
	v_lshlrev_b64_e32 v[20:21], v20, v[52:53]
	v_lshlrev_b32_e32 v21, 24, v52
	s_delay_alu instid0(VALU_DEP_3) | instskip(NEXT) | instid1(VALU_DEP_2)
	v_lshl_add_u32 v22, v22, 23, 0x3c000000
	v_and_b32_e32 v21, 0x80000000, v21
	s_delay_alu instid0(VALU_DEP_4) | instskip(NEXT) | instid1(VALU_DEP_1)
	v_lshlrev_b32_e32 v20, 20, v20
	v_and_b32_e32 v20, 0x700000, v20
	s_delay_alu instid0(VALU_DEP_1)
	v_or3_b32 v22, v20, v21, v22
.LBB6_10814:                            ;   in Loop: Header=BB6_10302 Depth=2
	s_or_b32 exec_lo, exec_lo, s41
.LBB6_10815:                            ;   in Loop: Header=BB6_10302 Depth=2
	s_delay_alu instid0(SALU_CYCLE_1)
	s_or_b32 exec_lo, exec_lo, s11
.LBB6_10816:                            ;   in Loop: Header=BB6_10302 Depth=2
	s_delay_alu instid0(SALU_CYCLE_1) | instskip(SKIP_4) | instid1(VALU_DEP_2)
	s_or_b32 exec_lo, exec_lo, s10
	v_and_b32_e32 v21, 0xff, v11
	v_mov_b32_e32 v20, v11
	s_mov_b32 s10, 0
	s_mov_b32 s11, exec_lo
	v_cmpx_lt_i16_e32 0x7f, v21
	s_xor_b32 s11, exec_lo, s11
	s_cbranch_execnz .LBB6_10847
; %bb.10817:                            ;   in Loop: Header=BB6_10302 Depth=2
	s_or_saveexec_b32 s11, s11
	v_bfrev_b32_e32 v23, 1
	s_xor_b32 exec_lo, exec_lo, s11
	s_cbranch_execnz .LBB6_10850
.LBB6_10818:                            ;   in Loop: Header=BB6_10302 Depth=2
	s_or_b32 exec_lo, exec_lo, s11
	v_mov_b32_e32 v21, v53
	s_and_saveexec_b32 s11, s10
	s_cbranch_execz .LBB6_10820
.LBB6_10819:                            ;   in Loop: Header=BB6_10302 Depth=2
	v_and_b32_e32 v34, 0x7f, v11
	v_bfe_u32 v24, v11, 3, 4
	s_delay_alu instid0(VALU_DEP_2) | instskip(SKIP_1) | instid1(VALU_DEP_1)
	v_cmp_gt_u32_e32 vcc_lo, 8, v34
	v_and_b32_e32 v23, 7, v11
	v_clz_i32_u32_e32 v23, v23
	s_delay_alu instid0(VALU_DEP_1) | instskip(NEXT) | instid1(VALU_DEP_1)
	v_min_u32_e32 v23, 32, v23
	v_subrev_nc_u32_e32 v25, 28, v23
	v_sub_nc_u32_e32 v23, 29, v23
	s_delay_alu instid0(VALU_DEP_1) | instskip(SKIP_1) | instid1(VALU_DEP_2)
	v_dual_cndmask_b32 v23, v24, v23 :: v_dual_cndmask_b32 v24, 0, v25
	v_cmp_ne_u32_e32 vcc_lo, 0x7f, v34
	v_lshlrev_b64_e32 v[24:25], v24, v[20:21]
	v_lshlrev_b32_e32 v21, 24, v20
	s_delay_alu instid0(VALU_DEP_1) | instskip(NEXT) | instid1(VALU_DEP_3)
	v_and_b32_e32 v21, 0x80000000, v21
	v_lshlrev_b32_e32 v24, 20, v24
	v_lshl_add_u32 v23, v23, 23, 0x3c000000
	s_delay_alu instid0(VALU_DEP_2) | instskip(NEXT) | instid1(VALU_DEP_1)
	v_and_b32_e32 v24, 0x700000, v24
	v_or3_b32 v21, v24, v21, v23
	s_delay_alu instid0(VALU_DEP_1)
	v_cndmask_b32_e32 v23, 0x7f800001, v21, vcc_lo
.LBB6_10820:                            ;   in Loop: Header=BB6_10302 Depth=2
	s_or_b32 exec_lo, exec_lo, s11
	s_delay_alu instid0(VALU_DEP_1) | instskip(NEXT) | instid1(VALU_DEP_1)
	v_dual_add_f32 v22, v22, v23 :: v_dual_mov_b32 v25, v53
	v_and_b32_e32 v24, 0x7f800000, v22
	v_lshrrev_b32_e32 v21, 24, v22
	s_delay_alu instid0(VALU_DEP_2) | instskip(SKIP_1) | instid1(SALU_CYCLE_1)
	v_cmp_ne_u64_e32 vcc_lo, 0x7f800000, v[24:25]
                                        ; implicit-def: $vgpr24
	s_and_saveexec_b32 s10, vcc_lo
	s_xor_b32 s11, exec_lo, s10
	s_cbranch_execz .LBB6_10834
; %bb.10821:                            ;   in Loop: Header=BB6_10302 Depth=2
	v_and_b32_e32 v24, 0x7fffffff, v22
	v_mov_b32_e32 v25, v53
	v_and_b32_e32 v21, 0x80, v21
	s_delay_alu instid0(VALU_DEP_2) | instskip(SKIP_1) | instid1(SALU_CYCLE_1)
	v_cmp_gt_u64_e32 vcc_lo, 0x43e00001, v[24:25]
                                        ; implicit-def: $vgpr24
	s_and_saveexec_b32 s10, vcc_lo
	s_xor_b32 s41, exec_lo, s10
	s_cbranch_execz .LBB6_10831
; %bb.10822:                            ;   in Loop: Header=BB6_10302 Depth=2
	v_mov_b32_e32 v24, 0
	s_mov_b32 s42, exec_lo
	v_cmpx_ne_u32_e32 0, v22
	s_cbranch_execz .LBB6_10830
; %bb.10823:                            ;   in Loop: Header=BB6_10302 Depth=2
	v_bfe_u32 v34, v22, 23, 8
	v_and_b32_e32 v24, 0x7fffff, v22
	s_mov_b32 s43, exec_lo
	s_delay_alu instid0(VALU_DEP_2) | instskip(NEXT) | instid1(VALU_DEP_2)
	v_cmp_gt_u32_e32 vcc_lo, 0x7a, v34
	v_or_b32_e32 v25, 0x800000, v24
	v_sub_nc_u32_e32 v23, 0x79, v34
	s_delay_alu instid0(VALU_DEP_1) | instskip(SKIP_1) | instid1(VALU_DEP_4)
	v_cndmask_b32_e32 v23, 0, v23, vcc_lo
	v_cmp_eq_u32_e32 vcc_lo, 0, v34
	v_cndmask_b32_e32 v24, v25, v24, vcc_lo
	v_mov_b32_e32 v25, v53
	s_delay_alu instid0(VALU_DEP_4) | instskip(NEXT) | instid1(VALU_DEP_1)
	v_cndmask_b32_e64 v35, v23, 0x78, vcc_lo
	v_dual_add_nc_u32 v22, 20, v35 :: v_dual_add_nc_u32 v37, 19, v35
	s_delay_alu instid0(VALU_DEP_1) | instskip(NEXT) | instid1(VALU_DEP_2)
	v_lshlrev_b64_e64 v[22:23], v22, -1
	v_lshlrev_b64_e64 v[38:39], v37, 1
	s_delay_alu instid0(VALU_DEP_2) | instskip(NEXT) | instid1(VALU_DEP_3)
	v_bfi_b32 v51, v23, 0, 0
	v_bfi_b32 v50, v22, 0, v24
	v_lshrrev_b64 v[22:23], v35, v[24:25]
	s_delay_alu instid0(VALU_DEP_1) | instskip(NEXT) | instid1(VALU_DEP_3)
	v_mov_b64_e32 v[24:25], v[22:23]
	v_cmpx_eq_u64_e64 v[50:51], v[38:39]
; %bb.10824:                            ;   in Loop: Header=BB6_10302 Depth=2
	v_bfe_u32 v24, v22, 20, 1
	v_mov_b32_e32 v25, v53
	s_delay_alu instid0(VALU_DEP_1) | instskip(NEXT) | instid1(VALU_DEP_1)
	v_add_nc_u64_e32 v[24:25], v[22:23], v[24:25]
	v_add_nc_u64_e32 v[24:25], -1, v[24:25]
; %bb.10825:                            ;   in Loop: Header=BB6_10302 Depth=2
	s_or_b32 exec_lo, exec_lo, s43
	v_add_nc_u32_e32 v23, 0xffffff81, v34
	v_lshrrev_b32_e32 v25, 23, v22
	s_mov_b32 s10, exec_lo
	s_delay_alu instid0(VALU_DEP_2) | instskip(NEXT) | instid1(VALU_DEP_1)
	v_cndmask_b32_e64 v23, v23, 0xffffff82, vcc_lo
	v_add3_u32 v25, v35, v23, v25
	v_and_b32_e32 v23, 0xfffff, v24
                                        ; implicit-def: $vgpr24
	s_delay_alu instid0(VALU_DEP_1) | instskip(SKIP_1) | instid1(VALU_DEP_2)
	v_dual_add_nc_u32 v34, 6, v25 :: v_dual_add_nc_u32 v22, v23, v22
	v_mov_b32_e32 v23, v53
	v_cmpx_ne_u32_e32 0, v34
	s_xor_b32 s10, exec_lo, s10
; %bb.10826:                            ;   in Loop: Header=BB6_10302 Depth=2
	s_delay_alu instid0(VALU_DEP_2) | instskip(SKIP_2) | instid1(VALU_DEP_2)
	v_cmp_lt_u64_e32 vcc_lo, 0xffffff, v[22:23]
	v_add_nc_u32_e32 v24, 7, v25
	v_cndmask_b32_e64 v25, 0, 1, vcc_lo
	v_cndmask_b32_e32 v24, v34, v24, vcc_lo
	s_delay_alu instid0(VALU_DEP_2)
	v_lshrrev_b64 v[22:23], v25, v[22:23]
; %bb.10827:                            ;   in Loop: Header=BB6_10302 Depth=2
	s_and_not1_saveexec_b32 s10, s10
; %bb.10828:                            ;   in Loop: Header=BB6_10302 Depth=2
	s_delay_alu instid0(VALU_DEP_1)
	v_bfe_u32 v24, v22, 23, 1
; %bb.10829:                            ;   in Loop: Header=BB6_10302 Depth=2
	s_or_b32 exec_lo, exec_lo, s10
	s_delay_alu instid0(VALU_DEP_2) | instskip(NEXT) | instid1(VALU_DEP_2)
	v_lshrrev_b64 v[22:23], 20, v[22:23]
	v_cmp_gt_i32_e32 vcc_lo, 16, v24
	v_min_i32_e32 v25, 15, v24
	v_cmp_eq_u32_e64 s10, 0, v24
	s_delay_alu instid0(VALU_DEP_2) | instskip(SKIP_1) | instid1(VALU_DEP_2)
	v_dual_cndmask_b32 v23, 0, v23, vcc_lo :: v_dual_lshlrev_b32 v25, 3, v25
	v_cndmask_b32_e32 v22, 7, v22, vcc_lo
	v_and_b32_e32 v25, 0xf8, v25
	s_delay_alu instid0(VALU_DEP_2) | instskip(NEXT) | instid1(VALU_DEP_2)
	v_cmp_eq_u64_e32 vcc_lo, 0, v[22:23]
	v_and_or_b32 v22, v22, 7, v25
	s_and_b32 s10, s10, vcc_lo
	s_delay_alu instid0(VALU_DEP_1) | instid1(SALU_CYCLE_1)
	v_cndmask_b32_e64 v22, v22, 0, s10
	s_delay_alu instid0(VALU_DEP_1)
	v_or_b32_e32 v24, v22, v21
.LBB6_10830:                            ;   in Loop: Header=BB6_10302 Depth=2
	s_or_b32 exec_lo, exec_lo, s42
                                        ; implicit-def: $vgpr21
.LBB6_10831:                            ;   in Loop: Header=BB6_10302 Depth=2
	s_and_not1_saveexec_b32 s10, s41
; %bb.10832:                            ;   in Loop: Header=BB6_10302 Depth=2
	v_or_b32_e32 v24, 0x7e, v21
; %bb.10833:                            ;   in Loop: Header=BB6_10302 Depth=2
	s_or_b32 exec_lo, exec_lo, s10
                                        ; implicit-def: $vgpr21
.LBB6_10834:                            ;   in Loop: Header=BB6_10302 Depth=2
	s_and_not1_saveexec_b32 s10, s11
; %bb.10835:                            ;   in Loop: Header=BB6_10302 Depth=2
	v_or_b32_e32 v24, 0x7f, v21
; %bb.10836:                            ;   in Loop: Header=BB6_10302 Depth=2
	s_or_b32 exec_lo, exec_lo, s10
	v_lshrrev_b16 v22, 8, v36
	v_mov_b32_e32 v21, 0
	s_mov_b32 s10, exec_lo
	s_delay_alu instid0(VALU_DEP_2)
	v_cmpx_ne_u16_e32 0, v22
	s_cbranch_execz .LBB6_10844
; %bb.10837:                            ;   in Loop: Header=BB6_10302 Depth=2
	v_bfrev_b32_e32 v21, 1
	s_mov_b32 s11, exec_lo
	v_cmpx_ne_u16_e32 0x80, v22
	s_cbranch_execz .LBB6_10843
; %bb.10838:                            ;   in Loop: Header=BB6_10302 Depth=2
	v_and_b32_e32 v22, 0xffff, v22
	v_mov_b32_e32 v21, 0x7f800001
	s_mov_b32 s41, exec_lo
	s_delay_alu instid0(VALU_DEP_2) | instskip(NEXT) | instid1(VALU_DEP_1)
	v_and_b32_e32 v25, 0x7f, v22
	v_cmpx_ne_u32_e32 0x7f, v25
	s_cbranch_execz .LBB6_10842
; %bb.10839:                            ;   in Loop: Header=BB6_10302 Depth=2
	v_dual_mov_b32 v23, v53 :: v_dual_bitop2_b32 v22, 7, v22 bitop3:0x40
	v_lshrrev_b32_e32 v21, 3, v25
	s_mov_b32 s42, exec_lo
	v_cmpx_gt_u32_e32 8, v25
; %bb.10840:                            ;   in Loop: Header=BB6_10302 Depth=2
	s_delay_alu instid0(VALU_DEP_3) | instskip(NEXT) | instid1(VALU_DEP_1)
	v_clz_i32_u32_e32 v21, v22
	v_min_u32_e32 v21, 32, v21
	s_delay_alu instid0(VALU_DEP_1) | instskip(NEXT) | instid1(VALU_DEP_1)
	v_subrev_nc_u32_e32 v25, 28, v21
	v_lshlrev_b64_e32 v[22:23], v25, v[22:23]
	s_delay_alu instid0(VALU_DEP_1)
	v_dual_sub_nc_u32 v21, 29, v21 :: v_dual_bitop2_b32 v22, 7, v22 bitop3:0x40
; %bb.10841:                            ;   in Loop: Header=BB6_10302 Depth=2
	s_or_b32 exec_lo, exec_lo, s42
	s_delay_alu instid0(VALU_DEP_1) | instskip(NEXT) | instid1(VALU_DEP_2)
	v_dual_lshlrev_b32 v23, 16, v36 :: v_dual_lshlrev_b32 v22, 20, v22
	v_lshl_add_u32 v21, v21, 23, 0x3c000000
	s_delay_alu instid0(VALU_DEP_2) | instskip(NEXT) | instid1(VALU_DEP_1)
	v_and_b32_e32 v23, 0x80000000, v23
	v_or3_b32 v21, v22, v23, v21
.LBB6_10842:                            ;   in Loop: Header=BB6_10302 Depth=2
	s_or_b32 exec_lo, exec_lo, s41
.LBB6_10843:                            ;   in Loop: Header=BB6_10302 Depth=2
	s_delay_alu instid0(SALU_CYCLE_1)
	s_or_b32 exec_lo, exec_lo, s11
.LBB6_10844:                            ;   in Loop: Header=BB6_10302 Depth=2
	s_delay_alu instid0(SALU_CYCLE_1) | instskip(SKIP_3) | instid1(VALU_DEP_1)
	s_or_b32 exec_lo, exec_lo, s10
	v_lshrrev_b16 v22, 8, v20
	s_mov_b32 s11, 0
	s_mov_b32 s10, exec_lo
	v_cmpx_lt_i16_e32 0x7f, v22
	s_xor_b32 s10, exec_lo, s10
	s_cbranch_execnz .LBB6_10851
; %bb.10845:                            ;   in Loop: Header=BB6_10302 Depth=2
	s_or_saveexec_b32 s10, s10
	v_bfrev_b32_e32 v23, 1
	s_xor_b32 exec_lo, exec_lo, s10
	s_cbranch_execnz .LBB6_10854
.LBB6_10846:                            ;   in Loop: Header=BB6_10302 Depth=2
	s_or_b32 exec_lo, exec_lo, s10
	s_and_saveexec_b32 s10, s11
	s_cbranch_execnz .LBB6_10855
	s_branch .LBB6_10858
.LBB6_10847:                            ;   in Loop: Header=BB6_10302 Depth=2
	s_mov_b32 s10, -1
	s_mov_b32 s41, exec_lo
	v_cmpx_eq_u16_e32 0x80, v21
; %bb.10848:                            ;   in Loop: Header=BB6_10302 Depth=2
	s_xor_b32 s10, exec_lo, -1
; %bb.10849:                            ;   in Loop: Header=BB6_10302 Depth=2
	s_or_b32 exec_lo, exec_lo, s41
	s_delay_alu instid0(SALU_CYCLE_1)
	s_and_b32 s10, s10, exec_lo
                                        ; implicit-def: $vgpr21
	s_or_saveexec_b32 s11, s11
	v_bfrev_b32_e32 v23, 1
	s_xor_b32 exec_lo, exec_lo, s11
	s_cbranch_execz .LBB6_10818
.LBB6_10850:                            ;   in Loop: Header=BB6_10302 Depth=2
	v_cmp_ne_u16_e32 vcc_lo, 0, v21
	v_mov_b32_e32 v23, 0
	s_and_not1_b32 s10, s10, exec_lo
	s_and_b32 s41, vcc_lo, exec_lo
	s_delay_alu instid0(SALU_CYCLE_1)
	s_or_b32 s10, s10, s41
	s_or_b32 exec_lo, exec_lo, s11
	v_mov_b32_e32 v21, v53
	s_and_saveexec_b32 s11, s10
	s_cbranch_execnz .LBB6_10819
	s_branch .LBB6_10820
.LBB6_10851:                            ;   in Loop: Header=BB6_10302 Depth=2
	s_mov_b32 s11, -1
	s_mov_b32 s41, exec_lo
	v_cmpx_eq_u16_e32 0x80, v22
; %bb.10852:                            ;   in Loop: Header=BB6_10302 Depth=2
	s_xor_b32 s11, exec_lo, -1
; %bb.10853:                            ;   in Loop: Header=BB6_10302 Depth=2
	s_or_b32 exec_lo, exec_lo, s41
	s_delay_alu instid0(SALU_CYCLE_1)
	s_and_b32 s11, s11, exec_lo
	s_or_saveexec_b32 s10, s10
	v_bfrev_b32_e32 v23, 1
	s_xor_b32 exec_lo, exec_lo, s10
	s_cbranch_execz .LBB6_10846
.LBB6_10854:                            ;   in Loop: Header=BB6_10302 Depth=2
	v_cmp_ne_u16_e32 vcc_lo, 0, v22
	v_mov_b32_e32 v23, 0
	s_and_not1_b32 s11, s11, exec_lo
	s_and_b32 s41, vcc_lo, exec_lo
	s_delay_alu instid0(SALU_CYCLE_1)
	s_or_b32 s11, s11, s41
	s_or_b32 exec_lo, exec_lo, s10
	s_and_saveexec_b32 s10, s11
	s_cbranch_execz .LBB6_10858
.LBB6_10855:                            ;   in Loop: Header=BB6_10302 Depth=2
	v_and_b32_e32 v20, 0xffff, v22
	v_mov_b32_e32 v23, 0x7f800001
	s_mov_b32 s11, exec_lo
	s_delay_alu instid0(VALU_DEP_2) | instskip(NEXT) | instid1(VALU_DEP_1)
	v_and_b32_e32 v25, 0x7f, v20
	v_cmpx_ne_u32_e32 0x7f, v25
	s_cbranch_execz .LBB6_10857
; %bb.10856:                            ;   in Loop: Header=BB6_10302 Depth=2
	v_and_b32_e32 v23, 7, v20
	v_cmp_gt_u32_e32 vcc_lo, 8, v25
	s_delay_alu instid0(VALU_DEP_2) | instskip(NEXT) | instid1(VALU_DEP_1)
	v_clz_i32_u32_e32 v34, v23
	v_min_u32_e32 v36, 32, v34
	s_delay_alu instid0(VALU_DEP_1) | instskip(NEXT) | instid1(VALU_DEP_1)
	v_subrev_nc_u32_e32 v34, 28, v36
	v_lshlrev_b64_e32 v[34:35], v34, v[20:21]
	v_dual_lshrrev_b32 v20, 3, v25 :: v_dual_sub_nc_u32 v35, 29, v36
	s_delay_alu instid0(VALU_DEP_2) | instskip(NEXT) | instid1(VALU_DEP_2)
	v_and_b32_e32 v25, 7, v34
	v_dual_lshlrev_b32 v22, 24, v22 :: v_dual_cndmask_b32 v20, v20, v35, vcc_lo
	s_delay_alu instid0(VALU_DEP_2) | instskip(NEXT) | instid1(VALU_DEP_2)
	v_cndmask_b32_e32 v23, v23, v25, vcc_lo
	v_and_b32_e32 v22, 0x80000000, v22
	s_delay_alu instid0(VALU_DEP_3) | instskip(NEXT) | instid1(VALU_DEP_3)
	v_lshl_add_u32 v20, v20, 23, 0x3c000000
	v_lshlrev_b32_e32 v23, 20, v23
	s_delay_alu instid0(VALU_DEP_1)
	v_or3_b32 v23, v23, v22, v20
.LBB6_10857:                            ;   in Loop: Header=BB6_10302 Depth=2
	s_or_b32 exec_lo, exec_lo, s11
.LBB6_10858:                            ;   in Loop: Header=BB6_10302 Depth=2
	s_delay_alu instid0(SALU_CYCLE_1) | instskip(NEXT) | instid1(VALU_DEP_1)
	s_or_b32 exec_lo, exec_lo, s10
	v_add_f32_e32 v20, v21, v23
	v_mov_b32_e32 v23, v53
                                        ; implicit-def: $vgpr25
	s_mov_b32 s10, exec_lo
	s_delay_alu instid0(VALU_DEP_2) | instskip(SKIP_1) | instid1(VALU_DEP_2)
	v_and_b32_e32 v22, 0x7f800000, v20
	v_lshrrev_b32_e32 v21, 24, v20
	v_cmpx_ne_u64_e32 0x7f800000, v[22:23]
	s_xor_b32 s11, exec_lo, s10
	s_cbranch_execz .LBB6_10872
; %bb.10859:                            ;   in Loop: Header=BB6_10302 Depth=2
	v_and_b32_e32 v22, 0x7fffffff, v20
	v_mov_b32_e32 v23, v53
	v_and_b32_e32 v34, 0x80, v21
                                        ; implicit-def: $vgpr25
	s_mov_b32 s10, exec_lo
	s_delay_alu instid0(VALU_DEP_2)
	v_cmpx_gt_u64_e32 0x43e00001, v[22:23]
	s_xor_b32 s41, exec_lo, s10
	s_cbranch_execz .LBB6_10869
; %bb.10860:                            ;   in Loop: Header=BB6_10302 Depth=2
	v_mov_b32_e32 v25, 0
	s_mov_b32 s42, exec_lo
	v_cmpx_ne_u32_e32 0, v20
	s_cbranch_execz .LBB6_10868
; %bb.10861:                            ;   in Loop: Header=BB6_10302 Depth=2
	v_bfe_u32 v25, v20, 23, 8
	v_and_b32_e32 v22, 0x7fffff, v20
	s_mov_b32 s43, exec_lo
	s_delay_alu instid0(VALU_DEP_2) | instskip(NEXT) | instid1(VALU_DEP_2)
	v_cmp_gt_u32_e32 vcc_lo, 0x7a, v25
	v_or_b32_e32 v23, 0x800000, v22
	v_sub_nc_u32_e32 v21, 0x79, v25
	s_delay_alu instid0(VALU_DEP_1) | instskip(SKIP_1) | instid1(VALU_DEP_2)
	v_cndmask_b32_e32 v21, 0, v21, vcc_lo
	v_cmp_eq_u32_e32 vcc_lo, 0, v25
	v_cndmask_b32_e64 v35, v21, 0x78, vcc_lo
	v_dual_cndmask_b32 v22, v23, v22 :: v_dual_mov_b32 v23, v53
	s_delay_alu instid0(VALU_DEP_2) | instskip(NEXT) | instid1(VALU_DEP_1)
	v_dual_add_nc_u32 v36, 19, v35 :: v_dual_add_nc_u32 v20, 20, v35
	v_lshlrev_b64_e64 v[36:37], v36, 1
	s_delay_alu instid0(VALU_DEP_2) | instskip(NEXT) | instid1(VALU_DEP_1)
	v_lshlrev_b64_e64 v[20:21], v20, -1
	v_bfi_b32 v39, v21, 0, 0
	s_delay_alu instid0(VALU_DEP_2) | instskip(SKIP_1) | instid1(VALU_DEP_1)
	v_bfi_b32 v38, v20, 0, v22
	v_lshrrev_b64 v[20:21], v35, v[22:23]
	v_mov_b64_e32 v[22:23], v[20:21]
	s_delay_alu instid0(VALU_DEP_3)
	v_cmpx_eq_u64_e64 v[38:39], v[36:37]
; %bb.10862:                            ;   in Loop: Header=BB6_10302 Depth=2
	v_bfe_u32 v22, v20, 20, 1
	v_mov_b32_e32 v23, v53
	s_delay_alu instid0(VALU_DEP_1) | instskip(NEXT) | instid1(VALU_DEP_1)
	v_add_nc_u64_e32 v[22:23], v[20:21], v[22:23]
	v_add_nc_u64_e32 v[22:23], -1, v[22:23]
; %bb.10863:                            ;   in Loop: Header=BB6_10302 Depth=2
	s_or_b32 exec_lo, exec_lo, s43
	v_add_nc_u32_e32 v21, 0xffffff81, v25
	v_lshrrev_b32_e32 v23, 23, v20
	s_mov_b32 s10, exec_lo
	s_delay_alu instid0(VALU_DEP_2) | instskip(NEXT) | instid1(VALU_DEP_1)
	v_cndmask_b32_e64 v21, v21, 0xffffff82, vcc_lo
	v_add3_u32 v23, v35, v21, v23
	v_and_b32_e32 v21, 0xfffff, v22
                                        ; implicit-def: $vgpr22
	s_delay_alu instid0(VALU_DEP_1) | instskip(SKIP_1) | instid1(VALU_DEP_2)
	v_dual_add_nc_u32 v25, 6, v23 :: v_dual_add_nc_u32 v20, v21, v20
	v_mov_b32_e32 v21, v53
	v_cmpx_ne_u32_e32 0, v25
	s_xor_b32 s10, exec_lo, s10
; %bb.10864:                            ;   in Loop: Header=BB6_10302 Depth=2
	s_delay_alu instid0(VALU_DEP_2) | instskip(SKIP_2) | instid1(VALU_DEP_2)
	v_cmp_lt_u64_e32 vcc_lo, 0xffffff, v[20:21]
	v_add_nc_u32_e32 v22, 7, v23
	v_cndmask_b32_e64 v23, 0, 1, vcc_lo
	v_cndmask_b32_e32 v22, v25, v22, vcc_lo
	s_delay_alu instid0(VALU_DEP_2)
	v_lshrrev_b64 v[20:21], v23, v[20:21]
; %bb.10865:                            ;   in Loop: Header=BB6_10302 Depth=2
	s_and_not1_saveexec_b32 s10, s10
; %bb.10866:                            ;   in Loop: Header=BB6_10302 Depth=2
	s_delay_alu instid0(VALU_DEP_1)
	v_bfe_u32 v22, v20, 23, 1
; %bb.10867:                            ;   in Loop: Header=BB6_10302 Depth=2
	s_or_b32 exec_lo, exec_lo, s10
	s_delay_alu instid0(VALU_DEP_2) | instskip(NEXT) | instid1(VALU_DEP_2)
	v_lshrrev_b64 v[20:21], 20, v[20:21]
	v_cmp_gt_i32_e32 vcc_lo, 16, v22
	v_min_i32_e32 v23, 15, v22
	v_cmp_eq_u32_e64 s10, 0, v22
	s_delay_alu instid0(VALU_DEP_2) | instskip(SKIP_1) | instid1(VALU_DEP_2)
	v_dual_cndmask_b32 v21, 0, v21, vcc_lo :: v_dual_lshlrev_b32 v23, 3, v23
	v_cndmask_b32_e32 v20, 7, v20, vcc_lo
	v_and_b32_e32 v23, 0xf8, v23
	s_delay_alu instid0(VALU_DEP_2) | instskip(NEXT) | instid1(VALU_DEP_2)
	v_cmp_eq_u64_e32 vcc_lo, 0, v[20:21]
	v_and_or_b32 v20, v20, 7, v23
	s_and_b32 s10, s10, vcc_lo
	s_delay_alu instid0(VALU_DEP_1) | instid1(SALU_CYCLE_1)
	v_cndmask_b32_e64 v20, v20, 0, s10
	s_delay_alu instid0(VALU_DEP_1)
	v_or_b32_e32 v25, v20, v34
.LBB6_10868:                            ;   in Loop: Header=BB6_10302 Depth=2
	s_or_b32 exec_lo, exec_lo, s42
                                        ; implicit-def: $vgpr34
.LBB6_10869:                            ;   in Loop: Header=BB6_10302 Depth=2
	s_and_not1_saveexec_b32 s10, s41
; %bb.10870:                            ;   in Loop: Header=BB6_10302 Depth=2
	v_or_b32_e32 v25, 0x7e, v34
; %bb.10871:                            ;   in Loop: Header=BB6_10302 Depth=2
	s_or_b32 exec_lo, exec_lo, s10
                                        ; implicit-def: $vgpr21
.LBB6_10872:                            ;   in Loop: Header=BB6_10302 Depth=2
	s_and_not1_saveexec_b32 s10, s11
; %bb.10873:                            ;   in Loop: Header=BB6_10302 Depth=2
	v_or_b32_e32 v25, 0x7f, v21
; %bb.10874:                            ;   in Loop: Header=BB6_10302 Depth=2
	s_or_b32 exec_lo, exec_lo, s10
	v_dual_mov_b32 v21, 0 :: v_dual_lshrrev_b32 v22, 16, v52
	s_mov_b32 s10, exec_lo
	s_delay_alu instid0(VALU_DEP_1) | instskip(NEXT) | instid1(VALU_DEP_1)
	v_and_b32_e32 v20, 0xff, v22
	v_cmpx_ne_u16_e32 0, v20
	s_cbranch_execz .LBB6_10882
; %bb.10875:                            ;   in Loop: Header=BB6_10302 Depth=2
	v_bfrev_b32_e32 v21, 1
	s_mov_b32 s11, exec_lo
	v_cmpx_ne_u16_e32 0x80, v20
	s_cbranch_execz .LBB6_10881
; %bb.10876:                            ;   in Loop: Header=BB6_10302 Depth=2
	v_bfe_u32 v34, v52, 16, 7
	v_mov_b32_e32 v21, 0x7f800001
	s_mov_b32 s41, exec_lo
	s_delay_alu instid0(VALU_DEP_2)
	v_cmpx_ne_u32_e32 0x7f, v34
	s_cbranch_execz .LBB6_10880
; %bb.10877:                            ;   in Loop: Header=BB6_10302 Depth=2
	v_dual_mov_b32 v21, v53 :: v_dual_bitop2_b32 v20, 7, v22 bitop3:0x40
	v_lshrrev_b32_e32 v23, 3, v34
	s_mov_b32 s42, exec_lo
	v_cmpx_gt_u32_e32 8, v34
; %bb.10878:                            ;   in Loop: Header=BB6_10302 Depth=2
	s_delay_alu instid0(VALU_DEP_3) | instskip(NEXT) | instid1(VALU_DEP_1)
	v_clz_i32_u32_e32 v23, v20
	v_min_u32_e32 v23, 32, v23
	s_delay_alu instid0(VALU_DEP_1) | instskip(NEXT) | instid1(VALU_DEP_1)
	v_subrev_nc_u32_e32 v34, 28, v23
	v_lshlrev_b64_e32 v[20:21], v34, v[20:21]
	s_delay_alu instid0(VALU_DEP_1)
	v_dual_sub_nc_u32 v23, 29, v23 :: v_dual_bitop2_b32 v20, 7, v20 bitop3:0x40
; %bb.10879:                            ;   in Loop: Header=BB6_10302 Depth=2
	s_or_b32 exec_lo, exec_lo, s42
	s_delay_alu instid0(VALU_DEP_1) | instskip(NEXT) | instid1(VALU_DEP_2)
	v_dual_lshlrev_b32 v21, 24, v22 :: v_dual_lshlrev_b32 v20, 20, v20
	v_lshl_add_u32 v22, v23, 23, 0x3c000000
	s_delay_alu instid0(VALU_DEP_2) | instskip(NEXT) | instid1(VALU_DEP_1)
	v_and_b32_e32 v21, 0x80000000, v21
	v_or3_b32 v21, v20, v21, v22
.LBB6_10880:                            ;   in Loop: Header=BB6_10302 Depth=2
	s_or_b32 exec_lo, exec_lo, s41
.LBB6_10881:                            ;   in Loop: Header=BB6_10302 Depth=2
	s_delay_alu instid0(SALU_CYCLE_1)
	s_or_b32 exec_lo, exec_lo, s11
.LBB6_10882:                            ;   in Loop: Header=BB6_10302 Depth=2
	s_delay_alu instid0(SALU_CYCLE_1) | instskip(SKIP_3) | instid1(VALU_DEP_1)
	s_or_b32 exec_lo, exec_lo, s10
	v_lshrrev_b32_e32 v20, 16, v11
	s_mov_b32 s11, 0
	s_mov_b32 s10, exec_lo
	v_and_b32_e32 v23, 0xff, v20
	s_delay_alu instid0(VALU_DEP_1)
	v_cmpx_lt_i16_e32 0x7f, v23
	s_xor_b32 s10, exec_lo, s10
	s_cbranch_execnz .LBB6_10885
; %bb.10883:                            ;   in Loop: Header=BB6_10302 Depth=2
	s_or_saveexec_b32 s10, s10
	v_bfrev_b32_e32 v22, 1
	s_xor_b32 exec_lo, exec_lo, s10
	s_cbranch_execnz .LBB6_10888
.LBB6_10884:                            ;   in Loop: Header=BB6_10302 Depth=2
	s_or_b32 exec_lo, exec_lo, s10
	s_and_saveexec_b32 s10, s11
	s_cbranch_execnz .LBB6_10889
	s_branch .LBB6_10892
.LBB6_10885:                            ;   in Loop: Header=BB6_10302 Depth=2
	s_mov_b32 s11, -1
	s_mov_b32 s41, exec_lo
	v_cmpx_eq_u16_e32 0x80, v23
; %bb.10886:                            ;   in Loop: Header=BB6_10302 Depth=2
	s_xor_b32 s11, exec_lo, -1
; %bb.10887:                            ;   in Loop: Header=BB6_10302 Depth=2
	s_or_b32 exec_lo, exec_lo, s41
	s_delay_alu instid0(SALU_CYCLE_1)
	s_and_b32 s11, s11, exec_lo
                                        ; implicit-def: $vgpr23
	s_or_saveexec_b32 s10, s10
	v_bfrev_b32_e32 v22, 1
	s_xor_b32 exec_lo, exec_lo, s10
	s_cbranch_execz .LBB6_10884
.LBB6_10888:                            ;   in Loop: Header=BB6_10302 Depth=2
	v_cmp_ne_u16_e32 vcc_lo, 0, v23
	v_mov_b32_e32 v22, 0
	s_and_not1_b32 s11, s11, exec_lo
	s_and_b32 s41, vcc_lo, exec_lo
	s_delay_alu instid0(SALU_CYCLE_1)
	s_or_b32 s11, s11, s41
	s_or_b32 exec_lo, exec_lo, s10
	s_and_saveexec_b32 s10, s11
	s_cbranch_execz .LBB6_10892
.LBB6_10889:                            ;   in Loop: Header=BB6_10302 Depth=2
	v_and_b32_e32 v23, 0x7f, v20
	v_mov_b32_e32 v22, 0x7f800001
	s_mov_b32 s11, exec_lo
	s_delay_alu instid0(VALU_DEP_2)
	v_cmpx_ne_u32_e32 0x7f, v23
	s_cbranch_execz .LBB6_10891
; %bb.10890:                            ;   in Loop: Header=BB6_10302 Depth=2
	v_and_b32_e32 v22, 7, v20
	v_cmp_gt_u32_e32 vcc_lo, 8, v23
	s_delay_alu instid0(VALU_DEP_2) | instskip(NEXT) | instid1(VALU_DEP_1)
	v_clz_i32_u32_e32 v34, v22
	v_min_u32_e32 v36, 32, v34
	s_delay_alu instid0(VALU_DEP_1) | instskip(NEXT) | instid1(VALU_DEP_1)
	v_subrev_nc_u32_e32 v34, 28, v36
	v_lshlrev_b64_e32 v[34:35], v34, v[20:21]
	v_dual_lshrrev_b32 v35, 3, v23 :: v_dual_sub_nc_u32 v36, 29, v36
	s_delay_alu instid0(VALU_DEP_2) | instskip(NEXT) | instid1(VALU_DEP_1)
	v_dual_lshlrev_b32 v20, 24, v20 :: v_dual_bitop2_b32 v23, 7, v34 bitop3:0x40
	v_dual_cndmask_b32 v22, v22, v23, vcc_lo :: v_dual_cndmask_b32 v34, v35, v36, vcc_lo
	s_delay_alu instid0(VALU_DEP_2) | instskip(NEXT) | instid1(VALU_DEP_2)
	v_and_b32_e32 v20, 0x80000000, v20
	v_lshlrev_b32_e32 v22, 20, v22
	s_delay_alu instid0(VALU_DEP_3) | instskip(NEXT) | instid1(VALU_DEP_1)
	v_lshl_add_u32 v23, v34, 23, 0x3c000000
	v_or3_b32 v22, v22, v20, v23
.LBB6_10891:                            ;   in Loop: Header=BB6_10302 Depth=2
	s_or_b32 exec_lo, exec_lo, s11
.LBB6_10892:                            ;   in Loop: Header=BB6_10302 Depth=2
	s_delay_alu instid0(SALU_CYCLE_1) | instskip(NEXT) | instid1(VALU_DEP_1)
	s_or_b32 exec_lo, exec_lo, s10
	v_add_f32_e32 v20, v21, v22
	v_mov_b32_e32 v23, v53
                                        ; implicit-def: $vgpr34
	s_mov_b32 s10, exec_lo
	s_delay_alu instid0(VALU_DEP_2) | instskip(SKIP_1) | instid1(VALU_DEP_2)
	v_and_b32_e32 v22, 0x7f800000, v20
	v_lshrrev_b32_e32 v21, 24, v20
	v_cmpx_ne_u64_e32 0x7f800000, v[22:23]
	s_xor_b32 s11, exec_lo, s10
	s_cbranch_execz .LBB6_10906
; %bb.10893:                            ;   in Loop: Header=BB6_10302 Depth=2
	v_and_b32_e32 v22, 0x7fffffff, v20
	v_mov_b32_e32 v23, v53
	v_and_b32_e32 v35, 0x80, v21
                                        ; implicit-def: $vgpr34
	s_mov_b32 s10, exec_lo
	s_delay_alu instid0(VALU_DEP_2)
	v_cmpx_gt_u64_e32 0x43e00001, v[22:23]
	s_xor_b32 s41, exec_lo, s10
	s_cbranch_execz .LBB6_10903
; %bb.10894:                            ;   in Loop: Header=BB6_10302 Depth=2
	v_mov_b32_e32 v34, 0
	s_mov_b32 s42, exec_lo
	v_cmpx_ne_u32_e32 0, v20
	s_cbranch_execz .LBB6_10902
; %bb.10895:                            ;   in Loop: Header=BB6_10302 Depth=2
	v_bfe_u32 v34, v20, 23, 8
	v_and_b32_e32 v22, 0x7fffff, v20
	s_mov_b32 s43, exec_lo
	s_delay_alu instid0(VALU_DEP_2) | instskip(SKIP_1) | instid1(VALU_DEP_3)
	v_sub_nc_u32_e32 v21, 0x79, v34
	v_cmp_gt_u32_e32 vcc_lo, 0x7a, v34
	v_or_b32_e32 v23, 0x800000, v22
	s_delay_alu instid0(VALU_DEP_3) | instskip(SKIP_1) | instid1(VALU_DEP_2)
	v_cndmask_b32_e32 v21, 0, v21, vcc_lo
	v_cmp_eq_u32_e32 vcc_lo, 0, v34
	v_cndmask_b32_e64 v36, v21, 0x78, vcc_lo
	s_delay_alu instid0(VALU_DEP_4) | instskip(NEXT) | instid1(VALU_DEP_2)
	v_dual_cndmask_b32 v22, v23, v22 :: v_dual_mov_b32 v23, v53
	v_dual_add_nc_u32 v20, 20, v36 :: v_dual_add_nc_u32 v37, 19, v36
	s_delay_alu instid0(VALU_DEP_1) | instskip(NEXT) | instid1(VALU_DEP_2)
	v_lshlrev_b64_e64 v[20:21], v20, -1
	v_lshlrev_b64_e64 v[38:39], v37, 1
	s_delay_alu instid0(VALU_DEP_2) | instskip(NEXT) | instid1(VALU_DEP_3)
	v_bfi_b32 v51, v21, 0, 0
	v_bfi_b32 v50, v20, 0, v22
	v_lshrrev_b64 v[20:21], v36, v[22:23]
	s_delay_alu instid0(VALU_DEP_1) | instskip(NEXT) | instid1(VALU_DEP_3)
	v_mov_b64_e32 v[22:23], v[20:21]
	v_cmpx_eq_u64_e64 v[50:51], v[38:39]
; %bb.10896:                            ;   in Loop: Header=BB6_10302 Depth=2
	v_bfe_u32 v22, v20, 20, 1
	v_mov_b32_e32 v23, v53
	s_delay_alu instid0(VALU_DEP_1) | instskip(NEXT) | instid1(VALU_DEP_1)
	v_add_nc_u64_e32 v[22:23], v[20:21], v[22:23]
	v_add_nc_u64_e32 v[22:23], -1, v[22:23]
; %bb.10897:                            ;   in Loop: Header=BB6_10302 Depth=2
	s_or_b32 exec_lo, exec_lo, s43
	v_add_nc_u32_e32 v21, 0xffffff81, v34
	v_lshrrev_b32_e32 v23, 23, v20
	s_mov_b32 s10, exec_lo
	s_delay_alu instid0(VALU_DEP_2) | instskip(NEXT) | instid1(VALU_DEP_1)
	v_cndmask_b32_e64 v21, v21, 0xffffff82, vcc_lo
	v_add3_u32 v23, v36, v21, v23
	v_and_b32_e32 v21, 0xfffff, v22
                                        ; implicit-def: $vgpr22
	s_delay_alu instid0(VALU_DEP_1) | instskip(SKIP_1) | instid1(VALU_DEP_2)
	v_dual_add_nc_u32 v34, 6, v23 :: v_dual_add_nc_u32 v20, v21, v20
	v_mov_b32_e32 v21, v53
	v_cmpx_ne_u32_e32 0, v34
	s_xor_b32 s10, exec_lo, s10
; %bb.10898:                            ;   in Loop: Header=BB6_10302 Depth=2
	s_delay_alu instid0(VALU_DEP_2) | instskip(SKIP_2) | instid1(VALU_DEP_2)
	v_cmp_lt_u64_e32 vcc_lo, 0xffffff, v[20:21]
	v_add_nc_u32_e32 v22, 7, v23
	v_cndmask_b32_e64 v23, 0, 1, vcc_lo
	v_cndmask_b32_e32 v22, v34, v22, vcc_lo
	s_delay_alu instid0(VALU_DEP_2)
	v_lshrrev_b64 v[20:21], v23, v[20:21]
; %bb.10899:                            ;   in Loop: Header=BB6_10302 Depth=2
	s_and_not1_saveexec_b32 s10, s10
; %bb.10900:                            ;   in Loop: Header=BB6_10302 Depth=2
	s_delay_alu instid0(VALU_DEP_1)
	v_bfe_u32 v22, v20, 23, 1
; %bb.10901:                            ;   in Loop: Header=BB6_10302 Depth=2
	s_or_b32 exec_lo, exec_lo, s10
	s_delay_alu instid0(VALU_DEP_2) | instskip(NEXT) | instid1(VALU_DEP_2)
	v_lshrrev_b64 v[20:21], 20, v[20:21]
	v_cmp_gt_i32_e32 vcc_lo, 16, v22
	v_min_i32_e32 v23, 15, v22
	v_cmp_eq_u32_e64 s10, 0, v22
	s_delay_alu instid0(VALU_DEP_2) | instskip(SKIP_1) | instid1(VALU_DEP_2)
	v_dual_cndmask_b32 v21, 0, v21, vcc_lo :: v_dual_lshlrev_b32 v23, 3, v23
	v_cndmask_b32_e32 v20, 7, v20, vcc_lo
	v_and_b32_e32 v23, 0xf8, v23
	s_delay_alu instid0(VALU_DEP_2) | instskip(NEXT) | instid1(VALU_DEP_2)
	v_cmp_eq_u64_e32 vcc_lo, 0, v[20:21]
	v_and_or_b32 v20, v20, 7, v23
	s_and_b32 s10, s10, vcc_lo
	s_delay_alu instid0(VALU_DEP_1) | instid1(SALU_CYCLE_1)
	v_cndmask_b32_e64 v20, v20, 0, s10
	s_delay_alu instid0(VALU_DEP_1)
	v_or_b32_e32 v34, v20, v35
.LBB6_10902:                            ;   in Loop: Header=BB6_10302 Depth=2
	s_or_b32 exec_lo, exec_lo, s42
                                        ; implicit-def: $vgpr35
.LBB6_10903:                            ;   in Loop: Header=BB6_10302 Depth=2
	s_and_not1_saveexec_b32 s10, s41
; %bb.10904:                            ;   in Loop: Header=BB6_10302 Depth=2
	v_or_b32_e32 v34, 0x7e, v35
; %bb.10905:                            ;   in Loop: Header=BB6_10302 Depth=2
	s_or_b32 exec_lo, exec_lo, s10
                                        ; implicit-def: $vgpr21
.LBB6_10906:                            ;   in Loop: Header=BB6_10302 Depth=2
	s_and_not1_saveexec_b32 s10, s11
; %bb.10907:                            ;   in Loop: Header=BB6_10302 Depth=2
	v_or_b32_e32 v34, 0x7f, v21
; %bb.10908:                            ;   in Loop: Header=BB6_10302 Depth=2
	s_or_b32 exec_lo, exec_lo, s10
	v_mov_b32_e32 v21, 0
	s_mov_b32 s10, exec_lo
	v_cmpx_lt_u32_e32 0xffffff, v52
	s_cbranch_execz .LBB6_10916
; %bb.10909:                            ;   in Loop: Header=BB6_10302 Depth=2
	v_lshrrev_b32_e32 v22, 24, v52
	v_bfrev_b32_e32 v21, 1
	s_mov_b32 s11, exec_lo
	s_delay_alu instid0(VALU_DEP_2)
	v_cmpx_ne_u32_e32 0x80, v22
	s_cbranch_execz .LBB6_10915
; %bb.10910:                            ;   in Loop: Header=BB6_10302 Depth=2
	v_bfe_u32 v20, v52, 24, 7
	v_mov_b32_e32 v21, 0x7f800001
	s_mov_b32 s41, exec_lo
	s_delay_alu instid0(VALU_DEP_2)
	v_cmpx_ne_u32_e32 0x7f, v20
	s_cbranch_execz .LBB6_10914
; %bb.10911:                            ;   in Loop: Header=BB6_10302 Depth=2
	v_dual_lshrrev_b32 v23, 3, v20 :: v_dual_bitop2_b32 v52, 7, v22 bitop3:0x40
	v_cmp_gt_u32_e32 vcc_lo, 8, v20
	s_delay_alu instid0(VALU_DEP_2)
	v_mov_b64_e32 v[20:21], v[52:53]
	s_and_saveexec_b32 s42, vcc_lo
; %bb.10912:                            ;   in Loop: Header=BB6_10302 Depth=2
	v_clz_i32_u32_e32 v20, v52
	s_delay_alu instid0(VALU_DEP_1) | instskip(NEXT) | instid1(VALU_DEP_1)
	v_min_u32_e32 v23, 32, v20
	v_subrev_nc_u32_e32 v20, 28, v23
	s_delay_alu instid0(VALU_DEP_1) | instskip(NEXT) | instid1(VALU_DEP_1)
	v_lshlrev_b64_e32 v[20:21], v20, v[52:53]
	v_dual_sub_nc_u32 v23, 29, v23 :: v_dual_bitop2_b32 v20, 7, v20 bitop3:0x40
; %bb.10913:                            ;   in Loop: Header=BB6_10302 Depth=2
	s_or_b32 exec_lo, exec_lo, s42
	s_delay_alu instid0(VALU_DEP_1) | instskip(NEXT) | instid1(VALU_DEP_2)
	v_dual_lshlrev_b32 v21, 24, v22 :: v_dual_lshlrev_b32 v20, 20, v20
	v_lshl_add_u32 v22, v23, 23, 0x3c000000
	s_delay_alu instid0(VALU_DEP_2) | instskip(NEXT) | instid1(VALU_DEP_1)
	v_and_b32_e32 v21, 0x80000000, v21
	v_or3_b32 v21, v20, v21, v22
.LBB6_10914:                            ;   in Loop: Header=BB6_10302 Depth=2
	s_or_b32 exec_lo, exec_lo, s41
.LBB6_10915:                            ;   in Loop: Header=BB6_10302 Depth=2
	s_delay_alu instid0(SALU_CYCLE_1)
	s_or_b32 exec_lo, exec_lo, s11
.LBB6_10916:                            ;   in Loop: Header=BB6_10302 Depth=2
	s_delay_alu instid0(SALU_CYCLE_1) | instskip(SKIP_3) | instid1(VALU_DEP_3)
	s_or_b32 exec_lo, exec_lo, s10
	v_lshrrev_b32_e32 v20, 24, v11
	v_bfe_u32 v22, v11, 24, 7
	v_cmp_gt_u64_e64 s11, s[14:15], v[10:11]
	v_cmp_eq_u32_e64 s10, 0x80, v20
	s_delay_alu instid0(VALU_DEP_3) | instskip(NEXT) | instid1(VALU_DEP_2)
	v_cmp_eq_u32_e32 vcc_lo, 0x7f, v22
	v_cndmask_b32_e64 v23, 0x7f800001, v119, s10
	s_or_b32 s10, s10, vcc_lo
	s_delay_alu instid0(VALU_DEP_1) | instskip(SKIP_1) | instid1(SALU_CYCLE_1)
	v_cndmask_b32_e64 v10, v23, 0, s11
	s_nor_b32 s11, s11, s10
	s_and_saveexec_b32 s10, s11
	s_cbranch_execz .LBB6_10918
; %bb.10917:                            ;   in Loop: Header=BB6_10302 Depth=2
	v_and_b32_e32 v23, 7, v20
	v_cmp_gt_u32_e32 vcc_lo, 8, v22
	s_delay_alu instid0(VALU_DEP_2) | instskip(NEXT) | instid1(VALU_DEP_1)
	v_clz_i32_u32_e32 v10, v23
	v_min_u32_e32 v35, 32, v10
	s_delay_alu instid0(VALU_DEP_1) | instskip(NEXT) | instid1(VALU_DEP_1)
	v_subrev_nc_u32_e32 v10, 28, v35
	v_lshlrev_b64_e32 v[10:11], v10, v[20:21]
	v_dual_lshrrev_b32 v11, 3, v22 :: v_dual_sub_nc_u32 v35, 29, v35
	s_delay_alu instid0(VALU_DEP_2) | instskip(NEXT) | instid1(VALU_DEP_2)
	v_dual_lshlrev_b32 v20, 24, v20 :: v_dual_bitop2_b32 v10, 7, v10 bitop3:0x40
	v_cndmask_b32_e32 v11, v11, v35, vcc_lo
	s_delay_alu instid0(VALU_DEP_2) | instskip(NEXT) | instid1(VALU_DEP_3)
	v_cndmask_b32_e32 v10, v23, v10, vcc_lo
	v_and_b32_e32 v20, 0x80000000, v20
	s_delay_alu instid0(VALU_DEP_3) | instskip(NEXT) | instid1(VALU_DEP_3)
	v_lshl_add_u32 v11, v11, 23, 0x3c000000
	v_lshlrev_b32_e32 v10, 20, v10
	s_delay_alu instid0(VALU_DEP_1)
	v_or3_b32 v10, v10, v20, v11
.LBB6_10918:                            ;   in Loop: Header=BB6_10302 Depth=2
	s_or_b32 exec_lo, exec_lo, s10
	s_delay_alu instid0(VALU_DEP_1) | instskip(SKIP_1) | instid1(VALU_DEP_1)
	v_add_f32_e32 v10, v21, v10
                                        ; implicit-def: $vgpr35
	s_mov_b32 s10, exec_lo
	v_and_b32_e32 v52, 0x7f800000, v10
	v_lshrrev_b32_e32 v11, 24, v10
	s_delay_alu instid0(VALU_DEP_2)
	v_cmpx_ne_u64_e32 0x7f800000, v[52:53]
	s_xor_b32 s11, exec_lo, s10
	s_cbranch_execz .LBB6_10932
; %bb.10919:                            ;   in Loop: Header=BB6_10302 Depth=2
	v_and_b32_e32 v52, 0x7fffffff, v10
	v_and_b32_e32 v22, 0x80, v11
                                        ; implicit-def: $vgpr35
	s_mov_b32 s10, exec_lo
	s_delay_alu instid0(VALU_DEP_2)
	v_cmpx_gt_u64_e32 0x43e00001, v[52:53]
	s_xor_b32 s41, exec_lo, s10
	s_cbranch_execz .LBB6_10929
; %bb.10920:                            ;   in Loop: Header=BB6_10302 Depth=2
	v_mov_b32_e32 v35, 0
	s_mov_b32 s42, exec_lo
	v_cmpx_ne_u32_e32 0, v10
	s_cbranch_execz .LBB6_10928
; %bb.10921:                            ;   in Loop: Header=BB6_10302 Depth=2
	v_bfe_u32 v23, v10, 23, 8
	v_and_b32_e32 v20, 0x7fffff, v10
	s_delay_alu instid0(VALU_DEP_2) | instskip(NEXT) | instid1(VALU_DEP_2)
	v_cmp_gt_u32_e32 vcc_lo, 0x7a, v23
	v_or_b32_e32 v21, 0x800000, v20
	v_sub_nc_u32_e32 v11, 0x79, v23
	s_delay_alu instid0(VALU_DEP_1) | instskip(SKIP_1) | instid1(VALU_DEP_2)
	v_cndmask_b32_e32 v11, 0, v11, vcc_lo
	v_cmp_eq_u32_e32 vcc_lo, 0, v23
	v_cndmask_b32_e64 v35, v11, 0x78, vcc_lo
	s_delay_alu instid0(VALU_DEP_1) | instskip(SKIP_1) | instid1(VALU_DEP_2)
	v_dual_cndmask_b32 v52, v21, v20, vcc_lo :: v_dual_add_nc_u32 v10, 20, v35
	v_add_nc_u32_e32 v36, 19, v35
	v_lshlrev_b64_e64 v[10:11], v10, -1
	s_delay_alu instid0(VALU_DEP_2) | instskip(NEXT) | instid1(VALU_DEP_2)
	v_lshlrev_b64_e64 v[20:21], v36, 1
	v_bfi_b32 v37, v11, 0, 0
	s_delay_alu instid0(VALU_DEP_3) | instskip(SKIP_1) | instid1(VALU_DEP_2)
	v_bfi_b32 v36, v10, 0, v52
	v_lshrrev_b64 v[10:11], v35, v[52:53]
	v_cmp_eq_u64_e64 s10, v[36:37], v[20:21]
	s_delay_alu instid0(VALU_DEP_2)
	v_mov_b64_e32 v[20:21], v[10:11]
	s_and_saveexec_b32 s43, s10
; %bb.10922:                            ;   in Loop: Header=BB6_10302 Depth=2
	v_bfe_u32 v52, v10, 20, 1
	s_delay_alu instid0(VALU_DEP_1) | instskip(NEXT) | instid1(VALU_DEP_1)
	v_add_nc_u64_e32 v[20:21], v[10:11], v[52:53]
	v_add_nc_u64_e32 v[20:21], -1, v[20:21]
; %bb.10923:                            ;   in Loop: Header=BB6_10302 Depth=2
	s_or_b32 exec_lo, exec_lo, s43
	v_add_nc_u32_e32 v11, 0xffffff81, v23
	v_lshrrev_b32_e32 v21, 23, v10
	s_mov_b32 s10, exec_lo
	s_delay_alu instid0(VALU_DEP_2) | instskip(NEXT) | instid1(VALU_DEP_1)
	v_cndmask_b32_e64 v11, v11, 0xffffff82, vcc_lo
	v_add3_u32 v21, v35, v11, v21
	v_and_b32_e32 v11, 0xfffff, v20
                                        ; implicit-def: $vgpr20
	s_delay_alu instid0(VALU_DEP_1) | instskip(NEXT) | instid1(VALU_DEP_1)
	v_dual_add_nc_u32 v23, 6, v21 :: v_dual_add_nc_u32 v52, v11, v10
                                        ; implicit-def: $vgpr10_vgpr11
	v_cmpx_ne_u32_e32 0, v23
	s_xor_b32 s10, exec_lo, s10
; %bb.10924:                            ;   in Loop: Header=BB6_10302 Depth=2
	s_delay_alu instid0(VALU_DEP_2) | instskip(SKIP_1) | instid1(VALU_DEP_1)
	v_cmp_lt_u64_e32 vcc_lo, 0xffffff, v[52:53]
	v_add_nc_u32_e32 v10, 7, v21
	v_cndmask_b32_e32 v20, v23, v10, vcc_lo
	v_cndmask_b32_e64 v10, 0, 1, vcc_lo
	s_delay_alu instid0(VALU_DEP_1)
	v_lshrrev_b64 v[10:11], v10, v[52:53]
; %bb.10925:                            ;   in Loop: Header=BB6_10302 Depth=2
	s_and_not1_saveexec_b32 s10, s10
; %bb.10926:                            ;   in Loop: Header=BB6_10302 Depth=2
	v_mov_b64_e32 v[10:11], v[52:53]
	v_bfe_u32 v20, v52, 23, 1
; %bb.10927:                            ;   in Loop: Header=BB6_10302 Depth=2
	s_or_b32 exec_lo, exec_lo, s10
	s_delay_alu instid0(VALU_DEP_2) | instskip(NEXT) | instid1(VALU_DEP_2)
	v_lshrrev_b64 v[10:11], 20, v[10:11]
	v_cmp_gt_i32_e32 vcc_lo, 16, v20
	v_min_i32_e32 v21, 15, v20
	v_cmp_eq_u32_e64 s10, 0, v20
	s_delay_alu instid0(VALU_DEP_2) | instskip(SKIP_1) | instid1(VALU_DEP_2)
	v_dual_cndmask_b32 v11, 0, v11, vcc_lo :: v_dual_lshlrev_b32 v21, 3, v21
	v_cndmask_b32_e32 v10, 7, v10, vcc_lo
	v_and_b32_e32 v21, 0xf8, v21
	s_delay_alu instid0(VALU_DEP_2) | instskip(NEXT) | instid1(VALU_DEP_2)
	v_cmp_eq_u64_e32 vcc_lo, 0, v[10:11]
	v_and_or_b32 v10, v10, 7, v21
	s_and_b32 s10, s10, vcc_lo
	s_delay_alu instid0(VALU_DEP_1) | instid1(SALU_CYCLE_1)
	v_cndmask_b32_e64 v10, v10, 0, s10
	s_delay_alu instid0(VALU_DEP_1)
	v_or_b32_e32 v35, v10, v22
.LBB6_10928:                            ;   in Loop: Header=BB6_10302 Depth=2
	s_or_b32 exec_lo, exec_lo, s42
                                        ; implicit-def: $vgpr22
.LBB6_10929:                            ;   in Loop: Header=BB6_10302 Depth=2
	s_and_not1_saveexec_b32 s10, s41
; %bb.10930:                            ;   in Loop: Header=BB6_10302 Depth=2
	v_or_b32_e32 v35, 0x7e, v22
; %bb.10931:                            ;   in Loop: Header=BB6_10302 Depth=2
	s_or_b32 exec_lo, exec_lo, s10
                                        ; implicit-def: $vgpr11
.LBB6_10932:                            ;   in Loop: Header=BB6_10302 Depth=2
	s_and_not1_saveexec_b32 s10, s11
; %bb.10933:                            ;   in Loop: Header=BB6_10302 Depth=2
	v_or_b32_e32 v35, 0x7f, v11
; %bb.10934:                            ;   in Loop: Header=BB6_10302 Depth=2
	s_or_b32 exec_lo, exec_lo, s10
	v_lshl_or_b32 v22, v27, 8, v8
	v_dual_lshlrev_b32 v10, 16, v30 :: v_dual_lshlrev_b32 v11, 24, v31
	s_mov_b32 s10, exec_lo
	s_delay_alu instid0(VALU_DEP_1)
	v_or3_b32 v52, v10, v11, v22
	v_mov_b32_e32 v10, 0
	v_cmpx_ne_u32_e32 0, v8
	s_cbranch_execz .LBB6_10940
; %bb.10935:                            ;   in Loop: Header=BB6_10302 Depth=2
	v_bfrev_b32_e32 v10, 1
	s_mov_b32 s11, exec_lo
	v_cmpx_ne_u32_e32 0x80, v8
	s_cbranch_execz .LBB6_10939
; %bb.10936:                            ;   in Loop: Header=BB6_10302 Depth=2
	v_and_b32_e32 v11, 0x7f, v8
	v_mov_b32_e32 v10, 0x7f800001
	s_mov_b32 s41, exec_lo
	s_delay_alu instid0(VALU_DEP_2)
	v_cmpx_ne_u32_e32 0x7f, v11
	s_cbranch_execz .LBB6_10938
; %bb.10937:                            ;   in Loop: Header=BB6_10302 Depth=2
	v_dual_lshrrev_b32 v10, 3, v11 :: v_dual_bitop2_b32 v8, 7, v8 bitop3:0x40
	v_cmp_gt_u32_e32 vcc_lo, 8, v11
	s_delay_alu instid0(VALU_DEP_2) | instskip(NEXT) | instid1(VALU_DEP_1)
	v_clz_i32_u32_e32 v8, v8
	v_min_u32_e32 v8, 32, v8
	s_delay_alu instid0(VALU_DEP_1) | instskip(SKIP_1) | instid1(VALU_DEP_1)
	v_subrev_nc_u32_e32 v20, 28, v8
	v_sub_nc_u32_e32 v8, 29, v8
	v_cndmask_b32_e32 v8, v10, v8, vcc_lo
	s_delay_alu instid0(VALU_DEP_3) | instskip(NEXT) | instid1(VALU_DEP_2)
	v_cndmask_b32_e32 v10, 0, v20, vcc_lo
	v_lshl_add_u32 v8, v8, 23, 0x3c000000
	s_delay_alu instid0(VALU_DEP_2) | instskip(SKIP_1) | instid1(VALU_DEP_1)
	v_lshlrev_b64_e32 v[10:11], v10, v[52:53]
	v_lshlrev_b32_e32 v11, 24, v52
	v_and_b32_e32 v11, 0x80000000, v11
	s_delay_alu instid0(VALU_DEP_3) | instskip(NEXT) | instid1(VALU_DEP_1)
	v_lshlrev_b32_e32 v10, 20, v10
	v_and_b32_e32 v10, 0x700000, v10
	s_delay_alu instid0(VALU_DEP_1)
	v_or3_b32 v10, v10, v11, v8
.LBB6_10938:                            ;   in Loop: Header=BB6_10302 Depth=2
	s_or_b32 exec_lo, exec_lo, s41
.LBB6_10939:                            ;   in Loop: Header=BB6_10302 Depth=2
	s_delay_alu instid0(SALU_CYCLE_1)
	s_or_b32 exec_lo, exec_lo, s11
.LBB6_10940:                            ;   in Loop: Header=BB6_10302 Depth=2
	s_delay_alu instid0(SALU_CYCLE_1) | instskip(SKIP_3) | instid1(VALU_DEP_1)
	s_or_b32 exec_lo, exec_lo, s10
	v_and_b32_e32 v11, 0xff, v12
	s_mov_b32 s10, 0
	s_mov_b32 s11, exec_lo
	v_cmpx_lt_i16_e32 0x7f, v11
	s_xor_b32 s11, exec_lo, s11
	s_cbranch_execnz .LBB6_10971
; %bb.10941:                            ;   in Loop: Header=BB6_10302 Depth=2
	s_or_saveexec_b32 s11, s11
	v_bfrev_b32_e32 v8, 1
	s_xor_b32 exec_lo, exec_lo, s11
	s_cbranch_execnz .LBB6_10974
.LBB6_10942:                            ;   in Loop: Header=BB6_10302 Depth=2
	s_or_b32 exec_lo, exec_lo, s11
	s_and_saveexec_b32 s11, s10
	s_cbranch_execz .LBB6_10944
.LBB6_10943:                            ;   in Loop: Header=BB6_10302 Depth=2
	v_and_b32_e32 v11, 0x7f, v12
	v_bfe_u32 v20, v12, 3, 4
	s_delay_alu instid0(VALU_DEP_2) | instskip(SKIP_1) | instid1(VALU_DEP_1)
	v_cmp_gt_u32_e32 vcc_lo, 8, v11
	v_and_b32_e32 v8, 7, v12
	v_clz_i32_u32_e32 v8, v8
	s_delay_alu instid0(VALU_DEP_1) | instskip(NEXT) | instid1(VALU_DEP_1)
	v_min_u32_e32 v8, 32, v8
	v_subrev_nc_u32_e32 v21, 28, v8
	v_sub_nc_u32_e32 v8, 29, v8
	s_delay_alu instid0(VALU_DEP_1) | instskip(SKIP_1) | instid1(VALU_DEP_2)
	v_dual_cndmask_b32 v8, v20, v8, vcc_lo :: v_dual_cndmask_b32 v20, 0, v21, vcc_lo
	v_cmp_ne_u32_e32 vcc_lo, 0x7f, v11
	v_lshl_add_u32 v8, v8, 23, 0x3c000000
	s_delay_alu instid0(VALU_DEP_3) | instskip(SKIP_1) | instid1(VALU_DEP_1)
	v_lshlrev_b64_e32 v[20:21], v20, v[12:13]
	v_lshlrev_b32_e32 v21, 24, v12
	v_and_b32_e32 v21, 0x80000000, v21
	s_delay_alu instid0(VALU_DEP_3) | instskip(NEXT) | instid1(VALU_DEP_1)
	v_lshlrev_b32_e32 v20, 20, v20
	v_and_b32_e32 v20, 0x700000, v20
	s_delay_alu instid0(VALU_DEP_1) | instskip(NEXT) | instid1(VALU_DEP_1)
	v_or3_b32 v8, v20, v21, v8
	v_cndmask_b32_e32 v8, 0x7f800001, v8, vcc_lo
.LBB6_10944:                            ;   in Loop: Header=BB6_10302 Depth=2
	s_or_b32 exec_lo, exec_lo, s11
	s_delay_alu instid0(VALU_DEP_1) | instskip(SKIP_1) | instid1(VALU_DEP_1)
	v_dual_add_f32 v10, v10, v8 :: v_dual_mov_b32 v21, v53
                                        ; implicit-def: $vgpr8
	s_mov_b32 s10, exec_lo
	v_and_b32_e32 v20, 0x7f800000, v10
	v_lshrrev_b32_e32 v11, 24, v10
	s_delay_alu instid0(VALU_DEP_2)
	v_cmpx_ne_u64_e32 0x7f800000, v[20:21]
	s_xor_b32 s11, exec_lo, s10
	s_cbranch_execz .LBB6_10958
; %bb.10945:                            ;   in Loop: Header=BB6_10302 Depth=2
	v_and_b32_e32 v20, 0x7fffffff, v10
	v_mov_b32_e32 v21, v53
	v_and_b32_e32 v23, 0x80, v11
                                        ; implicit-def: $vgpr8
	s_mov_b32 s10, exec_lo
	s_delay_alu instid0(VALU_DEP_2)
	v_cmpx_gt_u64_e32 0x43e00001, v[20:21]
	s_xor_b32 s41, exec_lo, s10
	s_cbranch_execz .LBB6_10955
; %bb.10946:                            ;   in Loop: Header=BB6_10302 Depth=2
	v_mov_b32_e32 v8, 0
	s_mov_b32 s42, exec_lo
	v_cmpx_ne_u32_e32 0, v10
	s_cbranch_execz .LBB6_10954
; %bb.10947:                            ;   in Loop: Header=BB6_10302 Depth=2
	v_bfe_u32 v8, v10, 23, 8
	v_and_b32_e32 v20, 0x7fffff, v10
	s_mov_b32 s43, exec_lo
	s_delay_alu instid0(VALU_DEP_2) | instskip(SKIP_1) | instid1(VALU_DEP_3)
	v_sub_nc_u32_e32 v11, 0x79, v8
	v_cmp_gt_u32_e32 vcc_lo, 0x7a, v8
	v_or_b32_e32 v21, 0x800000, v20
	s_delay_alu instid0(VALU_DEP_3) | instskip(SKIP_1) | instid1(VALU_DEP_3)
	v_cndmask_b32_e32 v11, 0, v11, vcc_lo
	v_cmp_eq_u32_e32 vcc_lo, 0, v8
	v_cndmask_b32_e32 v20, v21, v20, vcc_lo
	s_delay_alu instid0(VALU_DEP_3) | instskip(NEXT) | instid1(VALU_DEP_1)
	v_cndmask_b32_e64 v27, v11, 0x78, vcc_lo
	v_dual_mov_b32 v21, v53 :: v_dual_add_nc_u32 v10, 20, v27
	v_add_nc_u32_e32 v30, 19, v27
	s_delay_alu instid0(VALU_DEP_2) | instskip(NEXT) | instid1(VALU_DEP_2)
	v_lshlrev_b64_e64 v[10:11], v10, -1
	v_lshlrev_b64_e64 v[30:31], v30, 1
	s_delay_alu instid0(VALU_DEP_2) | instskip(NEXT) | instid1(VALU_DEP_3)
	v_bfi_b32 v37, v11, 0, 0
	v_bfi_b32 v36, v10, 0, v20
	v_lshrrev_b64 v[10:11], v27, v[20:21]
	s_delay_alu instid0(VALU_DEP_1) | instskip(NEXT) | instid1(VALU_DEP_3)
	v_mov_b64_e32 v[20:21], v[10:11]
	v_cmpx_eq_u64_e64 v[36:37], v[30:31]
; %bb.10948:                            ;   in Loop: Header=BB6_10302 Depth=2
	v_bfe_u32 v20, v10, 20, 1
	v_mov_b32_e32 v21, v53
	s_delay_alu instid0(VALU_DEP_1) | instskip(NEXT) | instid1(VALU_DEP_1)
	v_add_nc_u64_e32 v[20:21], v[10:11], v[20:21]
	v_add_nc_u64_e32 v[20:21], -1, v[20:21]
; %bb.10949:                            ;   in Loop: Header=BB6_10302 Depth=2
	s_or_b32 exec_lo, exec_lo, s43
	v_add_nc_u32_e32 v8, 0xffffff81, v8
	v_lshrrev_b32_e32 v11, 23, v10
	s_mov_b32 s10, exec_lo
	s_delay_alu instid0(VALU_DEP_2) | instskip(NEXT) | instid1(VALU_DEP_1)
	v_cndmask_b32_e64 v8, v8, 0xffffff82, vcc_lo
	v_add3_u32 v21, v27, v8, v11
	v_and_b32_e32 v8, 0xfffff, v20
	s_delay_alu instid0(VALU_DEP_2) | instskip(NEXT) | instid1(VALU_DEP_2)
	v_dual_mov_b32 v11, v53 :: v_dual_add_nc_u32 v20, 6, v21
	v_add_nc_u32_e32 v10, v8, v10
                                        ; implicit-def: $vgpr8
	s_delay_alu instid0(VALU_DEP_2)
	v_cmpx_ne_u32_e32 0, v20
	s_xor_b32 s10, exec_lo, s10
; %bb.10950:                            ;   in Loop: Header=BB6_10302 Depth=2
	s_delay_alu instid0(VALU_DEP_2) | instskip(SKIP_1) | instid1(VALU_DEP_1)
	v_cmp_lt_u64_e32 vcc_lo, 0xffffff, v[10:11]
	v_add_nc_u32_e32 v8, 7, v21
	v_cndmask_b32_e32 v8, v20, v8, vcc_lo
	v_cndmask_b32_e64 v20, 0, 1, vcc_lo
	s_delay_alu instid0(VALU_DEP_1)
	v_lshrrev_b64 v[10:11], v20, v[10:11]
; %bb.10951:                            ;   in Loop: Header=BB6_10302 Depth=2
	s_and_not1_saveexec_b32 s10, s10
; %bb.10952:                            ;   in Loop: Header=BB6_10302 Depth=2
	s_delay_alu instid0(VALU_DEP_1)
	v_bfe_u32 v8, v10, 23, 1
; %bb.10953:                            ;   in Loop: Header=BB6_10302 Depth=2
	s_or_b32 exec_lo, exec_lo, s10
	s_delay_alu instid0(VALU_DEP_2) | instskip(NEXT) | instid1(VALU_DEP_2)
	v_lshrrev_b64 v[10:11], 20, v[10:11]
	v_cmp_gt_i32_e32 vcc_lo, 16, v8
	v_min_i32_e32 v20, 15, v8
	v_cmp_eq_u32_e64 s10, 0, v8
	s_delay_alu instid0(VALU_DEP_2) | instskip(SKIP_1) | instid1(VALU_DEP_2)
	v_dual_cndmask_b32 v11, 0, v11 :: v_dual_lshlrev_b32 v20, 3, v20
	v_cndmask_b32_e32 v10, 7, v10, vcc_lo
	v_and_b32_e32 v20, 0xf8, v20
	s_delay_alu instid0(VALU_DEP_2) | instskip(NEXT) | instid1(VALU_DEP_2)
	v_cmp_eq_u64_e32 vcc_lo, 0, v[10:11]
	v_and_or_b32 v8, v10, 7, v20
	s_and_b32 s10, s10, vcc_lo
	s_delay_alu instid0(VALU_DEP_1) | instid1(SALU_CYCLE_1)
	v_cndmask_b32_e64 v8, v8, 0, s10
	s_delay_alu instid0(VALU_DEP_1)
	v_or_b32_e32 v8, v8, v23
.LBB6_10954:                            ;   in Loop: Header=BB6_10302 Depth=2
	s_or_b32 exec_lo, exec_lo, s42
                                        ; implicit-def: $vgpr23
.LBB6_10955:                            ;   in Loop: Header=BB6_10302 Depth=2
	s_and_not1_saveexec_b32 s10, s41
; %bb.10956:                            ;   in Loop: Header=BB6_10302 Depth=2
	v_or_b32_e32 v8, 0x7e, v23
; %bb.10957:                            ;   in Loop: Header=BB6_10302 Depth=2
	s_or_b32 exec_lo, exec_lo, s10
                                        ; implicit-def: $vgpr11
.LBB6_10958:                            ;   in Loop: Header=BB6_10302 Depth=2
	s_and_not1_saveexec_b32 s10, s11
; %bb.10959:                            ;   in Loop: Header=BB6_10302 Depth=2
	v_or_b32_e32 v8, 0x7f, v11
; %bb.10960:                            ;   in Loop: Header=BB6_10302 Depth=2
	s_or_b32 exec_lo, exec_lo, s10
	v_lshrrev_b16 v10, 8, v22
	v_mov_b32_e32 v11, 0
	s_mov_b32 s10, exec_lo
	s_delay_alu instid0(VALU_DEP_2)
	v_cmpx_ne_u16_e32 0, v10
	s_cbranch_execz .LBB6_10968
; %bb.10961:                            ;   in Loop: Header=BB6_10302 Depth=2
	v_bfrev_b32_e32 v11, 1
	s_mov_b32 s11, exec_lo
	v_cmpx_ne_u16_e32 0x80, v10
	s_cbranch_execz .LBB6_10967
; %bb.10962:                            ;   in Loop: Header=BB6_10302 Depth=2
	v_and_b32_e32 v10, 0xffff, v10
	v_mov_b32_e32 v11, 0x7f800001
	s_mov_b32 s41, exec_lo
	s_delay_alu instid0(VALU_DEP_2) | instskip(NEXT) | instid1(VALU_DEP_1)
	v_and_b32_e32 v21, 0x7f, v10
	v_cmpx_ne_u32_e32 0x7f, v21
	s_cbranch_execz .LBB6_10966
; %bb.10963:                            ;   in Loop: Header=BB6_10302 Depth=2
	v_dual_mov_b32 v11, v53 :: v_dual_bitop2_b32 v10, 7, v10 bitop3:0x40
	v_lshrrev_b32_e32 v20, 3, v21
	s_mov_b32 s42, exec_lo
	v_cmpx_gt_u32_e32 8, v21
; %bb.10964:                            ;   in Loop: Header=BB6_10302 Depth=2
	s_delay_alu instid0(VALU_DEP_3) | instskip(NEXT) | instid1(VALU_DEP_1)
	v_clz_i32_u32_e32 v20, v10
	v_min_u32_e32 v20, 32, v20
	s_delay_alu instid0(VALU_DEP_1) | instskip(NEXT) | instid1(VALU_DEP_1)
	v_subrev_nc_u32_e32 v21, 28, v20
	v_lshlrev_b64_e32 v[10:11], v21, v[10:11]
	s_delay_alu instid0(VALU_DEP_1)
	v_dual_sub_nc_u32 v20, 29, v20 :: v_dual_bitop2_b32 v10, 7, v10 bitop3:0x40
; %bb.10965:                            ;   in Loop: Header=BB6_10302 Depth=2
	s_or_b32 exec_lo, exec_lo, s42
	v_lshlrev_b32_e32 v11, 16, v22
	s_delay_alu instid0(VALU_DEP_2) | instskip(NEXT) | instid1(VALU_DEP_3)
	v_lshlrev_b32_e32 v10, 20, v10
	v_lshl_add_u32 v20, v20, 23, 0x3c000000
	s_delay_alu instid0(VALU_DEP_3) | instskip(NEXT) | instid1(VALU_DEP_1)
	v_and_b32_e32 v11, 0x80000000, v11
	v_or3_b32 v11, v10, v11, v20
.LBB6_10966:                            ;   in Loop: Header=BB6_10302 Depth=2
	s_or_b32 exec_lo, exec_lo, s41
.LBB6_10967:                            ;   in Loop: Header=BB6_10302 Depth=2
	s_delay_alu instid0(SALU_CYCLE_1)
	s_or_b32 exec_lo, exec_lo, s11
.LBB6_10968:                            ;   in Loop: Header=BB6_10302 Depth=2
	s_delay_alu instid0(SALU_CYCLE_1) | instskip(SKIP_3) | instid1(VALU_DEP_1)
	s_or_b32 exec_lo, exec_lo, s10
	v_lshrrev_b16 v20, 8, v12
	s_mov_b32 s11, 0
	s_mov_b32 s10, exec_lo
	v_cmpx_lt_i16_e32 0x7f, v20
	s_xor_b32 s10, exec_lo, s10
	s_cbranch_execnz .LBB6_10975
; %bb.10969:                            ;   in Loop: Header=BB6_10302 Depth=2
	s_or_saveexec_b32 s10, s10
	v_bfrev_b32_e32 v21, 1
	s_xor_b32 exec_lo, exec_lo, s10
	s_cbranch_execnz .LBB6_10978
.LBB6_10970:                            ;   in Loop: Header=BB6_10302 Depth=2
	s_or_b32 exec_lo, exec_lo, s10
	s_and_saveexec_b32 s10, s11
	s_cbranch_execnz .LBB6_10979
	s_branch .LBB6_10982
.LBB6_10971:                            ;   in Loop: Header=BB6_10302 Depth=2
	s_mov_b32 s10, -1
	s_mov_b32 s41, exec_lo
	v_cmpx_eq_u16_e32 0x80, v11
; %bb.10972:                            ;   in Loop: Header=BB6_10302 Depth=2
	s_xor_b32 s10, exec_lo, -1
; %bb.10973:                            ;   in Loop: Header=BB6_10302 Depth=2
	s_or_b32 exec_lo, exec_lo, s41
	s_delay_alu instid0(SALU_CYCLE_1)
	s_and_b32 s10, s10, exec_lo
                                        ; implicit-def: $vgpr11
	s_or_saveexec_b32 s11, s11
	v_bfrev_b32_e32 v8, 1
	s_xor_b32 exec_lo, exec_lo, s11
	s_cbranch_execz .LBB6_10942
.LBB6_10974:                            ;   in Loop: Header=BB6_10302 Depth=2
	v_cmp_ne_u16_e32 vcc_lo, 0, v11
	v_mov_b32_e32 v8, 0
	s_and_not1_b32 s10, s10, exec_lo
	s_and_b32 s41, vcc_lo, exec_lo
	s_delay_alu instid0(SALU_CYCLE_1)
	s_or_b32 s10, s10, s41
	s_or_b32 exec_lo, exec_lo, s11
	s_and_saveexec_b32 s11, s10
	s_cbranch_execnz .LBB6_10943
	s_branch .LBB6_10944
.LBB6_10975:                            ;   in Loop: Header=BB6_10302 Depth=2
	s_mov_b32 s11, -1
	s_mov_b32 s41, exec_lo
	v_cmpx_eq_u16_e32 0x80, v20
; %bb.10976:                            ;   in Loop: Header=BB6_10302 Depth=2
	s_xor_b32 s11, exec_lo, -1
; %bb.10977:                            ;   in Loop: Header=BB6_10302 Depth=2
	s_or_b32 exec_lo, exec_lo, s41
	s_delay_alu instid0(SALU_CYCLE_1)
	s_and_b32 s11, s11, exec_lo
	s_or_saveexec_b32 s10, s10
	v_bfrev_b32_e32 v21, 1
	s_xor_b32 exec_lo, exec_lo, s10
	s_cbranch_execz .LBB6_10970
.LBB6_10978:                            ;   in Loop: Header=BB6_10302 Depth=2
	v_cmp_ne_u16_e32 vcc_lo, 0, v20
	v_mov_b32_e32 v21, 0
	s_and_not1_b32 s11, s11, exec_lo
	s_and_b32 s41, vcc_lo, exec_lo
	s_delay_alu instid0(SALU_CYCLE_1)
	s_or_b32 s11, s11, s41
	s_or_b32 exec_lo, exec_lo, s10
	s_and_saveexec_b32 s10, s11
	s_cbranch_execz .LBB6_10982
.LBB6_10979:                            ;   in Loop: Header=BB6_10302 Depth=2
	v_and_b32_e32 v10, 0xffff, v20
	v_mov_b32_e32 v21, 0x7f800001
	s_mov_b32 s11, exec_lo
	s_delay_alu instid0(VALU_DEP_2) | instskip(NEXT) | instid1(VALU_DEP_1)
	v_and_b32_e32 v22, 0x7f, v10
	v_cmpx_ne_u32_e32 0x7f, v22
	s_cbranch_execz .LBB6_10981
; %bb.10980:                            ;   in Loop: Header=BB6_10302 Depth=2
	v_and_b32_e32 v21, 7, v10
	v_cmp_gt_u32_e32 vcc_lo, 8, v22
	v_lshlrev_b32_e32 v20, 24, v20
	s_delay_alu instid0(VALU_DEP_3) | instskip(NEXT) | instid1(VALU_DEP_2)
	v_clz_i32_u32_e32 v23, v21
	v_and_b32_e32 v20, 0x80000000, v20
	s_delay_alu instid0(VALU_DEP_2) | instskip(NEXT) | instid1(VALU_DEP_1)
	v_min_u32_e32 v23, 32, v23
	v_subrev_nc_u32_e32 v27, 28, v23
	v_sub_nc_u32_e32 v23, 29, v23
	s_delay_alu instid0(VALU_DEP_2) | instskip(SKIP_1) | instid1(VALU_DEP_1)
	v_lshlrev_b64_e32 v[30:31], v27, v[10:11]
	v_lshrrev_b32_e32 v10, 3, v22
	v_dual_cndmask_b32 v10, v10, v23, vcc_lo :: v_dual_bitop2_b32 v22, 7, v30 bitop3:0x40
	s_delay_alu instid0(VALU_DEP_1) | instskip(NEXT) | instid1(VALU_DEP_2)
	v_lshl_add_u32 v10, v10, 23, 0x3c000000
	v_cndmask_b32_e32 v21, v21, v22, vcc_lo
	s_delay_alu instid0(VALU_DEP_1) | instskip(NEXT) | instid1(VALU_DEP_1)
	v_lshlrev_b32_e32 v21, 20, v21
	v_or3_b32 v21, v21, v20, v10
.LBB6_10981:                            ;   in Loop: Header=BB6_10302 Depth=2
	s_or_b32 exec_lo, exec_lo, s11
.LBB6_10982:                            ;   in Loop: Header=BB6_10302 Depth=2
	s_delay_alu instid0(SALU_CYCLE_1) | instskip(NEXT) | instid1(VALU_DEP_1)
	s_or_b32 exec_lo, exec_lo, s10
	v_dual_add_f32 v10, v11, v21 :: v_dual_mov_b32 v21, v53
                                        ; implicit-def: $vgpr27
	s_mov_b32 s10, exec_lo
	s_delay_alu instid0(VALU_DEP_1) | instskip(SKIP_1) | instid1(VALU_DEP_2)
	v_and_b32_e32 v20, 0x7f800000, v10
	v_lshrrev_b32_e32 v11, 24, v10
	v_cmpx_ne_u64_e32 0x7f800000, v[20:21]
	s_xor_b32 s11, exec_lo, s10
	s_cbranch_execz .LBB6_10996
; %bb.10983:                            ;   in Loop: Header=BB6_10302 Depth=2
	v_and_b32_e32 v20, 0x7fffffff, v10
	v_mov_b32_e32 v21, v53
	v_and_b32_e32 v22, 0x80, v11
                                        ; implicit-def: $vgpr27
	s_mov_b32 s10, exec_lo
	s_delay_alu instid0(VALU_DEP_2)
	v_cmpx_gt_u64_e32 0x43e00001, v[20:21]
	s_xor_b32 s41, exec_lo, s10
	s_cbranch_execz .LBB6_10993
; %bb.10984:                            ;   in Loop: Header=BB6_10302 Depth=2
	v_mov_b32_e32 v27, 0
	s_mov_b32 s42, exec_lo
	v_cmpx_ne_u32_e32 0, v10
	s_cbranch_execz .LBB6_10992
; %bb.10985:                            ;   in Loop: Header=BB6_10302 Depth=2
	v_bfe_u32 v23, v10, 23, 8
	v_and_b32_e32 v20, 0x7fffff, v10
	s_mov_b32 s43, exec_lo
	s_delay_alu instid0(VALU_DEP_2) | instskip(NEXT) | instid1(VALU_DEP_2)
	v_cmp_gt_u32_e32 vcc_lo, 0x7a, v23
	v_or_b32_e32 v21, 0x800000, v20
	v_sub_nc_u32_e32 v11, 0x79, v23
	s_delay_alu instid0(VALU_DEP_1) | instskip(SKIP_1) | instid1(VALU_DEP_4)
	v_cndmask_b32_e32 v11, 0, v11, vcc_lo
	v_cmp_eq_u32_e32 vcc_lo, 0, v23
	v_cndmask_b32_e32 v20, v21, v20, vcc_lo
	v_mov_b32_e32 v21, v53
	s_delay_alu instid0(VALU_DEP_4) | instskip(NEXT) | instid1(VALU_DEP_1)
	v_cndmask_b32_e64 v27, v11, 0x78, vcc_lo
	v_dual_add_nc_u32 v10, 20, v27 :: v_dual_add_nc_u32 v30, 19, v27
	s_delay_alu instid0(VALU_DEP_1) | instskip(NEXT) | instid1(VALU_DEP_2)
	v_lshlrev_b64_e64 v[10:11], v10, -1
	v_lshlrev_b64_e64 v[30:31], v30, 1
	s_delay_alu instid0(VALU_DEP_2) | instskip(NEXT) | instid1(VALU_DEP_3)
	v_bfi_b32 v37, v11, 0, 0
	v_bfi_b32 v36, v10, 0, v20
	v_lshrrev_b64 v[10:11], v27, v[20:21]
	s_delay_alu instid0(VALU_DEP_1) | instskip(NEXT) | instid1(VALU_DEP_3)
	v_mov_b64_e32 v[20:21], v[10:11]
	v_cmpx_eq_u64_e64 v[36:37], v[30:31]
; %bb.10986:                            ;   in Loop: Header=BB6_10302 Depth=2
	v_bfe_u32 v20, v10, 20, 1
	v_mov_b32_e32 v21, v53
	s_delay_alu instid0(VALU_DEP_1) | instskip(NEXT) | instid1(VALU_DEP_1)
	v_add_nc_u64_e32 v[20:21], v[10:11], v[20:21]
	v_add_nc_u64_e32 v[20:21], -1, v[20:21]
; %bb.10987:                            ;   in Loop: Header=BB6_10302 Depth=2
	s_or_b32 exec_lo, exec_lo, s43
	v_add_nc_u32_e32 v11, 0xffffff81, v23
	v_lshrrev_b32_e32 v21, 23, v10
	s_mov_b32 s10, exec_lo
	s_delay_alu instid0(VALU_DEP_2) | instskip(NEXT) | instid1(VALU_DEP_1)
	v_cndmask_b32_e64 v11, v11, 0xffffff82, vcc_lo
	v_add3_u32 v21, v27, v11, v21
	v_and_b32_e32 v11, 0xfffff, v20
                                        ; implicit-def: $vgpr20
	s_delay_alu instid0(VALU_DEP_1) | instskip(SKIP_1) | instid1(VALU_DEP_2)
	v_dual_add_nc_u32 v23, 6, v21 :: v_dual_add_nc_u32 v10, v11, v10
	v_mov_b32_e32 v11, v53
	v_cmpx_ne_u32_e32 0, v23
	s_xor_b32 s10, exec_lo, s10
; %bb.10988:                            ;   in Loop: Header=BB6_10302 Depth=2
	s_delay_alu instid0(VALU_DEP_2) | instskip(SKIP_2) | instid1(VALU_DEP_2)
	v_cmp_lt_u64_e32 vcc_lo, 0xffffff, v[10:11]
	v_add_nc_u32_e32 v20, 7, v21
	v_cndmask_b32_e64 v21, 0, 1, vcc_lo
	v_cndmask_b32_e32 v20, v23, v20, vcc_lo
	s_delay_alu instid0(VALU_DEP_2)
	v_lshrrev_b64 v[10:11], v21, v[10:11]
; %bb.10989:                            ;   in Loop: Header=BB6_10302 Depth=2
	s_and_not1_saveexec_b32 s10, s10
; %bb.10990:                            ;   in Loop: Header=BB6_10302 Depth=2
	s_delay_alu instid0(VALU_DEP_1)
	v_bfe_u32 v20, v10, 23, 1
; %bb.10991:                            ;   in Loop: Header=BB6_10302 Depth=2
	s_or_b32 exec_lo, exec_lo, s10
	s_delay_alu instid0(VALU_DEP_2) | instskip(NEXT) | instid1(VALU_DEP_2)
	v_lshrrev_b64 v[10:11], 20, v[10:11]
	v_cmp_gt_i32_e32 vcc_lo, 16, v20
	v_min_i32_e32 v21, 15, v20
	v_cmp_eq_u32_e64 s10, 0, v20
	s_delay_alu instid0(VALU_DEP_2) | instskip(SKIP_1) | instid1(VALU_DEP_2)
	v_dual_cndmask_b32 v11, 0, v11, vcc_lo :: v_dual_lshlrev_b32 v21, 3, v21
	v_cndmask_b32_e32 v10, 7, v10, vcc_lo
	v_and_b32_e32 v21, 0xf8, v21
	s_delay_alu instid0(VALU_DEP_2) | instskip(NEXT) | instid1(VALU_DEP_2)
	v_cmp_eq_u64_e32 vcc_lo, 0, v[10:11]
	v_and_or_b32 v10, v10, 7, v21
	s_and_b32 s10, s10, vcc_lo
	s_delay_alu instid0(VALU_DEP_1) | instid1(SALU_CYCLE_1)
	v_cndmask_b32_e64 v10, v10, 0, s10
	s_delay_alu instid0(VALU_DEP_1)
	v_or_b32_e32 v27, v10, v22
.LBB6_10992:                            ;   in Loop: Header=BB6_10302 Depth=2
	s_or_b32 exec_lo, exec_lo, s42
                                        ; implicit-def: $vgpr22
.LBB6_10993:                            ;   in Loop: Header=BB6_10302 Depth=2
	s_and_not1_saveexec_b32 s10, s41
; %bb.10994:                            ;   in Loop: Header=BB6_10302 Depth=2
	v_or_b32_e32 v27, 0x7e, v22
; %bb.10995:                            ;   in Loop: Header=BB6_10302 Depth=2
	s_or_b32 exec_lo, exec_lo, s10
                                        ; implicit-def: $vgpr11
.LBB6_10996:                            ;   in Loop: Header=BB6_10302 Depth=2
	s_and_not1_saveexec_b32 s10, s11
; %bb.10997:                            ;   in Loop: Header=BB6_10302 Depth=2
	v_or_b32_e32 v27, 0x7f, v11
; %bb.10998:                            ;   in Loop: Header=BB6_10302 Depth=2
	s_or_b32 exec_lo, exec_lo, s10
	v_dual_mov_b32 v11, 0 :: v_dual_lshrrev_b32 v20, 16, v52
	s_mov_b32 s10, exec_lo
	s_delay_alu instid0(VALU_DEP_1) | instskip(NEXT) | instid1(VALU_DEP_1)
	v_and_b32_e32 v10, 0xff, v20
	v_cmpx_ne_u16_e32 0, v10
	s_cbranch_execz .LBB6_11006
; %bb.10999:                            ;   in Loop: Header=BB6_10302 Depth=2
	v_bfrev_b32_e32 v11, 1
	s_mov_b32 s11, exec_lo
	v_cmpx_ne_u16_e32 0x80, v10
	s_cbranch_execz .LBB6_11005
; %bb.11000:                            ;   in Loop: Header=BB6_10302 Depth=2
	v_bfe_u32 v22, v52, 16, 7
	v_mov_b32_e32 v11, 0x7f800001
	s_mov_b32 s41, exec_lo
	s_delay_alu instid0(VALU_DEP_2)
	v_cmpx_ne_u32_e32 0x7f, v22
	s_cbranch_execz .LBB6_11004
; %bb.11001:                            ;   in Loop: Header=BB6_10302 Depth=2
	v_dual_mov_b32 v11, v53 :: v_dual_bitop2_b32 v10, 7, v20 bitop3:0x40
	v_lshrrev_b32_e32 v21, 3, v22
	s_mov_b32 s42, exec_lo
	v_cmpx_gt_u32_e32 8, v22
; %bb.11002:                            ;   in Loop: Header=BB6_10302 Depth=2
	s_delay_alu instid0(VALU_DEP_3) | instskip(NEXT) | instid1(VALU_DEP_1)
	v_clz_i32_u32_e32 v21, v10
	v_min_u32_e32 v21, 32, v21
	s_delay_alu instid0(VALU_DEP_1) | instskip(NEXT) | instid1(VALU_DEP_1)
	v_subrev_nc_u32_e32 v22, 28, v21
	v_lshlrev_b64_e32 v[10:11], v22, v[10:11]
	s_delay_alu instid0(VALU_DEP_1)
	v_dual_sub_nc_u32 v21, 29, v21 :: v_dual_bitop2_b32 v10, 7, v10 bitop3:0x40
; %bb.11003:                            ;   in Loop: Header=BB6_10302 Depth=2
	s_or_b32 exec_lo, exec_lo, s42
	s_delay_alu instid0(VALU_DEP_1) | instskip(NEXT) | instid1(VALU_DEP_2)
	v_dual_lshlrev_b32 v11, 24, v20 :: v_dual_lshlrev_b32 v10, 20, v10
	v_lshl_add_u32 v20, v21, 23, 0x3c000000
	s_delay_alu instid0(VALU_DEP_2) | instskip(NEXT) | instid1(VALU_DEP_1)
	v_and_b32_e32 v11, 0x80000000, v11
	v_or3_b32 v11, v10, v11, v20
.LBB6_11004:                            ;   in Loop: Header=BB6_10302 Depth=2
	s_or_b32 exec_lo, exec_lo, s41
.LBB6_11005:                            ;   in Loop: Header=BB6_10302 Depth=2
	s_delay_alu instid0(SALU_CYCLE_1)
	s_or_b32 exec_lo, exec_lo, s11
.LBB6_11006:                            ;   in Loop: Header=BB6_10302 Depth=2
	s_delay_alu instid0(SALU_CYCLE_1) | instskip(SKIP_3) | instid1(VALU_DEP_1)
	s_or_b32 exec_lo, exec_lo, s10
	v_lshrrev_b32_e32 v10, 16, v12
	s_mov_b32 s11, 0
	s_mov_b32 s10, exec_lo
	v_and_b32_e32 v21, 0xff, v10
	s_delay_alu instid0(VALU_DEP_1)
	v_cmpx_lt_i16_e32 0x7f, v21
	s_xor_b32 s10, exec_lo, s10
	s_cbranch_execnz .LBB6_11009
; %bb.11007:                            ;   in Loop: Header=BB6_10302 Depth=2
	s_or_saveexec_b32 s10, s10
	v_bfrev_b32_e32 v20, 1
	s_xor_b32 exec_lo, exec_lo, s10
	s_cbranch_execnz .LBB6_11012
.LBB6_11008:                            ;   in Loop: Header=BB6_10302 Depth=2
	s_or_b32 exec_lo, exec_lo, s10
	s_and_saveexec_b32 s10, s11
	s_cbranch_execnz .LBB6_11013
	s_branch .LBB6_11016
.LBB6_11009:                            ;   in Loop: Header=BB6_10302 Depth=2
	s_mov_b32 s11, -1
	s_mov_b32 s41, exec_lo
	v_cmpx_eq_u16_e32 0x80, v21
; %bb.11010:                            ;   in Loop: Header=BB6_10302 Depth=2
	s_xor_b32 s11, exec_lo, -1
; %bb.11011:                            ;   in Loop: Header=BB6_10302 Depth=2
	s_or_b32 exec_lo, exec_lo, s41
	s_delay_alu instid0(SALU_CYCLE_1)
	s_and_b32 s11, s11, exec_lo
                                        ; implicit-def: $vgpr21
	s_or_saveexec_b32 s10, s10
	v_bfrev_b32_e32 v20, 1
	s_xor_b32 exec_lo, exec_lo, s10
	s_cbranch_execz .LBB6_11008
.LBB6_11012:                            ;   in Loop: Header=BB6_10302 Depth=2
	v_cmp_ne_u16_e32 vcc_lo, 0, v21
	v_mov_b32_e32 v20, 0
	s_and_not1_b32 s11, s11, exec_lo
	s_and_b32 s41, vcc_lo, exec_lo
	s_delay_alu instid0(SALU_CYCLE_1)
	s_or_b32 s11, s11, s41
	s_or_b32 exec_lo, exec_lo, s10
	s_and_saveexec_b32 s10, s11
	s_cbranch_execz .LBB6_11016
.LBB6_11013:                            ;   in Loop: Header=BB6_10302 Depth=2
	v_and_b32_e32 v21, 0x7f, v10
	v_mov_b32_e32 v20, 0x7f800001
	s_mov_b32 s11, exec_lo
	s_delay_alu instid0(VALU_DEP_2)
	v_cmpx_ne_u32_e32 0x7f, v21
	s_cbranch_execz .LBB6_11015
; %bb.11014:                            ;   in Loop: Header=BB6_10302 Depth=2
	v_and_b32_e32 v20, 7, v10
	v_cmp_gt_u32_e32 vcc_lo, 8, v21
	s_delay_alu instid0(VALU_DEP_2) | instskip(NEXT) | instid1(VALU_DEP_1)
	v_clz_i32_u32_e32 v22, v20
	v_min_u32_e32 v30, 32, v22
	s_delay_alu instid0(VALU_DEP_1) | instskip(NEXT) | instid1(VALU_DEP_1)
	v_subrev_nc_u32_e32 v22, 28, v30
	v_lshlrev_b64_e32 v[22:23], v22, v[10:11]
	v_dual_lshrrev_b32 v23, 3, v21 :: v_dual_lshlrev_b32 v10, 24, v10
	s_delay_alu instid0(VALU_DEP_1) | instskip(NEXT) | instid1(VALU_DEP_3)
	v_and_b32_e32 v10, 0x80000000, v10
	v_and_b32_e32 v21, 7, v22
	s_delay_alu instid0(VALU_DEP_1) | instskip(NEXT) | instid1(VALU_DEP_1)
	v_dual_sub_nc_u32 v30, 29, v30 :: v_dual_cndmask_b32 v20, v20, v21, vcc_lo
	v_dual_cndmask_b32 v22, v23, v30, vcc_lo :: v_dual_lshlrev_b32 v20, 20, v20
	s_delay_alu instid0(VALU_DEP_1) | instskip(NEXT) | instid1(VALU_DEP_1)
	v_lshl_add_u32 v21, v22, 23, 0x3c000000
	v_or3_b32 v20, v20, v10, v21
.LBB6_11015:                            ;   in Loop: Header=BB6_10302 Depth=2
	s_or_b32 exec_lo, exec_lo, s11
.LBB6_11016:                            ;   in Loop: Header=BB6_10302 Depth=2
	s_delay_alu instid0(SALU_CYCLE_1) | instskip(NEXT) | instid1(VALU_DEP_1)
	s_or_b32 exec_lo, exec_lo, s10
	v_dual_add_f32 v10, v11, v20 :: v_dual_mov_b32 v21, v53
                                        ; implicit-def: $vgpr30
	s_mov_b32 s10, exec_lo
	s_delay_alu instid0(VALU_DEP_1) | instskip(SKIP_1) | instid1(VALU_DEP_2)
	v_and_b32_e32 v20, 0x7f800000, v10
	v_lshrrev_b32_e32 v11, 24, v10
	v_cmpx_ne_u64_e32 0x7f800000, v[20:21]
	s_xor_b32 s11, exec_lo, s10
	s_cbranch_execz .LBB6_11030
; %bb.11017:                            ;   in Loop: Header=BB6_10302 Depth=2
	v_and_b32_e32 v20, 0x7fffffff, v10
	v_mov_b32_e32 v21, v53
	v_and_b32_e32 v22, 0x80, v11
                                        ; implicit-def: $vgpr30
	s_mov_b32 s10, exec_lo
	s_delay_alu instid0(VALU_DEP_2)
	v_cmpx_gt_u64_e32 0x43e00001, v[20:21]
	s_xor_b32 s41, exec_lo, s10
	s_cbranch_execz .LBB6_11027
; %bb.11018:                            ;   in Loop: Header=BB6_10302 Depth=2
	v_mov_b32_e32 v30, 0
	s_mov_b32 s42, exec_lo
	v_cmpx_ne_u32_e32 0, v10
	s_cbranch_execz .LBB6_11026
; %bb.11019:                            ;   in Loop: Header=BB6_10302 Depth=2
	v_bfe_u32 v23, v10, 23, 8
	v_and_b32_e32 v20, 0x7fffff, v10
	s_mov_b32 s43, exec_lo
	s_delay_alu instid0(VALU_DEP_2) | instskip(NEXT) | instid1(VALU_DEP_2)
	v_cmp_gt_u32_e32 vcc_lo, 0x7a, v23
	v_or_b32_e32 v21, 0x800000, v20
	v_sub_nc_u32_e32 v11, 0x79, v23
	s_delay_alu instid0(VALU_DEP_1) | instskip(SKIP_1) | instid1(VALU_DEP_2)
	v_cndmask_b32_e32 v11, 0, v11, vcc_lo
	v_cmp_eq_u32_e32 vcc_lo, 0, v23
	v_cndmask_b32_e64 v30, v11, 0x78, vcc_lo
	v_cndmask_b32_e32 v20, v21, v20, vcc_lo
	s_delay_alu instid0(VALU_DEP_2) | instskip(SKIP_1) | instid1(VALU_DEP_2)
	v_dual_mov_b32 v21, v53 :: v_dual_add_nc_u32 v31, 19, v30
	v_add_nc_u32_e32 v10, 20, v30
	v_lshlrev_b64_e64 v[36:37], v31, 1
	s_delay_alu instid0(VALU_DEP_2) | instskip(NEXT) | instid1(VALU_DEP_1)
	v_lshlrev_b64_e64 v[10:11], v10, -1
	v_bfi_b32 v39, v11, 0, 0
	s_delay_alu instid0(VALU_DEP_2) | instskip(SKIP_1) | instid1(VALU_DEP_1)
	v_bfi_b32 v38, v10, 0, v20
	v_lshrrev_b64 v[10:11], v30, v[20:21]
	v_mov_b64_e32 v[20:21], v[10:11]
	s_delay_alu instid0(VALU_DEP_3)
	v_cmpx_eq_u64_e64 v[38:39], v[36:37]
; %bb.11020:                            ;   in Loop: Header=BB6_10302 Depth=2
	v_bfe_u32 v20, v10, 20, 1
	v_mov_b32_e32 v21, v53
	s_delay_alu instid0(VALU_DEP_1) | instskip(NEXT) | instid1(VALU_DEP_1)
	v_add_nc_u64_e32 v[20:21], v[10:11], v[20:21]
	v_add_nc_u64_e32 v[20:21], -1, v[20:21]
; %bb.11021:                            ;   in Loop: Header=BB6_10302 Depth=2
	s_or_b32 exec_lo, exec_lo, s43
	v_add_nc_u32_e32 v11, 0xffffff81, v23
	v_lshrrev_b32_e32 v21, 23, v10
	s_mov_b32 s10, exec_lo
	s_delay_alu instid0(VALU_DEP_2) | instskip(NEXT) | instid1(VALU_DEP_1)
	v_cndmask_b32_e64 v11, v11, 0xffffff82, vcc_lo
	v_add3_u32 v21, v30, v11, v21
	v_and_b32_e32 v11, 0xfffff, v20
                                        ; implicit-def: $vgpr20
	s_delay_alu instid0(VALU_DEP_1) | instskip(SKIP_1) | instid1(VALU_DEP_2)
	v_dual_add_nc_u32 v23, 6, v21 :: v_dual_add_nc_u32 v10, v11, v10
	v_mov_b32_e32 v11, v53
	v_cmpx_ne_u32_e32 0, v23
	s_xor_b32 s10, exec_lo, s10
; %bb.11022:                            ;   in Loop: Header=BB6_10302 Depth=2
	s_delay_alu instid0(VALU_DEP_2) | instskip(SKIP_2) | instid1(VALU_DEP_2)
	v_cmp_lt_u64_e32 vcc_lo, 0xffffff, v[10:11]
	v_add_nc_u32_e32 v20, 7, v21
	v_cndmask_b32_e64 v21, 0, 1, vcc_lo
	v_cndmask_b32_e32 v20, v23, v20, vcc_lo
	s_delay_alu instid0(VALU_DEP_2)
	v_lshrrev_b64 v[10:11], v21, v[10:11]
; %bb.11023:                            ;   in Loop: Header=BB6_10302 Depth=2
	s_and_not1_saveexec_b32 s10, s10
; %bb.11024:                            ;   in Loop: Header=BB6_10302 Depth=2
	s_delay_alu instid0(VALU_DEP_1)
	v_bfe_u32 v20, v10, 23, 1
; %bb.11025:                            ;   in Loop: Header=BB6_10302 Depth=2
	s_or_b32 exec_lo, exec_lo, s10
	s_delay_alu instid0(VALU_DEP_2) | instskip(NEXT) | instid1(VALU_DEP_2)
	v_lshrrev_b64 v[10:11], 20, v[10:11]
	v_cmp_gt_i32_e32 vcc_lo, 16, v20
	v_min_i32_e32 v21, 15, v20
	v_cmp_eq_u32_e64 s10, 0, v20
	s_delay_alu instid0(VALU_DEP_2) | instskip(SKIP_1) | instid1(VALU_DEP_2)
	v_dual_cndmask_b32 v11, 0, v11, vcc_lo :: v_dual_lshlrev_b32 v21, 3, v21
	v_cndmask_b32_e32 v10, 7, v10, vcc_lo
	v_and_b32_e32 v21, 0xf8, v21
	s_delay_alu instid0(VALU_DEP_2) | instskip(NEXT) | instid1(VALU_DEP_2)
	v_cmp_eq_u64_e32 vcc_lo, 0, v[10:11]
	v_and_or_b32 v10, v10, 7, v21
	s_and_b32 s10, s10, vcc_lo
	s_delay_alu instid0(VALU_DEP_1) | instid1(SALU_CYCLE_1)
	v_cndmask_b32_e64 v10, v10, 0, s10
	s_delay_alu instid0(VALU_DEP_1)
	v_or_b32_e32 v30, v10, v22
.LBB6_11026:                            ;   in Loop: Header=BB6_10302 Depth=2
	s_or_b32 exec_lo, exec_lo, s42
                                        ; implicit-def: $vgpr22
.LBB6_11027:                            ;   in Loop: Header=BB6_10302 Depth=2
	s_and_not1_saveexec_b32 s10, s41
; %bb.11028:                            ;   in Loop: Header=BB6_10302 Depth=2
	v_or_b32_e32 v30, 0x7e, v22
; %bb.11029:                            ;   in Loop: Header=BB6_10302 Depth=2
	s_or_b32 exec_lo, exec_lo, s10
                                        ; implicit-def: $vgpr11
.LBB6_11030:                            ;   in Loop: Header=BB6_10302 Depth=2
	s_and_not1_saveexec_b32 s10, s11
; %bb.11031:                            ;   in Loop: Header=BB6_10302 Depth=2
	v_or_b32_e32 v30, 0x7f, v11
; %bb.11032:                            ;   in Loop: Header=BB6_10302 Depth=2
	s_or_b32 exec_lo, exec_lo, s10
	v_mov_b32_e32 v11, 0
	s_mov_b32 s10, exec_lo
	v_cmpx_lt_u32_e32 0xffffff, v52
	s_cbranch_execz .LBB6_11040
; %bb.11033:                            ;   in Loop: Header=BB6_10302 Depth=2
	v_lshrrev_b32_e32 v20, 24, v52
	v_bfrev_b32_e32 v11, 1
	s_mov_b32 s11, exec_lo
	s_delay_alu instid0(VALU_DEP_2)
	v_cmpx_ne_u32_e32 0x80, v20
	s_cbranch_execz .LBB6_11039
; %bb.11034:                            ;   in Loop: Header=BB6_10302 Depth=2
	v_bfe_u32 v10, v52, 24, 7
	v_mov_b32_e32 v11, 0x7f800001
	s_mov_b32 s41, exec_lo
	s_delay_alu instid0(VALU_DEP_2)
	v_cmpx_ne_u32_e32 0x7f, v10
	s_cbranch_execz .LBB6_11038
; %bb.11035:                            ;   in Loop: Header=BB6_10302 Depth=2
	v_dual_lshrrev_b32 v21, 3, v10 :: v_dual_bitop2_b32 v52, 7, v20 bitop3:0x40
	v_cmp_gt_u32_e32 vcc_lo, 8, v10
	s_delay_alu instid0(VALU_DEP_2)
	v_mov_b64_e32 v[10:11], v[52:53]
	s_and_saveexec_b32 s42, vcc_lo
; %bb.11036:                            ;   in Loop: Header=BB6_10302 Depth=2
	v_clz_i32_u32_e32 v10, v52
	s_delay_alu instid0(VALU_DEP_1) | instskip(NEXT) | instid1(VALU_DEP_1)
	v_min_u32_e32 v21, 32, v10
	v_subrev_nc_u32_e32 v10, 28, v21
	s_delay_alu instid0(VALU_DEP_1) | instskip(NEXT) | instid1(VALU_DEP_1)
	v_lshlrev_b64_e32 v[10:11], v10, v[52:53]
	v_dual_sub_nc_u32 v21, 29, v21 :: v_dual_bitop2_b32 v10, 7, v10 bitop3:0x40
; %bb.11037:                            ;   in Loop: Header=BB6_10302 Depth=2
	s_or_b32 exec_lo, exec_lo, s42
	s_delay_alu instid0(VALU_DEP_1) | instskip(NEXT) | instid1(VALU_DEP_2)
	v_dual_lshlrev_b32 v11, 24, v20 :: v_dual_lshlrev_b32 v10, 20, v10
	v_lshl_add_u32 v20, v21, 23, 0x3c000000
	s_delay_alu instid0(VALU_DEP_2) | instskip(NEXT) | instid1(VALU_DEP_1)
	v_and_b32_e32 v11, 0x80000000, v11
	v_or3_b32 v11, v10, v11, v20
.LBB6_11038:                            ;   in Loop: Header=BB6_10302 Depth=2
	s_or_b32 exec_lo, exec_lo, s41
.LBB6_11039:                            ;   in Loop: Header=BB6_10302 Depth=2
	s_delay_alu instid0(SALU_CYCLE_1)
	s_or_b32 exec_lo, exec_lo, s11
.LBB6_11040:                            ;   in Loop: Header=BB6_10302 Depth=2
	s_delay_alu instid0(SALU_CYCLE_1) | instskip(SKIP_3) | instid1(VALU_DEP_3)
	s_or_b32 exec_lo, exec_lo, s10
	v_lshrrev_b32_e32 v10, 24, v12
	v_bfe_u32 v20, v12, 24, 7
	v_cmp_gt_u32_e64 s11, 0x1000000, v12
	v_cmp_eq_u32_e32 vcc_lo, 0x80, v10
	s_delay_alu instid0(VALU_DEP_3) | instskip(SKIP_2) | instid1(VALU_DEP_1)
	v_cmp_eq_u32_e64 s10, 0x7f, v20
	v_cndmask_b32_e32 v21, 0x7f800001, v119, vcc_lo
	s_or_b32 s10, vcc_lo, s10
	v_cndmask_b32_e64 v21, v21, 0, s11
	s_nor_b32 s11, s11, s10
	s_delay_alu instid0(SALU_CYCLE_1)
	s_and_saveexec_b32 s10, s11
	s_cbranch_execz .LBB6_11042
; %bb.11041:                            ;   in Loop: Header=BB6_10302 Depth=2
	v_and_b32_e32 v21, 7, v10
	v_cmp_gt_u32_e32 vcc_lo, 8, v20
	s_delay_alu instid0(VALU_DEP_2) | instskip(NEXT) | instid1(VALU_DEP_1)
	v_clz_i32_u32_e32 v22, v21
	v_min_u32_e32 v31, 32, v22
	s_delay_alu instid0(VALU_DEP_1) | instskip(NEXT) | instid1(VALU_DEP_1)
	v_subrev_nc_u32_e32 v22, 28, v31
	v_lshlrev_b64_e32 v[22:23], v22, v[10:11]
	v_dual_lshrrev_b32 v23, 3, v20 :: v_dual_sub_nc_u32 v31, 29, v31
	v_lshlrev_b32_e32 v10, 24, v10
	s_delay_alu instid0(VALU_DEP_2) | instskip(NEXT) | instid1(VALU_DEP_2)
	v_dual_cndmask_b32 v22, v23, v31, vcc_lo :: v_dual_bitop2_b32 v20, 7, v22 bitop3:0x40
	v_and_b32_e32 v10, 0x80000000, v10
	s_delay_alu instid0(VALU_DEP_2) | instskip(NEXT) | instid1(VALU_DEP_3)
	v_cndmask_b32_e32 v20, v21, v20, vcc_lo
	v_lshl_add_u32 v21, v22, 23, 0x3c000000
	s_delay_alu instid0(VALU_DEP_2) | instskip(NEXT) | instid1(VALU_DEP_1)
	v_lshlrev_b32_e32 v20, 20, v20
	v_or3_b32 v21, v20, v10, v21
.LBB6_11042:                            ;   in Loop: Header=BB6_10302 Depth=2
	s_or_b32 exec_lo, exec_lo, s10
	s_delay_alu instid0(VALU_DEP_1) | instskip(SKIP_1) | instid1(VALU_DEP_1)
	v_add_f32_e32 v10, v11, v21
                                        ; implicit-def: $vgpr31
	s_mov_b32 s10, exec_lo
	v_and_b32_e32 v52, 0x7f800000, v10
	v_lshrrev_b32_e32 v11, 24, v10
	s_delay_alu instid0(VALU_DEP_2)
	v_cmpx_ne_u64_e32 0x7f800000, v[52:53]
	s_xor_b32 s11, exec_lo, s10
	s_cbranch_execz .LBB6_11056
; %bb.11043:                            ;   in Loop: Header=BB6_10302 Depth=2
	v_and_b32_e32 v52, 0x7fffffff, v10
	v_and_b32_e32 v22, 0x80, v11
                                        ; implicit-def: $vgpr31
	s_mov_b32 s10, exec_lo
	s_delay_alu instid0(VALU_DEP_2)
	v_cmpx_gt_u64_e32 0x43e00001, v[52:53]
	s_xor_b32 s41, exec_lo, s10
	s_cbranch_execz .LBB6_11053
; %bb.11044:                            ;   in Loop: Header=BB6_10302 Depth=2
	v_mov_b32_e32 v31, 0
	s_mov_b32 s42, exec_lo
	v_cmpx_ne_u32_e32 0, v10
	s_cbranch_execz .LBB6_11052
; %bb.11045:                            ;   in Loop: Header=BB6_10302 Depth=2
	v_bfe_u32 v23, v10, 23, 8
	v_and_b32_e32 v20, 0x7fffff, v10
	s_delay_alu instid0(VALU_DEP_2) | instskip(NEXT) | instid1(VALU_DEP_2)
	v_cmp_gt_u32_e32 vcc_lo, 0x7a, v23
	v_or_b32_e32 v21, 0x800000, v20
	v_sub_nc_u32_e32 v11, 0x79, v23
	s_delay_alu instid0(VALU_DEP_1) | instskip(SKIP_1) | instid1(VALU_DEP_2)
	v_cndmask_b32_e32 v11, 0, v11, vcc_lo
	v_cmp_eq_u32_e32 vcc_lo, 0, v23
	v_cndmask_b32_e64 v31, v11, 0x78, vcc_lo
	s_delay_alu instid0(VALU_DEP_1) | instskip(SKIP_1) | instid1(VALU_DEP_2)
	v_dual_cndmask_b32 v52, v21, v20, vcc_lo :: v_dual_add_nc_u32 v10, 20, v31
	v_add_nc_u32_e32 v36, 19, v31
	v_lshlrev_b64_e64 v[10:11], v10, -1
	s_delay_alu instid0(VALU_DEP_2) | instskip(NEXT) | instid1(VALU_DEP_2)
	v_lshlrev_b64_e64 v[20:21], v36, 1
	v_bfi_b32 v37, v11, 0, 0
	s_delay_alu instid0(VALU_DEP_3) | instskip(SKIP_1) | instid1(VALU_DEP_2)
	v_bfi_b32 v36, v10, 0, v52
	v_lshrrev_b64 v[10:11], v31, v[52:53]
	v_cmp_eq_u64_e64 s10, v[36:37], v[20:21]
	s_delay_alu instid0(VALU_DEP_2)
	v_mov_b64_e32 v[20:21], v[10:11]
	s_and_saveexec_b32 s43, s10
; %bb.11046:                            ;   in Loop: Header=BB6_10302 Depth=2
	v_bfe_u32 v52, v10, 20, 1
	s_delay_alu instid0(VALU_DEP_1) | instskip(NEXT) | instid1(VALU_DEP_1)
	v_add_nc_u64_e32 v[20:21], v[10:11], v[52:53]
	v_add_nc_u64_e32 v[20:21], -1, v[20:21]
; %bb.11047:                            ;   in Loop: Header=BB6_10302 Depth=2
	s_or_b32 exec_lo, exec_lo, s43
	v_add_nc_u32_e32 v11, 0xffffff81, v23
	v_lshrrev_b32_e32 v21, 23, v10
	s_mov_b32 s10, exec_lo
	s_delay_alu instid0(VALU_DEP_2) | instskip(NEXT) | instid1(VALU_DEP_1)
	v_cndmask_b32_e64 v11, v11, 0xffffff82, vcc_lo
	v_add3_u32 v21, v31, v11, v21
	v_and_b32_e32 v11, 0xfffff, v20
                                        ; implicit-def: $vgpr20
	s_delay_alu instid0(VALU_DEP_1) | instskip(NEXT) | instid1(VALU_DEP_1)
	v_dual_add_nc_u32 v23, 6, v21 :: v_dual_add_nc_u32 v52, v11, v10
                                        ; implicit-def: $vgpr10_vgpr11
	v_cmpx_ne_u32_e32 0, v23
	s_xor_b32 s10, exec_lo, s10
; %bb.11048:                            ;   in Loop: Header=BB6_10302 Depth=2
	s_delay_alu instid0(VALU_DEP_2) | instskip(SKIP_1) | instid1(VALU_DEP_1)
	v_cmp_lt_u64_e32 vcc_lo, 0xffffff, v[52:53]
	v_add_nc_u32_e32 v10, 7, v21
	v_cndmask_b32_e32 v20, v23, v10, vcc_lo
	v_cndmask_b32_e64 v10, 0, 1, vcc_lo
	s_delay_alu instid0(VALU_DEP_1)
	v_lshrrev_b64 v[10:11], v10, v[52:53]
; %bb.11049:                            ;   in Loop: Header=BB6_10302 Depth=2
	s_and_not1_saveexec_b32 s10, s10
; %bb.11050:                            ;   in Loop: Header=BB6_10302 Depth=2
	v_mov_b64_e32 v[10:11], v[52:53]
	v_bfe_u32 v20, v52, 23, 1
; %bb.11051:                            ;   in Loop: Header=BB6_10302 Depth=2
	s_or_b32 exec_lo, exec_lo, s10
	s_delay_alu instid0(VALU_DEP_2) | instskip(NEXT) | instid1(VALU_DEP_2)
	v_lshrrev_b64 v[10:11], 20, v[10:11]
	v_cmp_gt_i32_e32 vcc_lo, 16, v20
	v_min_i32_e32 v21, 15, v20
	v_cmp_eq_u32_e64 s10, 0, v20
	s_delay_alu instid0(VALU_DEP_2) | instskip(SKIP_1) | instid1(VALU_DEP_2)
	v_dual_cndmask_b32 v11, 0, v11, vcc_lo :: v_dual_lshlrev_b32 v21, 3, v21
	v_cndmask_b32_e32 v10, 7, v10, vcc_lo
	v_and_b32_e32 v21, 0xf8, v21
	s_delay_alu instid0(VALU_DEP_2) | instskip(NEXT) | instid1(VALU_DEP_2)
	v_cmp_eq_u64_e32 vcc_lo, 0, v[10:11]
	v_and_or_b32 v10, v10, 7, v21
	s_and_b32 s10, s10, vcc_lo
	s_delay_alu instid0(VALU_DEP_1) | instid1(SALU_CYCLE_1)
	v_cndmask_b32_e64 v10, v10, 0, s10
	s_delay_alu instid0(VALU_DEP_1)
	v_or_b32_e32 v31, v10, v22
.LBB6_11052:                            ;   in Loop: Header=BB6_10302 Depth=2
	s_or_b32 exec_lo, exec_lo, s42
                                        ; implicit-def: $vgpr22
.LBB6_11053:                            ;   in Loop: Header=BB6_10302 Depth=2
	s_and_not1_saveexec_b32 s10, s41
; %bb.11054:                            ;   in Loop: Header=BB6_10302 Depth=2
	v_or_b32_e32 v31, 0x7e, v22
; %bb.11055:                            ;   in Loop: Header=BB6_10302 Depth=2
	s_or_b32 exec_lo, exec_lo, s10
                                        ; implicit-def: $vgpr11
.LBB6_11056:                            ;   in Loop: Header=BB6_10302 Depth=2
	s_and_not1_saveexec_b32 s10, s11
; %bb.11057:                            ;   in Loop: Header=BB6_10302 Depth=2
	v_or_b32_e32 v31, 0x7f, v11
; %bb.11058:                            ;   in Loop: Header=BB6_10302 Depth=2
	s_or_b32 exec_lo, exec_lo, s10
	v_dual_lshlrev_b32 v10, 24, v29 :: v_dual_lshlrev_b32 v11, 16, v26
	v_lshl_or_b32 v7, v7, 8, v5
	v_mov_b32_e32 v20, 0
	s_mov_b32 s10, exec_lo
	s_delay_alu instid0(VALU_DEP_2)
	v_or3_b32 v52, v11, v10, v7
	v_cmpx_ne_u32_e32 0, v5
	s_cbranch_execz .LBB6_11064
; %bb.11059:                            ;   in Loop: Header=BB6_10302 Depth=2
	v_bfrev_b32_e32 v20, 1
	s_mov_b32 s11, exec_lo
	v_cmpx_ne_u32_e32 0x80, v5
	s_cbranch_execz .LBB6_11063
; %bb.11060:                            ;   in Loop: Header=BB6_10302 Depth=2
	v_and_b32_e32 v10, 0x7f, v5
	v_mov_b32_e32 v20, 0x7f800001
	s_mov_b32 s41, exec_lo
	s_delay_alu instid0(VALU_DEP_2)
	v_cmpx_ne_u32_e32 0x7f, v10
	s_cbranch_execz .LBB6_11062
; %bb.11061:                            ;   in Loop: Header=BB6_10302 Depth=2
	v_dual_lshrrev_b32 v11, 3, v10 :: v_dual_bitop2_b32 v5, 7, v5 bitop3:0x40
	v_cmp_gt_u32_e32 vcc_lo, 8, v10
	s_delay_alu instid0(VALU_DEP_2) | instskip(NEXT) | instid1(VALU_DEP_1)
	v_clz_i32_u32_e32 v5, v5
	v_min_u32_e32 v5, 32, v5
	s_delay_alu instid0(VALU_DEP_1) | instskip(NEXT) | instid1(VALU_DEP_1)
	v_subrev_nc_u32_e32 v20, 28, v5
	v_dual_cndmask_b32 v10, 0, v20 :: v_dual_sub_nc_u32 v5, 29, v5
	s_delay_alu instid0(VALU_DEP_1) | instskip(NEXT) | instid1(VALU_DEP_2)
	v_cndmask_b32_e32 v5, v11, v5, vcc_lo
	v_lshlrev_b64_e32 v[10:11], v10, v[52:53]
	v_lshlrev_b32_e32 v11, 24, v52
	s_delay_alu instid0(VALU_DEP_3) | instskip(NEXT) | instid1(VALU_DEP_2)
	v_lshl_add_u32 v5, v5, 23, 0x3c000000
	v_and_b32_e32 v11, 0x80000000, v11
	s_delay_alu instid0(VALU_DEP_4) | instskip(NEXT) | instid1(VALU_DEP_1)
	v_lshlrev_b32_e32 v10, 20, v10
	v_and_b32_e32 v10, 0x700000, v10
	s_delay_alu instid0(VALU_DEP_1)
	v_or3_b32 v20, v10, v11, v5
.LBB6_11062:                            ;   in Loop: Header=BB6_10302 Depth=2
	s_or_b32 exec_lo, exec_lo, s41
.LBB6_11063:                            ;   in Loop: Header=BB6_10302 Depth=2
	s_delay_alu instid0(SALU_CYCLE_1)
	s_or_b32 exec_lo, exec_lo, s11
.LBB6_11064:                            ;   in Loop: Header=BB6_10302 Depth=2
	s_delay_alu instid0(SALU_CYCLE_1) | instskip(SKIP_4) | instid1(VALU_DEP_2)
	s_or_b32 exec_lo, exec_lo, s10
	v_and_b32_e32 v11, 0xff, v13
	v_mov_b32_e32 v10, v13
	s_mov_b32 s10, 0
	s_mov_b32 s11, exec_lo
	v_cmpx_lt_i16_e32 0x7f, v11
	s_xor_b32 s11, exec_lo, s11
	s_cbranch_execnz .LBB6_11095
; %bb.11065:                            ;   in Loop: Header=BB6_10302 Depth=2
	s_or_saveexec_b32 s11, s11
	v_bfrev_b32_e32 v5, 1
	s_xor_b32 exec_lo, exec_lo, s11
	s_cbranch_execnz .LBB6_11098
.LBB6_11066:                            ;   in Loop: Header=BB6_10302 Depth=2
	s_or_b32 exec_lo, exec_lo, s11
	v_mov_b32_e32 v11, v53
	s_and_saveexec_b32 s11, s10
	s_cbranch_execz .LBB6_11068
.LBB6_11067:                            ;   in Loop: Header=BB6_10302 Depth=2
	v_and_b32_e32 v21, 0x7f, v13
	v_bfe_u32 v22, v13, 3, 4
	s_delay_alu instid0(VALU_DEP_2) | instskip(SKIP_1) | instid1(VALU_DEP_1)
	v_cmp_gt_u32_e32 vcc_lo, 8, v21
	v_and_b32_e32 v5, 7, v13
	v_clz_i32_u32_e32 v5, v5
	s_delay_alu instid0(VALU_DEP_1) | instskip(NEXT) | instid1(VALU_DEP_1)
	v_min_u32_e32 v5, 32, v5
	v_subrev_nc_u32_e32 v23, 28, v5
	v_sub_nc_u32_e32 v5, 29, v5
	s_delay_alu instid0(VALU_DEP_1) | instskip(SKIP_1) | instid1(VALU_DEP_2)
	v_dual_cndmask_b32 v5, v22, v5 :: v_dual_cndmask_b32 v22, 0, v23
	v_cmp_ne_u32_e32 vcc_lo, 0x7f, v21
	v_lshlrev_b64_e32 v[22:23], v22, v[10:11]
	v_lshlrev_b32_e32 v11, 24, v10
	s_delay_alu instid0(VALU_DEP_1) | instskip(NEXT) | instid1(VALU_DEP_3)
	v_and_b32_e32 v11, 0x80000000, v11
	v_lshlrev_b32_e32 v22, 20, v22
	v_lshl_add_u32 v5, v5, 23, 0x3c000000
	s_delay_alu instid0(VALU_DEP_2) | instskip(NEXT) | instid1(VALU_DEP_1)
	v_and_b32_e32 v22, 0x700000, v22
	v_or3_b32 v5, v22, v11, v5
	s_delay_alu instid0(VALU_DEP_1)
	v_cndmask_b32_e32 v5, 0x7f800001, v5, vcc_lo
.LBB6_11068:                            ;   in Loop: Header=BB6_10302 Depth=2
	s_or_b32 exec_lo, exec_lo, s11
	s_delay_alu instid0(VALU_DEP_1) | instskip(SKIP_1) | instid1(VALU_DEP_1)
	v_dual_add_f32 v20, v20, v5 :: v_dual_mov_b32 v23, v53
                                        ; implicit-def: $vgpr5
	s_mov_b32 s10, exec_lo
	v_and_b32_e32 v22, 0x7f800000, v20
	v_lshrrev_b32_e32 v11, 24, v20
	s_delay_alu instid0(VALU_DEP_2)
	v_cmpx_ne_u64_e32 0x7f800000, v[22:23]
	s_xor_b32 s11, exec_lo, s10
	s_cbranch_execz .LBB6_11082
; %bb.11069:                            ;   in Loop: Header=BB6_10302 Depth=2
	v_and_b32_e32 v22, 0x7fffffff, v20
	v_mov_b32_e32 v23, v53
	v_and_b32_e32 v11, 0x80, v11
                                        ; implicit-def: $vgpr5
	s_mov_b32 s10, exec_lo
	s_delay_alu instid0(VALU_DEP_2)
	v_cmpx_gt_u64_e32 0x43e00001, v[22:23]
	s_xor_b32 s41, exec_lo, s10
	s_cbranch_execz .LBB6_11079
; %bb.11070:                            ;   in Loop: Header=BB6_10302 Depth=2
	v_mov_b32_e32 v5, 0
	s_mov_b32 s42, exec_lo
	v_cmpx_ne_u32_e32 0, v20
	s_cbranch_execz .LBB6_11078
; %bb.11071:                            ;   in Loop: Header=BB6_10302 Depth=2
	v_bfe_u32 v5, v20, 23, 8
	v_and_b32_e32 v22, 0x7fffff, v20
	s_mov_b32 s43, exec_lo
	s_delay_alu instid0(VALU_DEP_2) | instskip(NEXT) | instid1(VALU_DEP_2)
	v_cmp_gt_u32_e32 vcc_lo, 0x7a, v5
	v_or_b32_e32 v23, 0x800000, v22
	v_sub_nc_u32_e32 v21, 0x79, v5
	s_delay_alu instid0(VALU_DEP_1) | instskip(SKIP_1) | instid1(VALU_DEP_2)
	v_cndmask_b32_e32 v21, 0, v21, vcc_lo
	v_cmp_eq_u32_e32 vcc_lo, 0, v5
	v_cndmask_b32_e64 v26, v21, 0x78, vcc_lo
	v_dual_cndmask_b32 v22, v23, v22 :: v_dual_mov_b32 v23, v53
	s_delay_alu instid0(VALU_DEP_2) | instskip(NEXT) | instid1(VALU_DEP_1)
	v_dual_add_nc_u32 v29, 19, v26 :: v_dual_add_nc_u32 v20, 20, v26
	v_lshlrev_b64_e64 v[36:37], v29, 1
	s_delay_alu instid0(VALU_DEP_2) | instskip(NEXT) | instid1(VALU_DEP_1)
	v_lshlrev_b64_e64 v[20:21], v20, -1
	v_bfi_b32 v39, v21, 0, 0
	s_delay_alu instid0(VALU_DEP_2) | instskip(SKIP_1) | instid1(VALU_DEP_1)
	v_bfi_b32 v38, v20, 0, v22
	v_lshrrev_b64 v[20:21], v26, v[22:23]
	v_mov_b64_e32 v[22:23], v[20:21]
	s_delay_alu instid0(VALU_DEP_3)
	v_cmpx_eq_u64_e64 v[38:39], v[36:37]
; %bb.11072:                            ;   in Loop: Header=BB6_10302 Depth=2
	v_bfe_u32 v22, v20, 20, 1
	v_mov_b32_e32 v23, v53
	s_delay_alu instid0(VALU_DEP_1) | instskip(NEXT) | instid1(VALU_DEP_1)
	v_add_nc_u64_e32 v[22:23], v[20:21], v[22:23]
	v_add_nc_u64_e32 v[22:23], -1, v[22:23]
; %bb.11073:                            ;   in Loop: Header=BB6_10302 Depth=2
	s_or_b32 exec_lo, exec_lo, s43
	v_add_nc_u32_e32 v5, 0xffffff81, v5
	v_lshrrev_b32_e32 v21, 23, v20
	s_mov_b32 s10, exec_lo
	s_delay_alu instid0(VALU_DEP_2) | instskip(NEXT) | instid1(VALU_DEP_1)
	v_cndmask_b32_e64 v5, v5, 0xffffff82, vcc_lo
	v_add3_u32 v23, v26, v5, v21
	v_and_b32_e32 v5, 0xfffff, v22
	s_delay_alu instid0(VALU_DEP_2) | instskip(NEXT) | instid1(VALU_DEP_2)
	v_dual_mov_b32 v21, v53 :: v_dual_add_nc_u32 v22, 6, v23
	v_add_nc_u32_e32 v20, v5, v20
                                        ; implicit-def: $vgpr5
	s_delay_alu instid0(VALU_DEP_2)
	v_cmpx_ne_u32_e32 0, v22
	s_xor_b32 s10, exec_lo, s10
; %bb.11074:                            ;   in Loop: Header=BB6_10302 Depth=2
	s_delay_alu instid0(VALU_DEP_2) | instskip(SKIP_1) | instid1(VALU_DEP_1)
	v_cmp_lt_u64_e32 vcc_lo, 0xffffff, v[20:21]
	v_add_nc_u32_e32 v5, 7, v23
	v_cndmask_b32_e32 v5, v22, v5, vcc_lo
	v_cndmask_b32_e64 v22, 0, 1, vcc_lo
	s_delay_alu instid0(VALU_DEP_1)
	v_lshrrev_b64 v[20:21], v22, v[20:21]
; %bb.11075:                            ;   in Loop: Header=BB6_10302 Depth=2
	s_and_not1_saveexec_b32 s10, s10
; %bb.11076:                            ;   in Loop: Header=BB6_10302 Depth=2
	s_delay_alu instid0(VALU_DEP_1)
	v_bfe_u32 v5, v20, 23, 1
; %bb.11077:                            ;   in Loop: Header=BB6_10302 Depth=2
	s_or_b32 exec_lo, exec_lo, s10
	s_delay_alu instid0(VALU_DEP_2) | instskip(NEXT) | instid1(VALU_DEP_2)
	v_lshrrev_b64 v[20:21], 20, v[20:21]
	v_cmp_gt_i32_e32 vcc_lo, 16, v5
	v_min_i32_e32 v22, 15, v5
	v_cmp_eq_u32_e64 s10, 0, v5
	s_delay_alu instid0(VALU_DEP_2) | instskip(SKIP_1) | instid1(VALU_DEP_2)
	v_dual_cndmask_b32 v20, 7, v20, vcc_lo :: v_dual_lshlrev_b32 v22, 3, v22
	v_cndmask_b32_e32 v21, 0, v21, vcc_lo
	v_and_b32_e32 v22, 0xf8, v22
	s_delay_alu instid0(VALU_DEP_2) | instskip(NEXT) | instid1(VALU_DEP_2)
	v_cmp_eq_u64_e32 vcc_lo, 0, v[20:21]
	v_and_or_b32 v5, v20, 7, v22
	s_and_b32 s10, s10, vcc_lo
	s_delay_alu instid0(VALU_DEP_1) | instid1(SALU_CYCLE_1)
	v_cndmask_b32_e64 v5, v5, 0, s10
	s_delay_alu instid0(VALU_DEP_1)
	v_or_b32_e32 v5, v5, v11
.LBB6_11078:                            ;   in Loop: Header=BB6_10302 Depth=2
	s_or_b32 exec_lo, exec_lo, s42
                                        ; implicit-def: $vgpr11
.LBB6_11079:                            ;   in Loop: Header=BB6_10302 Depth=2
	s_and_not1_saveexec_b32 s10, s41
; %bb.11080:                            ;   in Loop: Header=BB6_10302 Depth=2
	v_or_b32_e32 v5, 0x7e, v11
; %bb.11081:                            ;   in Loop: Header=BB6_10302 Depth=2
	s_or_b32 exec_lo, exec_lo, s10
                                        ; implicit-def: $vgpr11
.LBB6_11082:                            ;   in Loop: Header=BB6_10302 Depth=2
	s_and_not1_saveexec_b32 s10, s11
; %bb.11083:                            ;   in Loop: Header=BB6_10302 Depth=2
	v_or_b32_e32 v5, 0x7f, v11
; %bb.11084:                            ;   in Loop: Header=BB6_10302 Depth=2
	s_or_b32 exec_lo, exec_lo, s10
	v_lshrrev_b16 v20, 8, v7
	v_mov_b32_e32 v11, 0
	s_mov_b32 s10, exec_lo
	s_delay_alu instid0(VALU_DEP_2)
	v_cmpx_ne_u16_e32 0, v20
	s_cbranch_execz .LBB6_11092
; %bb.11085:                            ;   in Loop: Header=BB6_10302 Depth=2
	v_bfrev_b32_e32 v11, 1
	s_mov_b32 s11, exec_lo
	v_cmpx_ne_u16_e32 0x80, v20
	s_cbranch_execz .LBB6_11091
; %bb.11086:                            ;   in Loop: Header=BB6_10302 Depth=2
	v_and_b32_e32 v20, 0xffff, v20
	v_mov_b32_e32 v11, 0x7f800001
	s_mov_b32 s41, exec_lo
	s_delay_alu instid0(VALU_DEP_2) | instskip(NEXT) | instid1(VALU_DEP_1)
	v_and_b32_e32 v22, 0x7f, v20
	v_cmpx_ne_u32_e32 0x7f, v22
	s_cbranch_execz .LBB6_11090
; %bb.11087:                            ;   in Loop: Header=BB6_10302 Depth=2
	v_dual_mov_b32 v21, v53 :: v_dual_bitop2_b32 v20, 7, v20 bitop3:0x40
	v_lshrrev_b32_e32 v11, 3, v22
	s_mov_b32 s42, exec_lo
	v_cmpx_gt_u32_e32 8, v22
; %bb.11088:                            ;   in Loop: Header=BB6_10302 Depth=2
	s_delay_alu instid0(VALU_DEP_3) | instskip(NEXT) | instid1(VALU_DEP_1)
	v_clz_i32_u32_e32 v11, v20
	v_min_u32_e32 v11, 32, v11
	s_delay_alu instid0(VALU_DEP_1) | instskip(NEXT) | instid1(VALU_DEP_1)
	v_subrev_nc_u32_e32 v22, 28, v11
	v_lshlrev_b64_e32 v[20:21], v22, v[20:21]
	s_delay_alu instid0(VALU_DEP_1)
	v_dual_sub_nc_u32 v11, 29, v11 :: v_dual_bitop2_b32 v20, 7, v20 bitop3:0x40
; %bb.11089:                            ;   in Loop: Header=BB6_10302 Depth=2
	s_or_b32 exec_lo, exec_lo, s42
	s_delay_alu instid0(VALU_DEP_1) | instskip(NEXT) | instid1(VALU_DEP_2)
	v_dual_lshlrev_b32 v7, 16, v7 :: v_dual_lshlrev_b32 v20, 20, v20
	v_lshl_add_u32 v11, v11, 23, 0x3c000000
	s_delay_alu instid0(VALU_DEP_2) | instskip(NEXT) | instid1(VALU_DEP_1)
	v_and_b32_e32 v7, 0x80000000, v7
	v_or3_b32 v11, v20, v7, v11
.LBB6_11090:                            ;   in Loop: Header=BB6_10302 Depth=2
	s_or_b32 exec_lo, exec_lo, s41
.LBB6_11091:                            ;   in Loop: Header=BB6_10302 Depth=2
	s_delay_alu instid0(SALU_CYCLE_1)
	s_or_b32 exec_lo, exec_lo, s11
.LBB6_11092:                            ;   in Loop: Header=BB6_10302 Depth=2
	s_delay_alu instid0(SALU_CYCLE_1) | instskip(SKIP_3) | instid1(VALU_DEP_1)
	s_or_b32 exec_lo, exec_lo, s10
	v_lshrrev_b16 v7, 8, v10
	s_mov_b32 s11, 0
	s_mov_b32 s10, exec_lo
	v_cmpx_lt_i16_e32 0x7f, v7
	s_xor_b32 s10, exec_lo, s10
	s_cbranch_execnz .LBB6_11099
; %bb.11093:                            ;   in Loop: Header=BB6_10302 Depth=2
	s_or_saveexec_b32 s10, s10
	v_bfrev_b32_e32 v20, 1
	s_xor_b32 exec_lo, exec_lo, s10
	s_cbranch_execnz .LBB6_11102
.LBB6_11094:                            ;   in Loop: Header=BB6_10302 Depth=2
	s_or_b32 exec_lo, exec_lo, s10
	s_and_saveexec_b32 s10, s11
	s_cbranch_execnz .LBB6_11103
	s_branch .LBB6_11106
.LBB6_11095:                            ;   in Loop: Header=BB6_10302 Depth=2
	s_mov_b32 s10, -1
	s_mov_b32 s41, exec_lo
	v_cmpx_eq_u16_e32 0x80, v11
; %bb.11096:                            ;   in Loop: Header=BB6_10302 Depth=2
	s_xor_b32 s10, exec_lo, -1
; %bb.11097:                            ;   in Loop: Header=BB6_10302 Depth=2
	s_or_b32 exec_lo, exec_lo, s41
	s_delay_alu instid0(SALU_CYCLE_1)
	s_and_b32 s10, s10, exec_lo
                                        ; implicit-def: $vgpr11
	s_or_saveexec_b32 s11, s11
	v_bfrev_b32_e32 v5, 1
	s_xor_b32 exec_lo, exec_lo, s11
	s_cbranch_execz .LBB6_11066
.LBB6_11098:                            ;   in Loop: Header=BB6_10302 Depth=2
	v_cmp_ne_u16_e32 vcc_lo, 0, v11
	v_mov_b32_e32 v5, 0
	s_and_not1_b32 s10, s10, exec_lo
	s_and_b32 s41, vcc_lo, exec_lo
	s_delay_alu instid0(SALU_CYCLE_1)
	s_or_b32 s10, s10, s41
	s_or_b32 exec_lo, exec_lo, s11
	v_mov_b32_e32 v11, v53
	s_and_saveexec_b32 s11, s10
	s_cbranch_execnz .LBB6_11067
	s_branch .LBB6_11068
.LBB6_11099:                            ;   in Loop: Header=BB6_10302 Depth=2
	s_mov_b32 s11, -1
	s_mov_b32 s41, exec_lo
	v_cmpx_eq_u16_e32 0x80, v7
; %bb.11100:                            ;   in Loop: Header=BB6_10302 Depth=2
	s_xor_b32 s11, exec_lo, -1
; %bb.11101:                            ;   in Loop: Header=BB6_10302 Depth=2
	s_or_b32 exec_lo, exec_lo, s41
	s_delay_alu instid0(SALU_CYCLE_1)
	s_and_b32 s11, s11, exec_lo
	s_or_saveexec_b32 s10, s10
	v_bfrev_b32_e32 v20, 1
	s_xor_b32 exec_lo, exec_lo, s10
	s_cbranch_execz .LBB6_11094
.LBB6_11102:                            ;   in Loop: Header=BB6_10302 Depth=2
	v_cmp_ne_u16_e32 vcc_lo, 0, v7
	v_mov_b32_e32 v20, 0
	s_and_not1_b32 s11, s11, exec_lo
	s_and_b32 s41, vcc_lo, exec_lo
	s_delay_alu instid0(SALU_CYCLE_1)
	s_or_b32 s11, s11, s41
	s_or_b32 exec_lo, exec_lo, s10
	s_and_saveexec_b32 s10, s11
	s_cbranch_execz .LBB6_11106
.LBB6_11103:                            ;   in Loop: Header=BB6_10302 Depth=2
	v_and_b32_e32 v10, 0xffff, v7
	v_mov_b32_e32 v20, 0x7f800001
	s_mov_b32 s11, exec_lo
	s_delay_alu instid0(VALU_DEP_2) | instskip(NEXT) | instid1(VALU_DEP_1)
	v_and_b32_e32 v21, 0x7f, v10
	v_cmpx_ne_u32_e32 0x7f, v21
	s_cbranch_execz .LBB6_11105
; %bb.11104:                            ;   in Loop: Header=BB6_10302 Depth=2
	v_and_b32_e32 v20, 7, v10
	v_cmp_gt_u32_e32 vcc_lo, 8, v21
	v_lshlrev_b32_e32 v7, 24, v7
	s_delay_alu instid0(VALU_DEP_3) | instskip(NEXT) | instid1(VALU_DEP_2)
	v_clz_i32_u32_e32 v22, v20
	v_and_b32_e32 v7, 0x80000000, v7
	s_delay_alu instid0(VALU_DEP_2) | instskip(NEXT) | instid1(VALU_DEP_1)
	v_min_u32_e32 v26, 32, v22
	v_subrev_nc_u32_e32 v22, 28, v26
	s_delay_alu instid0(VALU_DEP_1) | instskip(SKIP_1) | instid1(VALU_DEP_1)
	v_lshlrev_b64_e32 v[22:23], v22, v[10:11]
	v_dual_lshrrev_b32 v10, 3, v21 :: v_dual_sub_nc_u32 v23, 29, v26
	v_dual_cndmask_b32 v10, v10, v23, vcc_lo :: v_dual_bitop2_b32 v21, 7, v22 bitop3:0x40
	s_delay_alu instid0(VALU_DEP_1) | instskip(NEXT) | instid1(VALU_DEP_2)
	v_cndmask_b32_e32 v20, v20, v21, vcc_lo
	v_lshl_add_u32 v10, v10, 23, 0x3c000000
	s_delay_alu instid0(VALU_DEP_2) | instskip(NEXT) | instid1(VALU_DEP_1)
	v_lshlrev_b32_e32 v20, 20, v20
	v_or3_b32 v20, v20, v7, v10
.LBB6_11105:                            ;   in Loop: Header=BB6_10302 Depth=2
	s_or_b32 exec_lo, exec_lo, s11
.LBB6_11106:                            ;   in Loop: Header=BB6_10302 Depth=2
	s_delay_alu instid0(SALU_CYCLE_1) | instskip(NEXT) | instid1(VALU_DEP_1)
	s_or_b32 exec_lo, exec_lo, s10
	v_dual_add_f32 v10, v11, v20 :: v_dual_mov_b32 v21, v53
                                        ; implicit-def: $vgpr7
	s_mov_b32 s10, exec_lo
	s_delay_alu instid0(VALU_DEP_1) | instskip(SKIP_1) | instid1(VALU_DEP_2)
	v_and_b32_e32 v20, 0x7f800000, v10
	v_lshrrev_b32_e32 v11, 24, v10
	v_cmpx_ne_u64_e32 0x7f800000, v[20:21]
	s_xor_b32 s11, exec_lo, s10
	s_cbranch_execz .LBB6_11120
; %bb.11107:                            ;   in Loop: Header=BB6_10302 Depth=2
	v_and_b32_e32 v20, 0x7fffffff, v10
	v_mov_b32_e32 v21, v53
	v_and_b32_e32 v22, 0x80, v11
                                        ; implicit-def: $vgpr7
	s_mov_b32 s10, exec_lo
	s_delay_alu instid0(VALU_DEP_2)
	v_cmpx_gt_u64_e32 0x43e00001, v[20:21]
	s_xor_b32 s41, exec_lo, s10
	s_cbranch_execz .LBB6_11117
; %bb.11108:                            ;   in Loop: Header=BB6_10302 Depth=2
	v_mov_b32_e32 v7, 0
	s_mov_b32 s42, exec_lo
	v_cmpx_ne_u32_e32 0, v10
	s_cbranch_execz .LBB6_11116
; %bb.11109:                            ;   in Loop: Header=BB6_10302 Depth=2
	v_bfe_u32 v7, v10, 23, 8
	v_and_b32_e32 v20, 0x7fffff, v10
	s_mov_b32 s43, exec_lo
	s_delay_alu instid0(VALU_DEP_2) | instskip(NEXT) | instid1(VALU_DEP_2)
	v_cmp_gt_u32_e32 vcc_lo, 0x7a, v7
	v_or_b32_e32 v21, 0x800000, v20
	v_sub_nc_u32_e32 v11, 0x79, v7
	s_delay_alu instid0(VALU_DEP_1) | instskip(SKIP_1) | instid1(VALU_DEP_4)
	v_cndmask_b32_e32 v11, 0, v11, vcc_lo
	v_cmp_eq_u32_e32 vcc_lo, 0, v7
	v_cndmask_b32_e32 v20, v21, v20, vcc_lo
	v_mov_b32_e32 v21, v53
	s_delay_alu instid0(VALU_DEP_4) | instskip(NEXT) | instid1(VALU_DEP_1)
	v_cndmask_b32_e64 v23, v11, 0x78, vcc_lo
	v_dual_add_nc_u32 v10, 20, v23 :: v_dual_add_nc_u32 v26, 19, v23
	s_delay_alu instid0(VALU_DEP_1) | instskip(NEXT) | instid1(VALU_DEP_2)
	v_lshlrev_b64_e64 v[10:11], v10, -1
	v_lshlrev_b64_e64 v[36:37], v26, 1
	s_delay_alu instid0(VALU_DEP_2) | instskip(NEXT) | instid1(VALU_DEP_3)
	v_bfi_b32 v39, v11, 0, 0
	v_bfi_b32 v38, v10, 0, v20
	v_lshrrev_b64 v[10:11], v23, v[20:21]
	s_delay_alu instid0(VALU_DEP_1) | instskip(NEXT) | instid1(VALU_DEP_3)
	v_mov_b64_e32 v[20:21], v[10:11]
	v_cmpx_eq_u64_e64 v[38:39], v[36:37]
; %bb.11110:                            ;   in Loop: Header=BB6_10302 Depth=2
	v_bfe_u32 v20, v10, 20, 1
	v_mov_b32_e32 v21, v53
	s_delay_alu instid0(VALU_DEP_1) | instskip(NEXT) | instid1(VALU_DEP_1)
	v_add_nc_u64_e32 v[20:21], v[10:11], v[20:21]
	v_add_nc_u64_e32 v[20:21], -1, v[20:21]
; %bb.11111:                            ;   in Loop: Header=BB6_10302 Depth=2
	s_or_b32 exec_lo, exec_lo, s43
	v_add_nc_u32_e32 v7, 0xffffff81, v7
	v_lshrrev_b32_e32 v11, 23, v10
	s_mov_b32 s10, exec_lo
	s_delay_alu instid0(VALU_DEP_2) | instskip(NEXT) | instid1(VALU_DEP_1)
	v_cndmask_b32_e64 v7, v7, 0xffffff82, vcc_lo
	v_add3_u32 v21, v23, v7, v11
	v_and_b32_e32 v7, 0xfffff, v20
	s_delay_alu instid0(VALU_DEP_2) | instskip(NEXT) | instid1(VALU_DEP_2)
	v_dual_mov_b32 v11, v53 :: v_dual_add_nc_u32 v20, 6, v21
	v_add_nc_u32_e32 v10, v7, v10
                                        ; implicit-def: $vgpr7
	s_delay_alu instid0(VALU_DEP_2)
	v_cmpx_ne_u32_e32 0, v20
	s_xor_b32 s10, exec_lo, s10
; %bb.11112:                            ;   in Loop: Header=BB6_10302 Depth=2
	s_delay_alu instid0(VALU_DEP_2) | instskip(SKIP_1) | instid1(VALU_DEP_1)
	v_cmp_lt_u64_e32 vcc_lo, 0xffffff, v[10:11]
	v_add_nc_u32_e32 v7, 7, v21
	v_cndmask_b32_e32 v7, v20, v7, vcc_lo
	v_cndmask_b32_e64 v20, 0, 1, vcc_lo
	s_delay_alu instid0(VALU_DEP_1)
	v_lshrrev_b64 v[10:11], v20, v[10:11]
; %bb.11113:                            ;   in Loop: Header=BB6_10302 Depth=2
	s_and_not1_saveexec_b32 s10, s10
; %bb.11114:                            ;   in Loop: Header=BB6_10302 Depth=2
	s_delay_alu instid0(VALU_DEP_1)
	v_bfe_u32 v7, v10, 23, 1
; %bb.11115:                            ;   in Loop: Header=BB6_10302 Depth=2
	s_or_b32 exec_lo, exec_lo, s10
	s_delay_alu instid0(VALU_DEP_2) | instskip(NEXT) | instid1(VALU_DEP_2)
	v_lshrrev_b64 v[10:11], 20, v[10:11]
	v_cmp_gt_i32_e32 vcc_lo, 16, v7
	v_min_i32_e32 v20, 15, v7
	v_cmp_eq_u32_e64 s10, 0, v7
	s_delay_alu instid0(VALU_DEP_2) | instskip(SKIP_1) | instid1(VALU_DEP_2)
	v_dual_cndmask_b32 v10, 7, v10, vcc_lo :: v_dual_lshlrev_b32 v20, 3, v20
	v_cndmask_b32_e32 v11, 0, v11, vcc_lo
	v_and_b32_e32 v20, 0xf8, v20
	s_delay_alu instid0(VALU_DEP_2) | instskip(NEXT) | instid1(VALU_DEP_2)
	v_cmp_eq_u64_e32 vcc_lo, 0, v[10:11]
	v_and_or_b32 v7, v10, 7, v20
	s_and_b32 s10, s10, vcc_lo
	s_delay_alu instid0(VALU_DEP_1) | instid1(SALU_CYCLE_1)
	v_cndmask_b32_e64 v7, v7, 0, s10
	s_delay_alu instid0(VALU_DEP_1)
	v_or_b32_e32 v7, v7, v22
.LBB6_11116:                            ;   in Loop: Header=BB6_10302 Depth=2
	s_or_b32 exec_lo, exec_lo, s42
                                        ; implicit-def: $vgpr22
.LBB6_11117:                            ;   in Loop: Header=BB6_10302 Depth=2
	s_and_not1_saveexec_b32 s10, s41
; %bb.11118:                            ;   in Loop: Header=BB6_10302 Depth=2
	v_or_b32_e32 v7, 0x7e, v22
; %bb.11119:                            ;   in Loop: Header=BB6_10302 Depth=2
	s_or_b32 exec_lo, exec_lo, s10
                                        ; implicit-def: $vgpr11
.LBB6_11120:                            ;   in Loop: Header=BB6_10302 Depth=2
	s_and_not1_saveexec_b32 s10, s11
; %bb.11121:                            ;   in Loop: Header=BB6_10302 Depth=2
	v_or_b32_e32 v7, 0x7f, v11
; %bb.11122:                            ;   in Loop: Header=BB6_10302 Depth=2
	s_or_b32 exec_lo, exec_lo, s10
	v_dual_mov_b32 v11, 0 :: v_dual_lshrrev_b32 v20, 16, v52
	s_mov_b32 s10, exec_lo
	s_delay_alu instid0(VALU_DEP_1) | instskip(NEXT) | instid1(VALU_DEP_1)
	v_and_b32_e32 v10, 0xff, v20
	v_cmpx_ne_u16_e32 0, v10
	s_cbranch_execz .LBB6_11130
; %bb.11123:                            ;   in Loop: Header=BB6_10302 Depth=2
	v_bfrev_b32_e32 v11, 1
	s_mov_b32 s11, exec_lo
	v_cmpx_ne_u16_e32 0x80, v10
	s_cbranch_execz .LBB6_11129
; %bb.11124:                            ;   in Loop: Header=BB6_10302 Depth=2
	v_bfe_u32 v22, v52, 16, 7
	v_mov_b32_e32 v11, 0x7f800001
	s_mov_b32 s41, exec_lo
	s_delay_alu instid0(VALU_DEP_2)
	v_cmpx_ne_u32_e32 0x7f, v22
	s_cbranch_execz .LBB6_11128
; %bb.11125:                            ;   in Loop: Header=BB6_10302 Depth=2
	v_dual_mov_b32 v11, v53 :: v_dual_bitop2_b32 v10, 7, v20 bitop3:0x40
	v_lshrrev_b32_e32 v21, 3, v22
	s_mov_b32 s42, exec_lo
	v_cmpx_gt_u32_e32 8, v22
; %bb.11126:                            ;   in Loop: Header=BB6_10302 Depth=2
	s_delay_alu instid0(VALU_DEP_3) | instskip(NEXT) | instid1(VALU_DEP_1)
	v_clz_i32_u32_e32 v21, v10
	v_min_u32_e32 v21, 32, v21
	s_delay_alu instid0(VALU_DEP_1) | instskip(NEXT) | instid1(VALU_DEP_1)
	v_subrev_nc_u32_e32 v22, 28, v21
	v_lshlrev_b64_e32 v[10:11], v22, v[10:11]
	s_delay_alu instid0(VALU_DEP_1)
	v_dual_sub_nc_u32 v21, 29, v21 :: v_dual_bitop2_b32 v10, 7, v10 bitop3:0x40
; %bb.11127:                            ;   in Loop: Header=BB6_10302 Depth=2
	s_or_b32 exec_lo, exec_lo, s42
	s_delay_alu instid0(VALU_DEP_1) | instskip(NEXT) | instid1(VALU_DEP_2)
	v_dual_lshlrev_b32 v11, 24, v20 :: v_dual_lshlrev_b32 v10, 20, v10
	v_lshl_add_u32 v20, v21, 23, 0x3c000000
	s_delay_alu instid0(VALU_DEP_2) | instskip(NEXT) | instid1(VALU_DEP_1)
	v_and_b32_e32 v11, 0x80000000, v11
	v_or3_b32 v11, v10, v11, v20
.LBB6_11128:                            ;   in Loop: Header=BB6_10302 Depth=2
	s_or_b32 exec_lo, exec_lo, s41
.LBB6_11129:                            ;   in Loop: Header=BB6_10302 Depth=2
	s_delay_alu instid0(SALU_CYCLE_1)
	s_or_b32 exec_lo, exec_lo, s11
.LBB6_11130:                            ;   in Loop: Header=BB6_10302 Depth=2
	s_delay_alu instid0(SALU_CYCLE_1) | instskip(SKIP_3) | instid1(VALU_DEP_1)
	s_or_b32 exec_lo, exec_lo, s10
	v_lshrrev_b32_e32 v10, 16, v13
	s_mov_b32 s11, 0
	s_mov_b32 s10, exec_lo
	v_and_b32_e32 v21, 0xff, v10
	s_delay_alu instid0(VALU_DEP_1)
	v_cmpx_lt_i16_e32 0x7f, v21
	s_xor_b32 s10, exec_lo, s10
	s_cbranch_execnz .LBB6_11133
; %bb.11131:                            ;   in Loop: Header=BB6_10302 Depth=2
	s_or_saveexec_b32 s10, s10
	v_bfrev_b32_e32 v20, 1
	s_xor_b32 exec_lo, exec_lo, s10
	s_cbranch_execnz .LBB6_11136
.LBB6_11132:                            ;   in Loop: Header=BB6_10302 Depth=2
	s_or_b32 exec_lo, exec_lo, s10
	s_and_saveexec_b32 s10, s11
	s_cbranch_execnz .LBB6_11137
	s_branch .LBB6_11140
.LBB6_11133:                            ;   in Loop: Header=BB6_10302 Depth=2
	s_mov_b32 s11, -1
	s_mov_b32 s41, exec_lo
	v_cmpx_eq_u16_e32 0x80, v21
; %bb.11134:                            ;   in Loop: Header=BB6_10302 Depth=2
	s_xor_b32 s11, exec_lo, -1
; %bb.11135:                            ;   in Loop: Header=BB6_10302 Depth=2
	s_or_b32 exec_lo, exec_lo, s41
	s_delay_alu instid0(SALU_CYCLE_1)
	s_and_b32 s11, s11, exec_lo
                                        ; implicit-def: $vgpr21
	s_or_saveexec_b32 s10, s10
	v_bfrev_b32_e32 v20, 1
	s_xor_b32 exec_lo, exec_lo, s10
	s_cbranch_execz .LBB6_11132
.LBB6_11136:                            ;   in Loop: Header=BB6_10302 Depth=2
	v_cmp_ne_u16_e32 vcc_lo, 0, v21
	v_mov_b32_e32 v20, 0
	s_and_not1_b32 s11, s11, exec_lo
	s_and_b32 s41, vcc_lo, exec_lo
	s_delay_alu instid0(SALU_CYCLE_1)
	s_or_b32 s11, s11, s41
	s_or_b32 exec_lo, exec_lo, s10
	s_and_saveexec_b32 s10, s11
	s_cbranch_execz .LBB6_11140
.LBB6_11137:                            ;   in Loop: Header=BB6_10302 Depth=2
	v_and_b32_e32 v21, 0x7f, v10
	v_mov_b32_e32 v20, 0x7f800001
	s_mov_b32 s11, exec_lo
	s_delay_alu instid0(VALU_DEP_2)
	v_cmpx_ne_u32_e32 0x7f, v21
	s_cbranch_execz .LBB6_11139
; %bb.11138:                            ;   in Loop: Header=BB6_10302 Depth=2
	v_and_b32_e32 v20, 7, v10
	v_cmp_gt_u32_e32 vcc_lo, 8, v21
	s_delay_alu instid0(VALU_DEP_2) | instskip(NEXT) | instid1(VALU_DEP_1)
	v_clz_i32_u32_e32 v22, v20
	v_min_u32_e32 v26, 32, v22
	s_delay_alu instid0(VALU_DEP_1) | instskip(NEXT) | instid1(VALU_DEP_1)
	v_subrev_nc_u32_e32 v22, 28, v26
	v_lshlrev_b64_e32 v[22:23], v22, v[10:11]
	v_dual_lshrrev_b32 v23, 3, v21 :: v_dual_lshlrev_b32 v10, 24, v10
	s_delay_alu instid0(VALU_DEP_1) | instskip(NEXT) | instid1(VALU_DEP_3)
	v_and_b32_e32 v10, 0x80000000, v10
	v_and_b32_e32 v21, 7, v22
	s_delay_alu instid0(VALU_DEP_1) | instskip(NEXT) | instid1(VALU_DEP_1)
	v_dual_sub_nc_u32 v26, 29, v26 :: v_dual_cndmask_b32 v20, v20, v21, vcc_lo
	v_dual_cndmask_b32 v22, v23, v26, vcc_lo :: v_dual_lshlrev_b32 v20, 20, v20
	s_delay_alu instid0(VALU_DEP_1) | instskip(NEXT) | instid1(VALU_DEP_1)
	v_lshl_add_u32 v21, v22, 23, 0x3c000000
	v_or3_b32 v20, v20, v10, v21
.LBB6_11139:                            ;   in Loop: Header=BB6_10302 Depth=2
	s_or_b32 exec_lo, exec_lo, s11
.LBB6_11140:                            ;   in Loop: Header=BB6_10302 Depth=2
	s_delay_alu instid0(SALU_CYCLE_1) | instskip(NEXT) | instid1(VALU_DEP_1)
	s_or_b32 exec_lo, exec_lo, s10
	v_dual_add_f32 v10, v11, v20 :: v_dual_mov_b32 v21, v53
	s_delay_alu instid0(VALU_DEP_1) | instskip(SKIP_1) | instid1(VALU_DEP_2)
	v_and_b32_e32 v20, 0x7f800000, v10
	v_lshrrev_b32_e32 v11, 24, v10
	v_cmp_ne_u64_e32 vcc_lo, 0x7f800000, v[20:21]
                                        ; implicit-def: $vgpr20
	s_and_saveexec_b32 s10, vcc_lo
	s_delay_alu instid0(SALU_CYCLE_1)
	s_xor_b32 s11, exec_lo, s10
	s_cbranch_execz .LBB6_11154
; %bb.11141:                            ;   in Loop: Header=BB6_10302 Depth=2
	v_and_b32_e32 v20, 0x7fffffff, v10
	v_mov_b32_e32 v21, v53
	v_and_b32_e32 v22, 0x80, v11
	s_delay_alu instid0(VALU_DEP_2) | instskip(SKIP_1) | instid1(SALU_CYCLE_1)
	v_cmp_gt_u64_e32 vcc_lo, 0x43e00001, v[20:21]
                                        ; implicit-def: $vgpr20
	s_and_saveexec_b32 s10, vcc_lo
	s_xor_b32 s41, exec_lo, s10
	s_cbranch_execz .LBB6_11151
; %bb.11142:                            ;   in Loop: Header=BB6_10302 Depth=2
	v_mov_b32_e32 v20, 0
	s_mov_b32 s42, exec_lo
	v_cmpx_ne_u32_e32 0, v10
	s_cbranch_execz .LBB6_11150
; %bb.11143:                            ;   in Loop: Header=BB6_10302 Depth=2
	v_bfe_u32 v23, v10, 23, 8
	v_and_b32_e32 v20, 0x7fffff, v10
	s_mov_b32 s43, exec_lo
	s_delay_alu instid0(VALU_DEP_2) | instskip(NEXT) | instid1(VALU_DEP_2)
	v_cmp_gt_u32_e32 vcc_lo, 0x7a, v23
	v_or_b32_e32 v21, 0x800000, v20
	v_sub_nc_u32_e32 v11, 0x79, v23
	s_delay_alu instid0(VALU_DEP_1) | instskip(SKIP_1) | instid1(VALU_DEP_2)
	v_cndmask_b32_e32 v11, 0, v11, vcc_lo
	v_cmp_eq_u32_e32 vcc_lo, 0, v23
	v_cndmask_b32_e64 v26, v11, 0x78, vcc_lo
	v_cndmask_b32_e32 v20, v21, v20, vcc_lo
	s_delay_alu instid0(VALU_DEP_2) | instskip(SKIP_1) | instid1(VALU_DEP_2)
	v_dual_mov_b32 v21, v53 :: v_dual_add_nc_u32 v29, 19, v26
	v_add_nc_u32_e32 v10, 20, v26
	v_lshlrev_b64_e64 v[36:37], v29, 1
	s_delay_alu instid0(VALU_DEP_2) | instskip(NEXT) | instid1(VALU_DEP_1)
	v_lshlrev_b64_e64 v[10:11], v10, -1
	v_bfi_b32 v39, v11, 0, 0
	s_delay_alu instid0(VALU_DEP_2) | instskip(SKIP_1) | instid1(VALU_DEP_1)
	v_bfi_b32 v38, v10, 0, v20
	v_lshrrev_b64 v[10:11], v26, v[20:21]
	v_mov_b64_e32 v[20:21], v[10:11]
	s_delay_alu instid0(VALU_DEP_3)
	v_cmpx_eq_u64_e64 v[38:39], v[36:37]
; %bb.11144:                            ;   in Loop: Header=BB6_10302 Depth=2
	v_bfe_u32 v20, v10, 20, 1
	v_mov_b32_e32 v21, v53
	s_delay_alu instid0(VALU_DEP_1) | instskip(NEXT) | instid1(VALU_DEP_1)
	v_add_nc_u64_e32 v[20:21], v[10:11], v[20:21]
	v_add_nc_u64_e32 v[20:21], -1, v[20:21]
; %bb.11145:                            ;   in Loop: Header=BB6_10302 Depth=2
	s_or_b32 exec_lo, exec_lo, s43
	v_add_nc_u32_e32 v11, 0xffffff81, v23
	v_lshrrev_b32_e32 v21, 23, v10
	s_mov_b32 s10, exec_lo
	s_delay_alu instid0(VALU_DEP_2) | instskip(NEXT) | instid1(VALU_DEP_1)
	v_cndmask_b32_e64 v11, v11, 0xffffff82, vcc_lo
	v_add3_u32 v21, v26, v11, v21
	v_and_b32_e32 v11, 0xfffff, v20
                                        ; implicit-def: $vgpr20
	s_delay_alu instid0(VALU_DEP_1) | instskip(SKIP_1) | instid1(VALU_DEP_2)
	v_dual_add_nc_u32 v23, 6, v21 :: v_dual_add_nc_u32 v10, v11, v10
	v_mov_b32_e32 v11, v53
	v_cmpx_ne_u32_e32 0, v23
	s_xor_b32 s10, exec_lo, s10
; %bb.11146:                            ;   in Loop: Header=BB6_10302 Depth=2
	s_delay_alu instid0(VALU_DEP_2) | instskip(SKIP_2) | instid1(VALU_DEP_2)
	v_cmp_lt_u64_e32 vcc_lo, 0xffffff, v[10:11]
	v_add_nc_u32_e32 v20, 7, v21
	v_cndmask_b32_e64 v21, 0, 1, vcc_lo
	v_cndmask_b32_e32 v20, v23, v20, vcc_lo
	s_delay_alu instid0(VALU_DEP_2)
	v_lshrrev_b64 v[10:11], v21, v[10:11]
; %bb.11147:                            ;   in Loop: Header=BB6_10302 Depth=2
	s_and_not1_saveexec_b32 s10, s10
; %bb.11148:                            ;   in Loop: Header=BB6_10302 Depth=2
	s_delay_alu instid0(VALU_DEP_1)
	v_bfe_u32 v20, v10, 23, 1
; %bb.11149:                            ;   in Loop: Header=BB6_10302 Depth=2
	s_or_b32 exec_lo, exec_lo, s10
	s_delay_alu instid0(VALU_DEP_2) | instskip(NEXT) | instid1(VALU_DEP_2)
	v_lshrrev_b64 v[10:11], 20, v[10:11]
	v_cmp_gt_i32_e32 vcc_lo, 16, v20
	v_min_i32_e32 v21, 15, v20
	v_cmp_eq_u32_e64 s10, 0, v20
	s_delay_alu instid0(VALU_DEP_2) | instskip(SKIP_1) | instid1(VALU_DEP_2)
	v_dual_cndmask_b32 v11, 0, v11, vcc_lo :: v_dual_lshlrev_b32 v21, 3, v21
	v_cndmask_b32_e32 v10, 7, v10, vcc_lo
	v_and_b32_e32 v21, 0xf8, v21
	s_delay_alu instid0(VALU_DEP_2) | instskip(NEXT) | instid1(VALU_DEP_2)
	v_cmp_eq_u64_e32 vcc_lo, 0, v[10:11]
	v_and_or_b32 v10, v10, 7, v21
	s_and_b32 s10, s10, vcc_lo
	s_delay_alu instid0(VALU_DEP_1) | instid1(SALU_CYCLE_1)
	v_cndmask_b32_e64 v10, v10, 0, s10
	s_delay_alu instid0(VALU_DEP_1)
	v_or_b32_e32 v20, v10, v22
.LBB6_11150:                            ;   in Loop: Header=BB6_10302 Depth=2
	s_or_b32 exec_lo, exec_lo, s42
                                        ; implicit-def: $vgpr22
.LBB6_11151:                            ;   in Loop: Header=BB6_10302 Depth=2
	s_and_not1_saveexec_b32 s10, s41
; %bb.11152:                            ;   in Loop: Header=BB6_10302 Depth=2
	v_or_b32_e32 v20, 0x7e, v22
; %bb.11153:                            ;   in Loop: Header=BB6_10302 Depth=2
	s_or_b32 exec_lo, exec_lo, s10
                                        ; implicit-def: $vgpr11
.LBB6_11154:                            ;   in Loop: Header=BB6_10302 Depth=2
	s_and_not1_saveexec_b32 s10, s11
; %bb.11155:                            ;   in Loop: Header=BB6_10302 Depth=2
	v_or_b32_e32 v20, 0x7f, v11
; %bb.11156:                            ;   in Loop: Header=BB6_10302 Depth=2
	s_or_b32 exec_lo, exec_lo, s10
	v_mov_b32_e32 v11, 0
	s_mov_b32 s10, exec_lo
	v_cmpx_lt_u32_e32 0xffffff, v52
	s_cbranch_execz .LBB6_11164
; %bb.11157:                            ;   in Loop: Header=BB6_10302 Depth=2
	v_lshrrev_b32_e32 v21, 24, v52
	v_bfrev_b32_e32 v11, 1
	s_mov_b32 s11, exec_lo
	s_delay_alu instid0(VALU_DEP_2)
	v_cmpx_ne_u32_e32 0x80, v21
	s_cbranch_execz .LBB6_11163
; %bb.11158:                            ;   in Loop: Header=BB6_10302 Depth=2
	v_bfe_u32 v10, v52, 24, 7
	v_mov_b32_e32 v11, 0x7f800001
	s_mov_b32 s41, exec_lo
	s_delay_alu instid0(VALU_DEP_2)
	v_cmpx_ne_u32_e32 0x7f, v10
	s_cbranch_execz .LBB6_11162
; %bb.11159:                            ;   in Loop: Header=BB6_10302 Depth=2
	v_dual_lshrrev_b32 v22, 3, v10 :: v_dual_bitop2_b32 v52, 7, v21 bitop3:0x40
	v_cmp_gt_u32_e32 vcc_lo, 8, v10
	s_delay_alu instid0(VALU_DEP_2)
	v_mov_b64_e32 v[10:11], v[52:53]
	s_and_saveexec_b32 s42, vcc_lo
; %bb.11160:                            ;   in Loop: Header=BB6_10302 Depth=2
	v_clz_i32_u32_e32 v10, v52
	s_delay_alu instid0(VALU_DEP_1) | instskip(NEXT) | instid1(VALU_DEP_1)
	v_min_u32_e32 v22, 32, v10
	v_subrev_nc_u32_e32 v10, 28, v22
	v_sub_nc_u32_e32 v22, 29, v22
	s_delay_alu instid0(VALU_DEP_2) | instskip(NEXT) | instid1(VALU_DEP_1)
	v_lshlrev_b64_e32 v[10:11], v10, v[52:53]
	v_and_b32_e32 v10, 7, v10
; %bb.11161:                            ;   in Loop: Header=BB6_10302 Depth=2
	s_or_b32 exec_lo, exec_lo, s42
	s_delay_alu instid0(VALU_DEP_1) | instskip(SKIP_1) | instid1(VALU_DEP_2)
	v_dual_lshlrev_b32 v11, 24, v21 :: v_dual_lshlrev_b32 v10, 20, v10
	v_lshl_add_u32 v21, v22, 23, 0x3c000000
	v_and_b32_e32 v11, 0x80000000, v11
	s_delay_alu instid0(VALU_DEP_1)
	v_or3_b32 v11, v10, v11, v21
.LBB6_11162:                            ;   in Loop: Header=BB6_10302 Depth=2
	s_or_b32 exec_lo, exec_lo, s41
.LBB6_11163:                            ;   in Loop: Header=BB6_10302 Depth=2
	s_delay_alu instid0(SALU_CYCLE_1)
	s_or_b32 exec_lo, exec_lo, s11
.LBB6_11164:                            ;   in Loop: Header=BB6_10302 Depth=2
	s_delay_alu instid0(SALU_CYCLE_1) | instskip(SKIP_3) | instid1(VALU_DEP_3)
	s_or_b32 exec_lo, exec_lo, s10
	v_lshrrev_b32_e32 v10, 24, v13
	v_bfe_u32 v21, v13, 24, 7
	v_cmp_gt_u64_e64 s11, s[14:15], v[12:13]
	v_cmp_eq_u32_e64 s10, 0x80, v10
	s_delay_alu instid0(VALU_DEP_3) | instskip(NEXT) | instid1(VALU_DEP_2)
	v_cmp_eq_u32_e32 vcc_lo, 0x7f, v21
	v_cndmask_b32_e64 v22, 0x7f800001, v119, s10
	s_or_b32 s10, s10, vcc_lo
	s_delay_alu instid0(VALU_DEP_1) | instskip(SKIP_1) | instid1(SALU_CYCLE_1)
	v_cndmask_b32_e64 v12, v22, 0, s11
	s_nor_b32 s11, s11, s10
	s_and_saveexec_b32 s10, s11
	s_cbranch_execz .LBB6_11166
; %bb.11165:                            ;   in Loop: Header=BB6_10302 Depth=2
	v_and_b32_e32 v22, 7, v10
	v_cmp_gt_u32_e32 vcc_lo, 8, v21
	s_delay_alu instid0(VALU_DEP_2) | instskip(NEXT) | instid1(VALU_DEP_1)
	v_clz_i32_u32_e32 v12, v22
	v_min_u32_e32 v23, 32, v12
	s_delay_alu instid0(VALU_DEP_1) | instskip(NEXT) | instid1(VALU_DEP_1)
	v_subrev_nc_u32_e32 v12, 28, v23
	v_lshlrev_b64_e32 v[12:13], v12, v[10:11]
	v_dual_lshrrev_b32 v13, 3, v21 :: v_dual_sub_nc_u32 v23, 29, v23
	s_delay_alu instid0(VALU_DEP_2) | instskip(NEXT) | instid1(VALU_DEP_1)
	v_dual_lshlrev_b32 v10, 24, v10 :: v_dual_bitop2_b32 v12, 7, v12 bitop3:0x40
	v_dual_cndmask_b32 v13, v13, v23 :: v_dual_cndmask_b32 v12, v22, v12
	s_delay_alu instid0(VALU_DEP_2) | instskip(NEXT) | instid1(VALU_DEP_2)
	v_and_b32_e32 v10, 0x80000000, v10
	v_lshl_add_u32 v13, v13, 23, 0x3c000000
	s_delay_alu instid0(VALU_DEP_3) | instskip(NEXT) | instid1(VALU_DEP_1)
	v_lshlrev_b32_e32 v12, 20, v12
	v_or3_b32 v12, v12, v10, v13
.LBB6_11166:                            ;   in Loop: Header=BB6_10302 Depth=2
	s_or_b32 exec_lo, exec_lo, s10
	s_delay_alu instid0(VALU_DEP_1) | instskip(SKIP_1) | instid1(VALU_DEP_1)
	v_add_f32_e32 v11, v11, v12
                                        ; implicit-def: $vgpr10
	s_mov_b32 s10, exec_lo
	v_and_b32_e32 v52, 0x7f800000, v11
	v_lshrrev_b32_e32 v12, 24, v11
	s_delay_alu instid0(VALU_DEP_2)
	v_cmpx_ne_u64_e32 0x7f800000, v[52:53]
	s_xor_b32 s11, exec_lo, s10
	s_cbranch_execz .LBB6_11180
; %bb.11167:                            ;   in Loop: Header=BB6_10302 Depth=2
	v_and_b32_e32 v52, 0x7fffffff, v11
	v_and_b32_e32 v21, 0x80, v12
                                        ; implicit-def: $vgpr10
	s_mov_b32 s10, exec_lo
	s_delay_alu instid0(VALU_DEP_2)
	v_cmpx_gt_u64_e32 0x43e00001, v[52:53]
	s_xor_b32 s41, exec_lo, s10
	s_cbranch_execz .LBB6_11177
; %bb.11168:                            ;   in Loop: Header=BB6_10302 Depth=2
	v_mov_b32_e32 v10, 0
	s_mov_b32 s42, exec_lo
	v_cmpx_ne_u32_e32 0, v11
	s_cbranch_execz .LBB6_11176
; %bb.11169:                            ;   in Loop: Header=BB6_10302 Depth=2
	v_bfe_u32 v22, v11, 23, 8
	v_and_b32_e32 v12, 0x7fffff, v11
	s_delay_alu instid0(VALU_DEP_2) | instskip(SKIP_1) | instid1(VALU_DEP_3)
	v_sub_nc_u32_e32 v10, 0x79, v22
	v_cmp_gt_u32_e32 vcc_lo, 0x7a, v22
	v_or_b32_e32 v13, 0x800000, v12
	s_delay_alu instid0(VALU_DEP_3) | instskip(SKIP_1) | instid1(VALU_DEP_2)
	v_cndmask_b32_e32 v10, 0, v10, vcc_lo
	v_cmp_eq_u32_e32 vcc_lo, 0, v22
	v_cndmask_b32_e64 v23, v10, 0x78, vcc_lo
	s_delay_alu instid0(VALU_DEP_1) | instskip(SKIP_1) | instid1(VALU_DEP_2)
	v_dual_cndmask_b32 v52, v13, v12, vcc_lo :: v_dual_add_nc_u32 v10, 20, v23
	v_add_nc_u32_e32 v26, 19, v23
	v_lshlrev_b64_e64 v[10:11], v10, -1
	s_delay_alu instid0(VALU_DEP_2) | instskip(NEXT) | instid1(VALU_DEP_2)
	v_lshlrev_b64_e64 v[12:13], v26, 1
	v_bfi_b32 v37, v11, 0, 0
	s_delay_alu instid0(VALU_DEP_3) | instskip(SKIP_1) | instid1(VALU_DEP_2)
	v_bfi_b32 v36, v10, 0, v52
	v_lshrrev_b64 v[10:11], v23, v[52:53]
	v_cmp_eq_u64_e64 s10, v[36:37], v[12:13]
	s_delay_alu instid0(VALU_DEP_2)
	v_mov_b64_e32 v[12:13], v[10:11]
	s_and_saveexec_b32 s43, s10
; %bb.11170:                            ;   in Loop: Header=BB6_10302 Depth=2
	v_bfe_u32 v52, v10, 20, 1
	s_delay_alu instid0(VALU_DEP_1) | instskip(NEXT) | instid1(VALU_DEP_1)
	v_add_nc_u64_e32 v[12:13], v[10:11], v[52:53]
	v_add_nc_u64_e32 v[12:13], -1, v[12:13]
; %bb.11171:                            ;   in Loop: Header=BB6_10302 Depth=2
	s_or_b32 exec_lo, exec_lo, s43
	v_add_nc_u32_e32 v11, 0xffffff81, v22
	v_lshrrev_b32_e32 v13, 23, v10
	s_mov_b32 s10, exec_lo
	s_delay_alu instid0(VALU_DEP_2) | instskip(NEXT) | instid1(VALU_DEP_1)
	v_cndmask_b32_e64 v11, v11, 0xffffff82, vcc_lo
	v_add3_u32 v13, v23, v11, v13
	v_and_b32_e32 v11, 0xfffff, v12
                                        ; implicit-def: $vgpr12
	s_delay_alu instid0(VALU_DEP_1) | instskip(NEXT) | instid1(VALU_DEP_1)
	v_dual_add_nc_u32 v22, 6, v13 :: v_dual_add_nc_u32 v52, v11, v10
                                        ; implicit-def: $vgpr10_vgpr11
	v_cmpx_ne_u32_e32 0, v22
	s_xor_b32 s10, exec_lo, s10
; %bb.11172:                            ;   in Loop: Header=BB6_10302 Depth=2
	s_delay_alu instid0(VALU_DEP_2) | instskip(SKIP_1) | instid1(VALU_DEP_1)
	v_cmp_lt_u64_e32 vcc_lo, 0xffffff, v[52:53]
	v_add_nc_u32_e32 v10, 7, v13
	v_cndmask_b32_e32 v12, v22, v10, vcc_lo
	v_cndmask_b32_e64 v10, 0, 1, vcc_lo
	s_delay_alu instid0(VALU_DEP_1)
	v_lshrrev_b64 v[10:11], v10, v[52:53]
; %bb.11173:                            ;   in Loop: Header=BB6_10302 Depth=2
	s_and_not1_saveexec_b32 s10, s10
; %bb.11174:                            ;   in Loop: Header=BB6_10302 Depth=2
	v_mov_b64_e32 v[10:11], v[52:53]
	v_bfe_u32 v12, v52, 23, 1
; %bb.11175:                            ;   in Loop: Header=BB6_10302 Depth=2
	s_or_b32 exec_lo, exec_lo, s10
	s_delay_alu instid0(VALU_DEP_2) | instskip(NEXT) | instid1(VALU_DEP_2)
	v_lshrrev_b64 v[10:11], 20, v[10:11]
	v_cmp_gt_i32_e32 vcc_lo, 16, v12
	v_min_i32_e32 v13, 15, v12
	v_cmp_eq_u32_e64 s10, 0, v12
	s_delay_alu instid0(VALU_DEP_2) | instskip(SKIP_1) | instid1(VALU_DEP_2)
	v_dual_cndmask_b32 v11, 0, v11, vcc_lo :: v_dual_lshlrev_b32 v13, 3, v13
	v_cndmask_b32_e32 v10, 7, v10, vcc_lo
	v_and_b32_e32 v13, 0xf8, v13
	s_delay_alu instid0(VALU_DEP_2) | instskip(NEXT) | instid1(VALU_DEP_2)
	v_cmp_eq_u64_e32 vcc_lo, 0, v[10:11]
	v_and_or_b32 v10, v10, 7, v13
	s_and_b32 s10, s10, vcc_lo
	s_delay_alu instid0(VALU_DEP_1) | instid1(SALU_CYCLE_1)
	v_cndmask_b32_e64 v10, v10, 0, s10
	s_delay_alu instid0(VALU_DEP_1)
	v_or_b32_e32 v10, v10, v21
.LBB6_11176:                            ;   in Loop: Header=BB6_10302 Depth=2
	s_or_b32 exec_lo, exec_lo, s42
                                        ; implicit-def: $vgpr21
.LBB6_11177:                            ;   in Loop: Header=BB6_10302 Depth=2
	s_and_not1_saveexec_b32 s10, s41
; %bb.11178:                            ;   in Loop: Header=BB6_10302 Depth=2
	v_or_b32_e32 v10, 0x7e, v21
; %bb.11179:                            ;   in Loop: Header=BB6_10302 Depth=2
	s_or_b32 exec_lo, exec_lo, s10
                                        ; implicit-def: $vgpr12
.LBB6_11180:                            ;   in Loop: Header=BB6_10302 Depth=2
	s_and_not1_saveexec_b32 s10, s11
	s_cbranch_execz .LBB6_10301
; %bb.11181:                            ;   in Loop: Header=BB6_10302 Depth=2
	v_or_b32_e32 v10, 0x7f, v12
	s_branch .LBB6_10301
.LBB6_11182:                            ;   in Loop: Header=BB6_6725 Depth=1
	s_or_b32 exec_lo, exec_lo, s28
.LBB6_11183:                            ;   in Loop: Header=BB6_6725 Depth=1
	s_delay_alu instid0(SALU_CYCLE_1) | instskip(SKIP_3) | instid1(VALU_DEP_2)
	s_or_b32 exec_lo, exec_lo, s27
	v_cmp_lt_i32_e32 vcc_lo, 0, v2
	v_and_b32_e32 v3, 15, v41
	v_and_b32_e32 v4, 0x1f0, v41
	v_dual_cndmask_b32 v5, 0, v54, vcc_lo :: v_dual_cndmask_b32 v3, v1, v3, s7
	s_delay_alu instid0(VALU_DEP_1) | instskip(NEXT) | instid1(VALU_DEP_2)
	v_dual_cndmask_b32 v1, 0, v4, s7 :: v_dual_sub_nc_u32 v4, v5, v2
	v_cmp_ne_u32_e32 vcc_lo, 0, v3
	s_delay_alu instid0(VALU_DEP_2) | instskip(NEXT) | instid1(VALU_DEP_3)
	v_and_or_b32 v2, 0x3ffffe00, v41, v1
	v_lshl_add_u32 v20, v4, 5, v0
	s_and_b32 s7, vcc_lo, exec_lo
.LBB6_11184:                            ;   in Loop: Header=BB6_6725 Depth=1
	s_or_b32 exec_lo, exec_lo, s26
	s_and_saveexec_b32 s26, s7
	s_cbranch_execz .LBB6_13313
.LBB6_11185:                            ;   in Loop: Header=BB6_6725 Depth=1
	s_wait_loadcnt 0x0
	v_dual_ashrrev_i32 v0, 31, v20 :: v_dual_lshrrev_b32 v1, 10, v3
	s_mov_b32 s27, exec_lo
	s_delay_alu instid0(VALU_DEP_1) | instskip(NEXT) | instid1(VALU_DEP_1)
	v_lshrrev_b32_e32 v0, 27, v0
	v_add_nc_u32_e32 v0, v20, v0
	s_delay_alu instid0(VALU_DEP_1) | instskip(NEXT) | instid1(VALU_DEP_1)
	v_ashrrev_i32_e32 v21, 5, v0
	v_sub_nc_u32_e32 v22, v1, v21
	s_delay_alu instid0(VALU_DEP_1)
	v_cmpx_lt_i32_e32 0, v22
	s_cbranch_execz .LBB6_13241
; %bb.11186:                            ;   in Loop: Header=BB6_6725 Depth=1
	v_and_b32_e32 v4, 0xffffffe0, v0
	s_trap 2
	ds_load_b64 v[0:1], v0
	v_lshlrev_b32_e32 v5, 10, v21
	v_add_nc_u64_e32 v[6:7], 0x3e0, v[96:97]
	v_sub_nc_u32_e32 v4, v20, v4
	s_mov_b32 s28, 0
	s_delay_alu instid0(VALU_DEP_1) | instskip(NEXT) | instid1(VALU_DEP_1)
	v_add3_u32 v4, v2, v4, v5
	v_ashrrev_i32_e32 v5, 31, v4
	s_delay_alu instid0(VALU_DEP_1)
	v_add_nc_u64_e32 v[10:11], v[4:5], v[86:87]
	v_add_nc_u64_e32 v[14:15], v[6:7], v[4:5]
	s_wait_dscnt 0x0
	v_add_nc_u64_e32 v[12:13], v[0:1], v[4:5]
	s_branch .LBB6_11188
.LBB6_11187:                            ;   in Loop: Header=BB6_11188 Depth=2
	s_or_b32 exec_lo, exec_lo, s7
	v_sub_nc_u32_e32 v22, v22, v54
	s_clause 0x1f
	flat_store_b8 v[14:15], v5 offset:-992 th:TH_STORE_NT
	flat_store_b8 v[14:15], v26 offset:-960 th:TH_STORE_NT
	;; [unrolled: 1-line block ×31, first 2 shown]
	flat_store_b8 v[14:15], v1 th:TH_STORE_NT
	v_add_nc_u64_e32 v[10:11], v[10:11], v[70:71]
	v_add_nc_u64_e32 v[12:13], v[12:13], v[70:71]
	v_cmp_gt_i32_e32 vcc_lo, 1, v22
	s_wait_xcnt 0x0
	v_add_nc_u64_e32 v[14:15], v[14:15], v[70:71]
	s_or_b32 s28, vcc_lo, s28
	s_delay_alu instid0(SALU_CYCLE_1)
	s_and_not1_b32 exec_lo, exec_lo, s28
	s_cbranch_execz .LBB6_13240
.LBB6_11188:                            ;   Parent Loop BB6_6725 Depth=1
                                        ; =>  This Inner Loop Header: Depth=2
	s_trap 2
	ds_load_b64 v[4:5], v0
	s_mov_b32 s29, 0
	s_wait_dscnt 0x0
	v_and_b32_e32 v0, 0xff, v4
	v_readfirstlane_b32 s10, v4
	v_readfirstlane_b32 s11, v5
	s_delay_alu instid0(VALU_DEP_3)
	v_cmp_eq_u32_e32 vcc_lo, 0, v0
	s_cbranch_vccnz .LBB6_11192
; %bb.11189:                            ;   in Loop: Header=BB6_11188 Depth=2
	v_cmp_eq_u32_e32 vcc_lo, 0x80, v0
	s_brev_b32 s29, 1
	s_cbranch_vccnz .LBB6_11192
; %bb.11190:                            ;   in Loop: Header=BB6_11188 Depth=2
	s_and_b32 s7, s10, 0x7f
	s_mov_b32 s29, 0x7f800001
	s_cmp_eq_u32 s7, 0x7f
	s_cbranch_scc1 .LBB6_11192
; %bb.11191:                            ;   in Loop: Header=BB6_11188 Depth=2
	s_and_b32 s29, s10, 7
	s_lshr_b32 s40, s7, 3
	s_clz_i32_u32 s29, s29
	s_delay_alu instid0(SALU_CYCLE_1) | instskip(NEXT) | instid1(SALU_CYCLE_1)
	s_min_u32 s29, s29, 32
	s_sub_co_i32 s41, s29, 28
	s_sub_co_i32 s29, 29, s29
	s_cmp_lt_u32 s7, 8
	s_cselect_b32 s7, s41, 0
	s_cselect_b32 s29, s29, s40
	s_lshl_b64 s[40:41], s[10:11], s7
	s_lshl_b32 s7, s10, 24
	s_lshl_b32 s10, s40, 20
	;; [unrolled: 1-line block ×3, first 2 shown]
	s_and_b32 s10, s10, 0x700000
	s_and_b32 s7, s7, 0x80000000
	s_add_co_i32 s11, s11, 0x3c000000
	s_or_b32 s7, s10, s7
	s_delay_alu instid0(SALU_CYCLE_1)
	s_or_b32 s29, s11, s7
.LBB6_11192:                            ;   in Loop: Header=BB6_11188 Depth=2
	flat_load_u8 v0, v[10:11] th:TH_LOAD_NT
	v_mov_b32_e32 v1, 0
	s_mov_b32 s7, exec_lo
	s_wait_loadcnt_dscnt 0x0
	s_wait_xcnt 0x0
	v_cmpx_ne_u16_e32 0, v0
	s_cbranch_execz .LBB6_11200
; %bb.11193:                            ;   in Loop: Header=BB6_11188 Depth=2
	v_bfrev_b32_e32 v1, 1
	s_mov_b32 s10, exec_lo
	v_cmpx_ne_u16_e32 0x80, v0
	s_cbranch_execz .LBB6_11199
; %bb.11194:                            ;   in Loop: Header=BB6_11188 Depth=2
	v_and_b32_e32 v5, 0xffff, v0
	v_mov_b32_e32 v1, 0x7f800001
	s_mov_b32 s11, exec_lo
	s_delay_alu instid0(VALU_DEP_2) | instskip(NEXT) | instid1(VALU_DEP_1)
	v_and_b32_e32 v4, 0x7f, v5
	v_cmpx_ne_u32_e32 0x7f, v4
	s_cbranch_execz .LBB6_11198
; %bb.11195:                            ;   in Loop: Header=BB6_11188 Depth=2
	v_dual_lshrrev_b32 v1, 3, v4 :: v_dual_bitop2_b32 v52, 7, v5 bitop3:0x40
	s_mov_b32 s40, exec_lo
	s_delay_alu instid0(VALU_DEP_1)
	v_mov_b64_e32 v[16:17], v[52:53]
	v_cmpx_gt_u32_e32 8, v4
; %bb.11196:                            ;   in Loop: Header=BB6_11188 Depth=2
	v_clz_i32_u32_e32 v1, v52
	s_delay_alu instid0(VALU_DEP_1) | instskip(NEXT) | instid1(VALU_DEP_1)
	v_min_u32_e32 v1, 32, v1
	v_subrev_nc_u32_e32 v4, 28, v1
	s_delay_alu instid0(VALU_DEP_1) | instskip(NEXT) | instid1(VALU_DEP_1)
	v_lshlrev_b64_e32 v[4:5], v4, v[52:53]
	v_dual_sub_nc_u32 v1, 29, v1 :: v_dual_bitop2_b32 v16, 7, v4 bitop3:0x40
; %bb.11197:                            ;   in Loop: Header=BB6_11188 Depth=2
	s_or_b32 exec_lo, exec_lo, s40
	v_lshlrev_b32_e32 v0, 24, v0
	s_delay_alu instid0(VALU_DEP_2) | instskip(NEXT) | instid1(VALU_DEP_3)
	v_lshlrev_b32_e32 v4, 20, v16
	v_lshl_add_u32 v1, v1, 23, 0x3c000000
	s_delay_alu instid0(VALU_DEP_3) | instskip(NEXT) | instid1(VALU_DEP_1)
	v_and_b32_e32 v0, 0x80000000, v0
	v_or3_b32 v1, v4, v0, v1
.LBB6_11198:                            ;   in Loop: Header=BB6_11188 Depth=2
	s_or_b32 exec_lo, exec_lo, s11
.LBB6_11199:                            ;   in Loop: Header=BB6_11188 Depth=2
	s_delay_alu instid0(SALU_CYCLE_1)
	s_or_b32 exec_lo, exec_lo, s10
.LBB6_11200:                            ;   in Loop: Header=BB6_11188 Depth=2
	s_delay_alu instid0(SALU_CYCLE_1) | instskip(NEXT) | instid1(VALU_DEP_1)
	s_or_b32 exec_lo, exec_lo, s7
	v_mul_f32_e32 v1, s29, v1
                                        ; implicit-def: $vgpr5
	s_mov_b32 s7, exec_lo
	s_delay_alu instid0(VALU_DEP_1) | instskip(SKIP_1) | instid1(VALU_DEP_2)
	v_and_b32_e32 v52, 0x7f800000, v1
	v_lshrrev_b32_e32 v0, 24, v1
	v_cmpx_ne_u64_e32 0x7f800000, v[52:53]
	s_xor_b32 s10, exec_lo, s7
	s_cbranch_execz .LBB6_11218
; %bb.11201:                            ;   in Loop: Header=BB6_11188 Depth=2
	v_and_b32_e32 v52, 0x7fffffff, v1
	v_and_b32_e32 v0, 0x80, v0
                                        ; implicit-def: $vgpr5
	s_mov_b32 s7, exec_lo
	s_delay_alu instid0(VALU_DEP_2)
	v_cmpx_gt_u64_e32 0x43e00001, v[52:53]
	s_xor_b32 s11, exec_lo, s7
	s_cbranch_execz .LBB6_11215
; %bb.11202:                            ;   in Loop: Header=BB6_11188 Depth=2
	v_mov_b32_e32 v5, 0
	s_mov_b32 s40, exec_lo
	v_cmpx_ne_u32_e32 0, v1
	s_cbranch_execz .LBB6_11214
; %bb.11203:                            ;   in Loop: Header=BB6_11188 Depth=2
	v_bfe_u32 v4, v1, 23, 8
	v_and_b32_e32 v1, 0x7fffff, v1
	s_mov_b32 s41, exec_lo
	s_delay_alu instid0(VALU_DEP_2) | instskip(NEXT) | instid1(VALU_DEP_2)
	v_cmp_gt_u32_e32 vcc_lo, 0x7a, v4
	v_or_b32_e32 v8, 0x800000, v1
	v_sub_nc_u32_e32 v5, 0x79, v4
	s_delay_alu instid0(VALU_DEP_1) | instskip(SKIP_1) | instid1(VALU_DEP_2)
	v_cndmask_b32_e32 v5, 0, v5, vcc_lo
	v_cmp_eq_u32_e32 vcc_lo, 0, v4
	v_cndmask_b32_e64 v5, v5, 0x78, vcc_lo
	v_cndmask_b32_e32 v52, v8, v1, vcc_lo
	s_delay_alu instid0(VALU_DEP_2) | instskip(NEXT) | instid1(VALU_DEP_2)
	v_dual_add_nc_u32 v6, 20, v5 :: v_dual_add_nc_u32 v9, 19, v5
	v_lshrrev_b64 v[16:17], v5, v[52:53]
	s_delay_alu instid0(VALU_DEP_2) | instskip(NEXT) | instid1(VALU_DEP_3)
	v_lshlrev_b64_e64 v[6:7], v6, -1
	v_lshlrev_b64_e64 v[8:9], v9, 1
	s_delay_alu instid0(VALU_DEP_3) | instskip(NEXT) | instid1(VALU_DEP_3)
	v_mov_b64_e32 v[18:19], v[16:17]
	v_bfi_b32 v7, v7, 0, 0
	s_delay_alu instid0(VALU_DEP_4) | instskip(NEXT) | instid1(VALU_DEP_1)
	v_bfi_b32 v6, v6, 0, v52
	v_cmpx_eq_u64_e64 v[6:7], v[8:9]
; %bb.11204:                            ;   in Loop: Header=BB6_11188 Depth=2
	v_bfe_u32 v52, v16, 20, 1
	s_delay_alu instid0(VALU_DEP_1) | instskip(NEXT) | instid1(VALU_DEP_1)
	v_add_nc_u64_e32 v[6:7], v[16:17], v[52:53]
	v_add_nc_u64_e32 v[18:19], -1, v[6:7]
; %bb.11205:                            ;   in Loop: Header=BB6_11188 Depth=2
	s_or_b32 exec_lo, exec_lo, s41
	v_add_nc_u32_e32 v1, 0xffffff81, v4
	v_lshrrev_b32_e32 v4, 23, v16
	s_mov_b32 s7, exec_lo
	s_delay_alu instid0(VALU_DEP_2) | instskip(NEXT) | instid1(VALU_DEP_1)
	v_cndmask_b32_e64 v1, v1, 0xffffff82, vcc_lo
	v_add3_u32 v4, v5, v1, v4
	v_and_b32_e32 v1, 0xfffff, v18
	s_delay_alu instid0(VALU_DEP_2) | instskip(NEXT) | instid1(VALU_DEP_2)
	v_add_nc_u32_e32 v5, 6, v4
	v_add_nc_u32_e32 v52, v1, v16
                                        ; implicit-def: $vgpr16_vgpr17
                                        ; implicit-def: $vgpr1
	s_delay_alu instid0(VALU_DEP_2)
	v_cmpx_ne_u32_e32 0, v5
	s_xor_b32 s7, exec_lo, s7
; %bb.11206:                            ;   in Loop: Header=BB6_11188 Depth=2
	s_delay_alu instid0(VALU_DEP_2) | instskip(SKIP_2) | instid1(VALU_DEP_2)
	v_cmp_lt_u64_e32 vcc_lo, 0xffffff, v[52:53]
	v_add_nc_u32_e32 v1, 7, v4
	v_cndmask_b32_e64 v4, 0, 1, vcc_lo
	v_cndmask_b32_e32 v1, v5, v1, vcc_lo
	s_delay_alu instid0(VALU_DEP_2)
	v_lshrrev_b64 v[16:17], v4, v[52:53]
; %bb.11207:                            ;   in Loop: Header=BB6_11188 Depth=2
	s_and_not1_saveexec_b32 s7, s7
; %bb.11208:                            ;   in Loop: Header=BB6_11188 Depth=2
	v_mov_b64_e32 v[16:17], v[52:53]
	v_bfe_u32 v1, v52, 23, 1
; %bb.11209:                            ;   in Loop: Header=BB6_11188 Depth=2
	s_or_b32 exec_lo, exec_lo, s7
	s_delay_alu instid0(VALU_DEP_2) | instskip(NEXT) | instid1(VALU_DEP_2)
	v_lshrrev_b64 v[4:5], 20, v[16:17]
	v_cmp_gt_i32_e32 vcc_lo, 16, v1
	v_cmp_ne_u32_e64 s7, 0, v1
	s_delay_alu instid0(VALU_DEP_3) | instskip(NEXT) | instid1(VALU_DEP_1)
	v_dual_cndmask_b32 v17, 0, v5 :: v_dual_cndmask_b32 v16, 7, v4
                                        ; implicit-def: $vgpr5
	v_cmp_ne_u64_e32 vcc_lo, 0, v[16:17]
	s_or_b32 s7, s7, vcc_lo
	s_delay_alu instid0(SALU_CYCLE_1) | instskip(NEXT) | instid1(SALU_CYCLE_1)
	s_and_saveexec_b32 s41, s7
	s_xor_b32 s7, exec_lo, s41
; %bb.11210:                            ;   in Loop: Header=BB6_11188 Depth=2
	v_min_i32_e32 v1, 15, v1
	s_delay_alu instid0(VALU_DEP_1) | instskip(NEXT) | instid1(VALU_DEP_1)
	v_lshl_or_b32 v0, v1, 3, v0
	v_and_or_b32 v5, v16, 7, v0
                                        ; implicit-def: $vgpr0
; %bb.11211:                            ;   in Loop: Header=BB6_11188 Depth=2
	s_and_not1_saveexec_b32 s7, s7
; %bb.11212:                            ;   in Loop: Header=BB6_11188 Depth=2
	v_mov_b32_e32 v5, v0
; %bb.11213:                            ;   in Loop: Header=BB6_11188 Depth=2
	s_or_b32 exec_lo, exec_lo, s7
.LBB6_11214:                            ;   in Loop: Header=BB6_11188 Depth=2
	s_delay_alu instid0(SALU_CYCLE_1)
	s_or_b32 exec_lo, exec_lo, s40
                                        ; implicit-def: $vgpr0
.LBB6_11215:                            ;   in Loop: Header=BB6_11188 Depth=2
	s_and_not1_saveexec_b32 s7, s11
; %bb.11216:                            ;   in Loop: Header=BB6_11188 Depth=2
	v_or_b32_e32 v5, 0x7e, v0
; %bb.11217:                            ;   in Loop: Header=BB6_11188 Depth=2
	s_or_b32 exec_lo, exec_lo, s7
                                        ; implicit-def: $vgpr0
.LBB6_11218:                            ;   in Loop: Header=BB6_11188 Depth=2
	s_and_not1_saveexec_b32 s7, s10
; %bb.11219:                            ;   in Loop: Header=BB6_11188 Depth=2
	v_or_b32_e32 v5, 0x7f, v0
; %bb.11220:                            ;   in Loop: Header=BB6_11188 Depth=2
	s_or_b32 exec_lo, exec_lo, s7
	flat_load_u8 v0, v[10:11] offset:32 th:TH_LOAD_NT
	v_mov_b32_e32 v1, 0
	s_mov_b32 s7, exec_lo
	s_wait_loadcnt_dscnt 0x0
	s_wait_xcnt 0x0
	v_cmpx_ne_u16_e32 0, v0
	s_cbranch_execz .LBB6_11228
; %bb.11221:                            ;   in Loop: Header=BB6_11188 Depth=2
	v_bfrev_b32_e32 v1, 1
	s_mov_b32 s10, exec_lo
	v_cmpx_ne_u16_e32 0x80, v0
	s_cbranch_execz .LBB6_11227
; %bb.11222:                            ;   in Loop: Header=BB6_11188 Depth=2
	v_and_b32_e32 v6, 0xffff, v0
	v_mov_b32_e32 v1, 0x7f800001
	s_mov_b32 s11, exec_lo
	s_delay_alu instid0(VALU_DEP_2) | instskip(NEXT) | instid1(VALU_DEP_1)
	v_and_b32_e32 v4, 0x7f, v6
	v_cmpx_ne_u32_e32 0x7f, v4
	s_cbranch_execz .LBB6_11226
; %bb.11223:                            ;   in Loop: Header=BB6_11188 Depth=2
	v_dual_lshrrev_b32 v1, 3, v4 :: v_dual_bitop2_b32 v52, 7, v6 bitop3:0x40
	s_mov_b32 s40, exec_lo
	s_delay_alu instid0(VALU_DEP_1)
	v_mov_b64_e32 v[16:17], v[52:53]
	v_cmpx_gt_u32_e32 8, v4
; %bb.11224:                            ;   in Loop: Header=BB6_11188 Depth=2
	v_clz_i32_u32_e32 v1, v52
	s_delay_alu instid0(VALU_DEP_1) | instskip(NEXT) | instid1(VALU_DEP_1)
	v_min_u32_e32 v1, 32, v1
	v_subrev_nc_u32_e32 v4, 28, v1
	s_delay_alu instid0(VALU_DEP_1) | instskip(NEXT) | instid1(VALU_DEP_1)
	v_lshlrev_b64_e32 v[6:7], v4, v[52:53]
	v_dual_sub_nc_u32 v1, 29, v1 :: v_dual_bitop2_b32 v16, 7, v6 bitop3:0x40
; %bb.11225:                            ;   in Loop: Header=BB6_11188 Depth=2
	s_or_b32 exec_lo, exec_lo, s40
	v_lshlrev_b32_e32 v0, 24, v0
	s_delay_alu instid0(VALU_DEP_2) | instskip(NEXT) | instid1(VALU_DEP_3)
	v_lshlrev_b32_e32 v4, 20, v16
	v_lshl_add_u32 v1, v1, 23, 0x3c000000
	s_delay_alu instid0(VALU_DEP_3) | instskip(NEXT) | instid1(VALU_DEP_1)
	v_and_b32_e32 v0, 0x80000000, v0
	v_or3_b32 v1, v4, v0, v1
.LBB6_11226:                            ;   in Loop: Header=BB6_11188 Depth=2
	s_or_b32 exec_lo, exec_lo, s11
.LBB6_11227:                            ;   in Loop: Header=BB6_11188 Depth=2
	s_delay_alu instid0(SALU_CYCLE_1)
	s_or_b32 exec_lo, exec_lo, s10
.LBB6_11228:                            ;   in Loop: Header=BB6_11188 Depth=2
	s_delay_alu instid0(SALU_CYCLE_1) | instskip(NEXT) | instid1(VALU_DEP_1)
	s_or_b32 exec_lo, exec_lo, s7
	v_mul_f32_e32 v1, s29, v1
                                        ; implicit-def: $vgpr26
	s_mov_b32 s7, exec_lo
	s_delay_alu instid0(VALU_DEP_1) | instskip(SKIP_1) | instid1(VALU_DEP_2)
	v_and_b32_e32 v52, 0x7f800000, v1
	v_lshrrev_b32_e32 v0, 24, v1
	v_cmpx_ne_u64_e32 0x7f800000, v[52:53]
	s_xor_b32 s10, exec_lo, s7
	s_cbranch_execz .LBB6_11246
; %bb.11229:                            ;   in Loop: Header=BB6_11188 Depth=2
	v_and_b32_e32 v52, 0x7fffffff, v1
	v_and_b32_e32 v0, 0x80, v0
                                        ; implicit-def: $vgpr26
	s_mov_b32 s7, exec_lo
	s_delay_alu instid0(VALU_DEP_2)
	v_cmpx_gt_u64_e32 0x43e00001, v[52:53]
	s_xor_b32 s11, exec_lo, s7
	s_cbranch_execz .LBB6_11243
; %bb.11230:                            ;   in Loop: Header=BB6_11188 Depth=2
	v_mov_b32_e32 v26, 0
	s_mov_b32 s40, exec_lo
	v_cmpx_ne_u32_e32 0, v1
	s_cbranch_execz .LBB6_11242
; %bb.11231:                            ;   in Loop: Header=BB6_11188 Depth=2
	v_bfe_u32 v4, v1, 23, 8
	v_and_b32_e32 v1, 0x7fffff, v1
	s_delay_alu instid0(VALU_DEP_2) | instskip(SKIP_1) | instid1(VALU_DEP_3)
	v_sub_nc_u32_e32 v6, 0x79, v4
	v_cmp_gt_u32_e32 vcc_lo, 0x7a, v4
	v_or_b32_e32 v16, 0x800000, v1
	s_delay_alu instid0(VALU_DEP_3) | instskip(SKIP_1) | instid1(VALU_DEP_3)
	v_cndmask_b32_e32 v6, 0, v6, vcc_lo
	v_cmp_eq_u32_e32 vcc_lo, 0, v4
	v_cndmask_b32_e32 v52, v16, v1, vcc_lo
	s_delay_alu instid0(VALU_DEP_3) | instskip(NEXT) | instid1(VALU_DEP_1)
	v_cndmask_b32_e64 v6, v6, 0x78, vcc_lo
	v_add_nc_u32_e32 v7, 20, v6
	s_delay_alu instid0(VALU_DEP_3) | instskip(NEXT) | instid1(VALU_DEP_2)
	v_lshrrev_b64 v[16:17], v6, v[52:53]
	v_lshlrev_b64_e64 v[8:9], v7, -1
	v_add_nc_u32_e32 v7, 19, v6
	s_delay_alu instid0(VALU_DEP_1) | instskip(NEXT) | instid1(VALU_DEP_3)
	v_lshlrev_b64_e64 v[18:19], v7, 1
	v_bfi_b32 v9, v9, 0, 0
	s_delay_alu instid0(VALU_DEP_4) | instskip(NEXT) | instid1(VALU_DEP_1)
	v_bfi_b32 v8, v8, 0, v52
	v_cmp_eq_u64_e64 s7, v[8:9], v[18:19]
	v_mov_b64_e32 v[18:19], v[16:17]
	s_and_saveexec_b32 s41, s7
; %bb.11232:                            ;   in Loop: Header=BB6_11188 Depth=2
	v_bfe_u32 v52, v16, 20, 1
	s_delay_alu instid0(VALU_DEP_1) | instskip(NEXT) | instid1(VALU_DEP_1)
	v_add_nc_u64_e32 v[8:9], v[16:17], v[52:53]
	v_add_nc_u64_e32 v[18:19], -1, v[8:9]
; %bb.11233:                            ;   in Loop: Header=BB6_11188 Depth=2
	s_or_b32 exec_lo, exec_lo, s41
	v_add_nc_u32_e32 v1, 0xffffff81, v4
	v_lshrrev_b32_e32 v4, 23, v16
	s_mov_b32 s7, exec_lo
	s_delay_alu instid0(VALU_DEP_2) | instskip(NEXT) | instid1(VALU_DEP_1)
	v_cndmask_b32_e64 v1, v1, 0xffffff82, vcc_lo
	v_add3_u32 v4, v6, v1, v4
	v_and_b32_e32 v1, 0xfffff, v18
	s_delay_alu instid0(VALU_DEP_2) | instskip(NEXT) | instid1(VALU_DEP_2)
	v_add_nc_u32_e32 v6, 6, v4
	v_add_nc_u32_e32 v52, v1, v16
                                        ; implicit-def: $vgpr16_vgpr17
                                        ; implicit-def: $vgpr1
	s_delay_alu instid0(VALU_DEP_2)
	v_cmpx_ne_u32_e32 0, v6
	s_xor_b32 s7, exec_lo, s7
; %bb.11234:                            ;   in Loop: Header=BB6_11188 Depth=2
	s_delay_alu instid0(VALU_DEP_2) | instskip(SKIP_2) | instid1(VALU_DEP_2)
	v_cmp_lt_u64_e32 vcc_lo, 0xffffff, v[52:53]
	v_add_nc_u32_e32 v1, 7, v4
	v_cndmask_b32_e64 v4, 0, 1, vcc_lo
	v_cndmask_b32_e32 v1, v6, v1, vcc_lo
	s_delay_alu instid0(VALU_DEP_2)
	v_lshrrev_b64 v[16:17], v4, v[52:53]
; %bb.11235:                            ;   in Loop: Header=BB6_11188 Depth=2
	s_and_not1_saveexec_b32 s7, s7
; %bb.11236:                            ;   in Loop: Header=BB6_11188 Depth=2
	v_mov_b64_e32 v[16:17], v[52:53]
	v_bfe_u32 v1, v52, 23, 1
; %bb.11237:                            ;   in Loop: Header=BB6_11188 Depth=2
	s_or_b32 exec_lo, exec_lo, s7
	s_delay_alu instid0(VALU_DEP_2) | instskip(NEXT) | instid1(VALU_DEP_2)
	v_lshrrev_b64 v[6:7], 20, v[16:17]
	v_cmp_gt_i32_e32 vcc_lo, 16, v1
	v_cmp_ne_u32_e64 s7, 0, v1
                                        ; implicit-def: $vgpr26
	s_delay_alu instid0(VALU_DEP_3) | instskip(NEXT) | instid1(VALU_DEP_1)
	v_dual_cndmask_b32 v17, 0, v7 :: v_dual_cndmask_b32 v16, 7, v6
	v_cmp_ne_u64_e32 vcc_lo, 0, v[16:17]
	s_or_b32 s7, s7, vcc_lo
	s_delay_alu instid0(SALU_CYCLE_1) | instskip(NEXT) | instid1(SALU_CYCLE_1)
	s_and_saveexec_b32 s41, s7
	s_xor_b32 s7, exec_lo, s41
; %bb.11238:                            ;   in Loop: Header=BB6_11188 Depth=2
	v_min_i32_e32 v1, 15, v1
	s_delay_alu instid0(VALU_DEP_1) | instskip(NEXT) | instid1(VALU_DEP_1)
	v_lshl_or_b32 v0, v1, 3, v0
	v_and_or_b32 v26, v16, 7, v0
                                        ; implicit-def: $vgpr0
; %bb.11239:                            ;   in Loop: Header=BB6_11188 Depth=2
	s_and_not1_saveexec_b32 s7, s7
; %bb.11240:                            ;   in Loop: Header=BB6_11188 Depth=2
	v_mov_b32_e32 v26, v0
; %bb.11241:                            ;   in Loop: Header=BB6_11188 Depth=2
	s_or_b32 exec_lo, exec_lo, s7
.LBB6_11242:                            ;   in Loop: Header=BB6_11188 Depth=2
	s_delay_alu instid0(SALU_CYCLE_1)
	s_or_b32 exec_lo, exec_lo, s40
                                        ; implicit-def: $vgpr0
.LBB6_11243:                            ;   in Loop: Header=BB6_11188 Depth=2
	s_and_not1_saveexec_b32 s7, s11
; %bb.11244:                            ;   in Loop: Header=BB6_11188 Depth=2
	v_or_b32_e32 v26, 0x7e, v0
; %bb.11245:                            ;   in Loop: Header=BB6_11188 Depth=2
	s_or_b32 exec_lo, exec_lo, s7
                                        ; implicit-def: $vgpr0
.LBB6_11246:                            ;   in Loop: Header=BB6_11188 Depth=2
	s_and_not1_saveexec_b32 s7, s10
; %bb.11247:                            ;   in Loop: Header=BB6_11188 Depth=2
	v_or_b32_e32 v26, 0x7f, v0
; %bb.11248:                            ;   in Loop: Header=BB6_11188 Depth=2
	s_or_b32 exec_lo, exec_lo, s7
	flat_load_u8 v0, v[10:11] offset:64 th:TH_LOAD_NT
	v_mov_b32_e32 v1, 0
	s_mov_b32 s7, exec_lo
	s_wait_loadcnt_dscnt 0x0
	s_wait_xcnt 0x0
	v_cmpx_ne_u16_e32 0, v0
	s_cbranch_execz .LBB6_11256
; %bb.11249:                            ;   in Loop: Header=BB6_11188 Depth=2
	v_bfrev_b32_e32 v1, 1
	s_mov_b32 s10, exec_lo
	v_cmpx_ne_u16_e32 0x80, v0
	s_cbranch_execz .LBB6_11255
; %bb.11250:                            ;   in Loop: Header=BB6_11188 Depth=2
	v_and_b32_e32 v6, 0xffff, v0
	v_mov_b32_e32 v1, 0x7f800001
	s_mov_b32 s11, exec_lo
	s_delay_alu instid0(VALU_DEP_2) | instskip(NEXT) | instid1(VALU_DEP_1)
	v_and_b32_e32 v4, 0x7f, v6
	v_cmpx_ne_u32_e32 0x7f, v4
	s_cbranch_execz .LBB6_11254
; %bb.11251:                            ;   in Loop: Header=BB6_11188 Depth=2
	v_dual_lshrrev_b32 v1, 3, v4 :: v_dual_bitop2_b32 v52, 7, v6 bitop3:0x40
	s_mov_b32 s40, exec_lo
	s_delay_alu instid0(VALU_DEP_1)
	v_mov_b64_e32 v[16:17], v[52:53]
	v_cmpx_gt_u32_e32 8, v4
; %bb.11252:                            ;   in Loop: Header=BB6_11188 Depth=2
	v_clz_i32_u32_e32 v1, v52
	s_delay_alu instid0(VALU_DEP_1) | instskip(NEXT) | instid1(VALU_DEP_1)
	v_min_u32_e32 v1, 32, v1
	v_subrev_nc_u32_e32 v4, 28, v1
	s_delay_alu instid0(VALU_DEP_1) | instskip(NEXT) | instid1(VALU_DEP_1)
	v_lshlrev_b64_e32 v[6:7], v4, v[52:53]
	v_dual_sub_nc_u32 v1, 29, v1 :: v_dual_bitop2_b32 v16, 7, v6 bitop3:0x40
; %bb.11253:                            ;   in Loop: Header=BB6_11188 Depth=2
	s_or_b32 exec_lo, exec_lo, s40
	v_lshlrev_b32_e32 v0, 24, v0
	s_delay_alu instid0(VALU_DEP_2) | instskip(NEXT) | instid1(VALU_DEP_3)
	v_lshlrev_b32_e32 v4, 20, v16
	v_lshl_add_u32 v1, v1, 23, 0x3c000000
	s_delay_alu instid0(VALU_DEP_3) | instskip(NEXT) | instid1(VALU_DEP_1)
	v_and_b32_e32 v0, 0x80000000, v0
	v_or3_b32 v1, v4, v0, v1
.LBB6_11254:                            ;   in Loop: Header=BB6_11188 Depth=2
	s_or_b32 exec_lo, exec_lo, s11
.LBB6_11255:                            ;   in Loop: Header=BB6_11188 Depth=2
	s_delay_alu instid0(SALU_CYCLE_1)
	s_or_b32 exec_lo, exec_lo, s10
.LBB6_11256:                            ;   in Loop: Header=BB6_11188 Depth=2
	s_delay_alu instid0(SALU_CYCLE_1) | instskip(NEXT) | instid1(VALU_DEP_1)
	s_or_b32 exec_lo, exec_lo, s7
	v_mul_f32_e32 v1, s29, v1
                                        ; implicit-def: $vgpr35
	s_mov_b32 s7, exec_lo
	s_delay_alu instid0(VALU_DEP_1) | instskip(SKIP_1) | instid1(VALU_DEP_2)
	v_and_b32_e32 v52, 0x7f800000, v1
	v_lshrrev_b32_e32 v0, 24, v1
	v_cmpx_ne_u64_e32 0x7f800000, v[52:53]
	s_xor_b32 s10, exec_lo, s7
	s_cbranch_execz .LBB6_11274
; %bb.11257:                            ;   in Loop: Header=BB6_11188 Depth=2
	v_and_b32_e32 v52, 0x7fffffff, v1
	v_and_b32_e32 v0, 0x80, v0
                                        ; implicit-def: $vgpr35
	s_mov_b32 s7, exec_lo
	s_delay_alu instid0(VALU_DEP_2)
	v_cmpx_gt_u64_e32 0x43e00001, v[52:53]
	s_xor_b32 s11, exec_lo, s7
	s_cbranch_execz .LBB6_11271
; %bb.11258:                            ;   in Loop: Header=BB6_11188 Depth=2
	v_mov_b32_e32 v35, 0
	s_mov_b32 s40, exec_lo
	v_cmpx_ne_u32_e32 0, v1
	s_cbranch_execz .LBB6_11270
; %bb.11259:                            ;   in Loop: Header=BB6_11188 Depth=2
	v_bfe_u32 v4, v1, 23, 8
	v_and_b32_e32 v1, 0x7fffff, v1
	s_delay_alu instid0(VALU_DEP_2) | instskip(SKIP_1) | instid1(VALU_DEP_3)
	v_sub_nc_u32_e32 v6, 0x79, v4
	v_cmp_gt_u32_e32 vcc_lo, 0x7a, v4
	v_or_b32_e32 v16, 0x800000, v1
	s_delay_alu instid0(VALU_DEP_3) | instskip(SKIP_1) | instid1(VALU_DEP_3)
	v_cndmask_b32_e32 v6, 0, v6, vcc_lo
	v_cmp_eq_u32_e32 vcc_lo, 0, v4
	v_cndmask_b32_e32 v52, v16, v1, vcc_lo
	s_delay_alu instid0(VALU_DEP_3) | instskip(NEXT) | instid1(VALU_DEP_1)
	v_cndmask_b32_e64 v6, v6, 0x78, vcc_lo
	v_add_nc_u32_e32 v7, 20, v6
	s_delay_alu instid0(VALU_DEP_3) | instskip(NEXT) | instid1(VALU_DEP_2)
	v_lshrrev_b64 v[16:17], v6, v[52:53]
	v_lshlrev_b64_e64 v[8:9], v7, -1
	v_add_nc_u32_e32 v7, 19, v6
	s_delay_alu instid0(VALU_DEP_1) | instskip(NEXT) | instid1(VALU_DEP_3)
	v_lshlrev_b64_e64 v[18:19], v7, 1
	v_bfi_b32 v9, v9, 0, 0
	s_delay_alu instid0(VALU_DEP_4) | instskip(NEXT) | instid1(VALU_DEP_1)
	v_bfi_b32 v8, v8, 0, v52
	v_cmp_eq_u64_e64 s7, v[8:9], v[18:19]
	v_mov_b64_e32 v[18:19], v[16:17]
	s_and_saveexec_b32 s41, s7
; %bb.11260:                            ;   in Loop: Header=BB6_11188 Depth=2
	v_bfe_u32 v52, v16, 20, 1
	s_delay_alu instid0(VALU_DEP_1) | instskip(NEXT) | instid1(VALU_DEP_1)
	v_add_nc_u64_e32 v[8:9], v[16:17], v[52:53]
	v_add_nc_u64_e32 v[18:19], -1, v[8:9]
; %bb.11261:                            ;   in Loop: Header=BB6_11188 Depth=2
	s_or_b32 exec_lo, exec_lo, s41
	v_add_nc_u32_e32 v1, 0xffffff81, v4
	v_lshrrev_b32_e32 v4, 23, v16
	s_mov_b32 s7, exec_lo
	s_delay_alu instid0(VALU_DEP_2) | instskip(NEXT) | instid1(VALU_DEP_1)
	v_cndmask_b32_e64 v1, v1, 0xffffff82, vcc_lo
	v_add3_u32 v4, v6, v1, v4
	v_and_b32_e32 v1, 0xfffff, v18
	s_delay_alu instid0(VALU_DEP_2) | instskip(NEXT) | instid1(VALU_DEP_2)
	v_add_nc_u32_e32 v6, 6, v4
	v_add_nc_u32_e32 v52, v1, v16
                                        ; implicit-def: $vgpr16_vgpr17
                                        ; implicit-def: $vgpr1
	s_delay_alu instid0(VALU_DEP_2)
	v_cmpx_ne_u32_e32 0, v6
	s_xor_b32 s7, exec_lo, s7
; %bb.11262:                            ;   in Loop: Header=BB6_11188 Depth=2
	s_delay_alu instid0(VALU_DEP_2) | instskip(SKIP_2) | instid1(VALU_DEP_2)
	v_cmp_lt_u64_e32 vcc_lo, 0xffffff, v[52:53]
	v_add_nc_u32_e32 v1, 7, v4
	v_cndmask_b32_e64 v4, 0, 1, vcc_lo
	v_cndmask_b32_e32 v1, v6, v1, vcc_lo
	s_delay_alu instid0(VALU_DEP_2)
	v_lshrrev_b64 v[16:17], v4, v[52:53]
; %bb.11263:                            ;   in Loop: Header=BB6_11188 Depth=2
	s_and_not1_saveexec_b32 s7, s7
; %bb.11264:                            ;   in Loop: Header=BB6_11188 Depth=2
	v_mov_b64_e32 v[16:17], v[52:53]
	v_bfe_u32 v1, v52, 23, 1
; %bb.11265:                            ;   in Loop: Header=BB6_11188 Depth=2
	s_or_b32 exec_lo, exec_lo, s7
	s_delay_alu instid0(VALU_DEP_2) | instskip(NEXT) | instid1(VALU_DEP_2)
	v_lshrrev_b64 v[6:7], 20, v[16:17]
	v_cmp_gt_i32_e32 vcc_lo, 16, v1
	v_cmp_ne_u32_e64 s7, 0, v1
                                        ; implicit-def: $vgpr35
	s_delay_alu instid0(VALU_DEP_3) | instskip(NEXT) | instid1(VALU_DEP_1)
	v_dual_cndmask_b32 v17, 0, v7 :: v_dual_cndmask_b32 v16, 7, v6
	v_cmp_ne_u64_e32 vcc_lo, 0, v[16:17]
	s_or_b32 s7, s7, vcc_lo
	s_delay_alu instid0(SALU_CYCLE_1) | instskip(NEXT) | instid1(SALU_CYCLE_1)
	s_and_saveexec_b32 s41, s7
	s_xor_b32 s7, exec_lo, s41
; %bb.11266:                            ;   in Loop: Header=BB6_11188 Depth=2
	v_min_i32_e32 v1, 15, v1
	s_delay_alu instid0(VALU_DEP_1) | instskip(NEXT) | instid1(VALU_DEP_1)
	v_lshl_or_b32 v0, v1, 3, v0
	v_and_or_b32 v35, v16, 7, v0
                                        ; implicit-def: $vgpr0
; %bb.11267:                            ;   in Loop: Header=BB6_11188 Depth=2
	s_and_not1_saveexec_b32 s7, s7
; %bb.11268:                            ;   in Loop: Header=BB6_11188 Depth=2
	v_mov_b32_e32 v35, v0
; %bb.11269:                            ;   in Loop: Header=BB6_11188 Depth=2
	s_or_b32 exec_lo, exec_lo, s7
.LBB6_11270:                            ;   in Loop: Header=BB6_11188 Depth=2
	s_delay_alu instid0(SALU_CYCLE_1)
	s_or_b32 exec_lo, exec_lo, s40
                                        ; implicit-def: $vgpr0
.LBB6_11271:                            ;   in Loop: Header=BB6_11188 Depth=2
	s_and_not1_saveexec_b32 s7, s11
; %bb.11272:                            ;   in Loop: Header=BB6_11188 Depth=2
	v_or_b32_e32 v35, 0x7e, v0
; %bb.11273:                            ;   in Loop: Header=BB6_11188 Depth=2
	s_or_b32 exec_lo, exec_lo, s7
                                        ; implicit-def: $vgpr0
.LBB6_11274:                            ;   in Loop: Header=BB6_11188 Depth=2
	s_and_not1_saveexec_b32 s7, s10
; %bb.11275:                            ;   in Loop: Header=BB6_11188 Depth=2
	v_or_b32_e32 v35, 0x7f, v0
; %bb.11276:                            ;   in Loop: Header=BB6_11188 Depth=2
	s_or_b32 exec_lo, exec_lo, s7
	flat_load_u8 v0, v[10:11] offset:96 th:TH_LOAD_NT
	v_mov_b32_e32 v1, 0
	s_mov_b32 s7, exec_lo
	s_wait_loadcnt_dscnt 0x0
	s_wait_xcnt 0x0
	v_cmpx_ne_u16_e32 0, v0
	s_cbranch_execz .LBB6_11284
; %bb.11277:                            ;   in Loop: Header=BB6_11188 Depth=2
	v_bfrev_b32_e32 v1, 1
	s_mov_b32 s10, exec_lo
	v_cmpx_ne_u16_e32 0x80, v0
	s_cbranch_execz .LBB6_11283
; %bb.11278:                            ;   in Loop: Header=BB6_11188 Depth=2
	v_and_b32_e32 v6, 0xffff, v0
	v_mov_b32_e32 v1, 0x7f800001
	s_mov_b32 s11, exec_lo
	s_delay_alu instid0(VALU_DEP_2) | instskip(NEXT) | instid1(VALU_DEP_1)
	v_and_b32_e32 v4, 0x7f, v6
	v_cmpx_ne_u32_e32 0x7f, v4
	s_cbranch_execz .LBB6_11282
; %bb.11279:                            ;   in Loop: Header=BB6_11188 Depth=2
	v_dual_lshrrev_b32 v1, 3, v4 :: v_dual_bitop2_b32 v52, 7, v6 bitop3:0x40
	s_mov_b32 s40, exec_lo
	s_delay_alu instid0(VALU_DEP_1)
	v_mov_b64_e32 v[16:17], v[52:53]
	v_cmpx_gt_u32_e32 8, v4
; %bb.11280:                            ;   in Loop: Header=BB6_11188 Depth=2
	v_clz_i32_u32_e32 v1, v52
	s_delay_alu instid0(VALU_DEP_1) | instskip(NEXT) | instid1(VALU_DEP_1)
	v_min_u32_e32 v1, 32, v1
	v_subrev_nc_u32_e32 v4, 28, v1
	s_delay_alu instid0(VALU_DEP_1) | instskip(NEXT) | instid1(VALU_DEP_1)
	v_lshlrev_b64_e32 v[6:7], v4, v[52:53]
	v_dual_sub_nc_u32 v1, 29, v1 :: v_dual_bitop2_b32 v16, 7, v6 bitop3:0x40
; %bb.11281:                            ;   in Loop: Header=BB6_11188 Depth=2
	s_or_b32 exec_lo, exec_lo, s40
	v_lshlrev_b32_e32 v0, 24, v0
	s_delay_alu instid0(VALU_DEP_2) | instskip(NEXT) | instid1(VALU_DEP_3)
	v_lshlrev_b32_e32 v4, 20, v16
	v_lshl_add_u32 v1, v1, 23, 0x3c000000
	s_delay_alu instid0(VALU_DEP_3) | instskip(NEXT) | instid1(VALU_DEP_1)
	v_and_b32_e32 v0, 0x80000000, v0
	v_or3_b32 v1, v4, v0, v1
.LBB6_11282:                            ;   in Loop: Header=BB6_11188 Depth=2
	s_or_b32 exec_lo, exec_lo, s11
.LBB6_11283:                            ;   in Loop: Header=BB6_11188 Depth=2
	s_delay_alu instid0(SALU_CYCLE_1)
	s_or_b32 exec_lo, exec_lo, s10
.LBB6_11284:                            ;   in Loop: Header=BB6_11188 Depth=2
	s_delay_alu instid0(SALU_CYCLE_1) | instskip(NEXT) | instid1(VALU_DEP_1)
	s_or_b32 exec_lo, exec_lo, s7
	v_mul_f32_e32 v1, s29, v1
                                        ; implicit-def: $vgpr64
	s_mov_b32 s7, exec_lo
	s_delay_alu instid0(VALU_DEP_1) | instskip(SKIP_1) | instid1(VALU_DEP_2)
	v_and_b32_e32 v52, 0x7f800000, v1
	v_lshrrev_b32_e32 v0, 24, v1
	v_cmpx_ne_u64_e32 0x7f800000, v[52:53]
	s_xor_b32 s10, exec_lo, s7
	s_cbranch_execz .LBB6_11302
; %bb.11285:                            ;   in Loop: Header=BB6_11188 Depth=2
	v_and_b32_e32 v52, 0x7fffffff, v1
	v_and_b32_e32 v0, 0x80, v0
                                        ; implicit-def: $vgpr64
	s_mov_b32 s7, exec_lo
	s_delay_alu instid0(VALU_DEP_2)
	v_cmpx_gt_u64_e32 0x43e00001, v[52:53]
	s_xor_b32 s11, exec_lo, s7
	s_cbranch_execz .LBB6_11299
; %bb.11286:                            ;   in Loop: Header=BB6_11188 Depth=2
	v_mov_b32_e32 v64, 0
	s_mov_b32 s40, exec_lo
	v_cmpx_ne_u32_e32 0, v1
	s_cbranch_execz .LBB6_11298
; %bb.11287:                            ;   in Loop: Header=BB6_11188 Depth=2
	v_bfe_u32 v4, v1, 23, 8
	v_and_b32_e32 v1, 0x7fffff, v1
	s_delay_alu instid0(VALU_DEP_2) | instskip(SKIP_1) | instid1(VALU_DEP_3)
	v_sub_nc_u32_e32 v6, 0x79, v4
	v_cmp_gt_u32_e32 vcc_lo, 0x7a, v4
	v_or_b32_e32 v16, 0x800000, v1
	s_delay_alu instid0(VALU_DEP_3) | instskip(SKIP_1) | instid1(VALU_DEP_3)
	v_cndmask_b32_e32 v6, 0, v6, vcc_lo
	v_cmp_eq_u32_e32 vcc_lo, 0, v4
	v_cndmask_b32_e32 v52, v16, v1, vcc_lo
	s_delay_alu instid0(VALU_DEP_3) | instskip(NEXT) | instid1(VALU_DEP_1)
	v_cndmask_b32_e64 v6, v6, 0x78, vcc_lo
	v_add_nc_u32_e32 v7, 20, v6
	s_delay_alu instid0(VALU_DEP_3) | instskip(NEXT) | instid1(VALU_DEP_2)
	v_lshrrev_b64 v[16:17], v6, v[52:53]
	v_lshlrev_b64_e64 v[8:9], v7, -1
	v_add_nc_u32_e32 v7, 19, v6
	s_delay_alu instid0(VALU_DEP_1) | instskip(NEXT) | instid1(VALU_DEP_3)
	v_lshlrev_b64_e64 v[18:19], v7, 1
	v_bfi_b32 v9, v9, 0, 0
	s_delay_alu instid0(VALU_DEP_4) | instskip(NEXT) | instid1(VALU_DEP_1)
	v_bfi_b32 v8, v8, 0, v52
	v_cmp_eq_u64_e64 s7, v[8:9], v[18:19]
	v_mov_b64_e32 v[18:19], v[16:17]
	s_and_saveexec_b32 s41, s7
; %bb.11288:                            ;   in Loop: Header=BB6_11188 Depth=2
	v_bfe_u32 v52, v16, 20, 1
	s_delay_alu instid0(VALU_DEP_1) | instskip(NEXT) | instid1(VALU_DEP_1)
	v_add_nc_u64_e32 v[8:9], v[16:17], v[52:53]
	v_add_nc_u64_e32 v[18:19], -1, v[8:9]
; %bb.11289:                            ;   in Loop: Header=BB6_11188 Depth=2
	s_or_b32 exec_lo, exec_lo, s41
	v_add_nc_u32_e32 v1, 0xffffff81, v4
	v_lshrrev_b32_e32 v4, 23, v16
	s_mov_b32 s7, exec_lo
	s_delay_alu instid0(VALU_DEP_2) | instskip(NEXT) | instid1(VALU_DEP_1)
	v_cndmask_b32_e64 v1, v1, 0xffffff82, vcc_lo
	v_add3_u32 v4, v6, v1, v4
	v_and_b32_e32 v1, 0xfffff, v18
	s_delay_alu instid0(VALU_DEP_2) | instskip(NEXT) | instid1(VALU_DEP_2)
	v_add_nc_u32_e32 v6, 6, v4
	v_add_nc_u32_e32 v52, v1, v16
                                        ; implicit-def: $vgpr16_vgpr17
                                        ; implicit-def: $vgpr1
	s_delay_alu instid0(VALU_DEP_2)
	v_cmpx_ne_u32_e32 0, v6
	s_xor_b32 s7, exec_lo, s7
; %bb.11290:                            ;   in Loop: Header=BB6_11188 Depth=2
	s_delay_alu instid0(VALU_DEP_2) | instskip(SKIP_2) | instid1(VALU_DEP_2)
	v_cmp_lt_u64_e32 vcc_lo, 0xffffff, v[52:53]
	v_add_nc_u32_e32 v1, 7, v4
	v_cndmask_b32_e64 v4, 0, 1, vcc_lo
	v_cndmask_b32_e32 v1, v6, v1, vcc_lo
	s_delay_alu instid0(VALU_DEP_2)
	v_lshrrev_b64 v[16:17], v4, v[52:53]
; %bb.11291:                            ;   in Loop: Header=BB6_11188 Depth=2
	s_and_not1_saveexec_b32 s7, s7
; %bb.11292:                            ;   in Loop: Header=BB6_11188 Depth=2
	v_mov_b64_e32 v[16:17], v[52:53]
	v_bfe_u32 v1, v52, 23, 1
; %bb.11293:                            ;   in Loop: Header=BB6_11188 Depth=2
	s_or_b32 exec_lo, exec_lo, s7
	s_delay_alu instid0(VALU_DEP_2) | instskip(NEXT) | instid1(VALU_DEP_2)
	v_lshrrev_b64 v[6:7], 20, v[16:17]
	v_cmp_gt_i32_e32 vcc_lo, 16, v1
	v_cmp_ne_u32_e64 s7, 0, v1
                                        ; implicit-def: $vgpr64
	s_delay_alu instid0(VALU_DEP_3) | instskip(NEXT) | instid1(VALU_DEP_1)
	v_dual_cndmask_b32 v17, 0, v7 :: v_dual_cndmask_b32 v16, 7, v6
	v_cmp_ne_u64_e32 vcc_lo, 0, v[16:17]
	s_or_b32 s7, s7, vcc_lo
	s_delay_alu instid0(SALU_CYCLE_1) | instskip(NEXT) | instid1(SALU_CYCLE_1)
	s_and_saveexec_b32 s41, s7
	s_xor_b32 s7, exec_lo, s41
; %bb.11294:                            ;   in Loop: Header=BB6_11188 Depth=2
	v_min_i32_e32 v1, 15, v1
	s_delay_alu instid0(VALU_DEP_1) | instskip(NEXT) | instid1(VALU_DEP_1)
	v_lshl_or_b32 v0, v1, 3, v0
	v_and_or_b32 v64, v16, 7, v0
                                        ; implicit-def: $vgpr0
; %bb.11295:                            ;   in Loop: Header=BB6_11188 Depth=2
	s_and_not1_saveexec_b32 s7, s7
; %bb.11296:                            ;   in Loop: Header=BB6_11188 Depth=2
	v_mov_b32_e32 v64, v0
; %bb.11297:                            ;   in Loop: Header=BB6_11188 Depth=2
	s_or_b32 exec_lo, exec_lo, s7
.LBB6_11298:                            ;   in Loop: Header=BB6_11188 Depth=2
	s_delay_alu instid0(SALU_CYCLE_1)
	s_or_b32 exec_lo, exec_lo, s40
                                        ; implicit-def: $vgpr0
.LBB6_11299:                            ;   in Loop: Header=BB6_11188 Depth=2
	s_and_not1_saveexec_b32 s7, s11
; %bb.11300:                            ;   in Loop: Header=BB6_11188 Depth=2
	v_or_b32_e32 v64, 0x7e, v0
; %bb.11301:                            ;   in Loop: Header=BB6_11188 Depth=2
	s_or_b32 exec_lo, exec_lo, s7
                                        ; implicit-def: $vgpr0
.LBB6_11302:                            ;   in Loop: Header=BB6_11188 Depth=2
	s_and_not1_saveexec_b32 s7, s10
; %bb.11303:                            ;   in Loop: Header=BB6_11188 Depth=2
	v_or_b32_e32 v64, 0x7f, v0
; %bb.11304:                            ;   in Loop: Header=BB6_11188 Depth=2
	s_or_b32 exec_lo, exec_lo, s7
	flat_load_u8 v0, v[10:11] offset:128 th:TH_LOAD_NT
	v_mov_b32_e32 v1, 0
	s_mov_b32 s7, exec_lo
	s_wait_loadcnt_dscnt 0x0
	s_wait_xcnt 0x0
	v_cmpx_ne_u16_e32 0, v0
	s_cbranch_execz .LBB6_11312
; %bb.11305:                            ;   in Loop: Header=BB6_11188 Depth=2
	v_bfrev_b32_e32 v1, 1
	s_mov_b32 s10, exec_lo
	v_cmpx_ne_u16_e32 0x80, v0
	s_cbranch_execz .LBB6_11311
; %bb.11306:                            ;   in Loop: Header=BB6_11188 Depth=2
	v_and_b32_e32 v6, 0xffff, v0
	v_mov_b32_e32 v1, 0x7f800001
	s_mov_b32 s11, exec_lo
	s_delay_alu instid0(VALU_DEP_2) | instskip(NEXT) | instid1(VALU_DEP_1)
	v_and_b32_e32 v4, 0x7f, v6
	v_cmpx_ne_u32_e32 0x7f, v4
	s_cbranch_execz .LBB6_11310
; %bb.11307:                            ;   in Loop: Header=BB6_11188 Depth=2
	v_dual_lshrrev_b32 v1, 3, v4 :: v_dual_bitop2_b32 v52, 7, v6 bitop3:0x40
	s_mov_b32 s40, exec_lo
	s_delay_alu instid0(VALU_DEP_1)
	v_mov_b64_e32 v[16:17], v[52:53]
	v_cmpx_gt_u32_e32 8, v4
; %bb.11308:                            ;   in Loop: Header=BB6_11188 Depth=2
	v_clz_i32_u32_e32 v1, v52
	s_delay_alu instid0(VALU_DEP_1) | instskip(NEXT) | instid1(VALU_DEP_1)
	v_min_u32_e32 v1, 32, v1
	v_subrev_nc_u32_e32 v4, 28, v1
	s_delay_alu instid0(VALU_DEP_1) | instskip(NEXT) | instid1(VALU_DEP_1)
	v_lshlrev_b64_e32 v[6:7], v4, v[52:53]
	v_dual_sub_nc_u32 v1, 29, v1 :: v_dual_bitop2_b32 v16, 7, v6 bitop3:0x40
; %bb.11309:                            ;   in Loop: Header=BB6_11188 Depth=2
	s_or_b32 exec_lo, exec_lo, s40
	v_lshlrev_b32_e32 v0, 24, v0
	s_delay_alu instid0(VALU_DEP_2) | instskip(NEXT) | instid1(VALU_DEP_3)
	v_lshlrev_b32_e32 v4, 20, v16
	v_lshl_add_u32 v1, v1, 23, 0x3c000000
	s_delay_alu instid0(VALU_DEP_3) | instskip(NEXT) | instid1(VALU_DEP_1)
	v_and_b32_e32 v0, 0x80000000, v0
	v_or3_b32 v1, v4, v0, v1
.LBB6_11310:                            ;   in Loop: Header=BB6_11188 Depth=2
	s_or_b32 exec_lo, exec_lo, s11
.LBB6_11311:                            ;   in Loop: Header=BB6_11188 Depth=2
	s_delay_alu instid0(SALU_CYCLE_1)
	s_or_b32 exec_lo, exec_lo, s10
.LBB6_11312:                            ;   in Loop: Header=BB6_11188 Depth=2
	s_delay_alu instid0(SALU_CYCLE_1) | instskip(NEXT) | instid1(VALU_DEP_1)
	s_or_b32 exec_lo, exec_lo, s7
	v_mul_f32_e32 v1, s29, v1
                                        ; implicit-def: $vgpr100
	s_mov_b32 s7, exec_lo
	s_delay_alu instid0(VALU_DEP_1) | instskip(SKIP_1) | instid1(VALU_DEP_2)
	v_and_b32_e32 v52, 0x7f800000, v1
	v_lshrrev_b32_e32 v0, 24, v1
	v_cmpx_ne_u64_e32 0x7f800000, v[52:53]
	s_xor_b32 s10, exec_lo, s7
	s_cbranch_execz .LBB6_11330
; %bb.11313:                            ;   in Loop: Header=BB6_11188 Depth=2
	v_and_b32_e32 v52, 0x7fffffff, v1
	v_and_b32_e32 v0, 0x80, v0
                                        ; implicit-def: $vgpr100
	s_mov_b32 s7, exec_lo
	s_delay_alu instid0(VALU_DEP_2)
	v_cmpx_gt_u64_e32 0x43e00001, v[52:53]
	s_xor_b32 s11, exec_lo, s7
	s_cbranch_execz .LBB6_11327
; %bb.11314:                            ;   in Loop: Header=BB6_11188 Depth=2
	v_mov_b32_e32 v100, 0
	s_mov_b32 s40, exec_lo
	v_cmpx_ne_u32_e32 0, v1
	s_cbranch_execz .LBB6_11326
; %bb.11315:                            ;   in Loop: Header=BB6_11188 Depth=2
	v_bfe_u32 v4, v1, 23, 8
	v_and_b32_e32 v1, 0x7fffff, v1
	s_delay_alu instid0(VALU_DEP_2) | instskip(SKIP_1) | instid1(VALU_DEP_3)
	v_sub_nc_u32_e32 v6, 0x79, v4
	v_cmp_gt_u32_e32 vcc_lo, 0x7a, v4
	v_or_b32_e32 v16, 0x800000, v1
	s_delay_alu instid0(VALU_DEP_3) | instskip(SKIP_1) | instid1(VALU_DEP_3)
	v_cndmask_b32_e32 v6, 0, v6, vcc_lo
	v_cmp_eq_u32_e32 vcc_lo, 0, v4
	v_cndmask_b32_e32 v52, v16, v1, vcc_lo
	s_delay_alu instid0(VALU_DEP_3) | instskip(NEXT) | instid1(VALU_DEP_1)
	v_cndmask_b32_e64 v6, v6, 0x78, vcc_lo
	v_add_nc_u32_e32 v7, 20, v6
	s_delay_alu instid0(VALU_DEP_3) | instskip(NEXT) | instid1(VALU_DEP_2)
	v_lshrrev_b64 v[16:17], v6, v[52:53]
	v_lshlrev_b64_e64 v[8:9], v7, -1
	v_add_nc_u32_e32 v7, 19, v6
	s_delay_alu instid0(VALU_DEP_1) | instskip(NEXT) | instid1(VALU_DEP_3)
	v_lshlrev_b64_e64 v[18:19], v7, 1
	v_bfi_b32 v9, v9, 0, 0
	s_delay_alu instid0(VALU_DEP_4) | instskip(NEXT) | instid1(VALU_DEP_1)
	v_bfi_b32 v8, v8, 0, v52
	v_cmp_eq_u64_e64 s7, v[8:9], v[18:19]
	v_mov_b64_e32 v[18:19], v[16:17]
	s_and_saveexec_b32 s41, s7
; %bb.11316:                            ;   in Loop: Header=BB6_11188 Depth=2
	v_bfe_u32 v52, v16, 20, 1
	s_delay_alu instid0(VALU_DEP_1) | instskip(NEXT) | instid1(VALU_DEP_1)
	v_add_nc_u64_e32 v[8:9], v[16:17], v[52:53]
	v_add_nc_u64_e32 v[18:19], -1, v[8:9]
; %bb.11317:                            ;   in Loop: Header=BB6_11188 Depth=2
	s_or_b32 exec_lo, exec_lo, s41
	v_add_nc_u32_e32 v1, 0xffffff81, v4
	v_lshrrev_b32_e32 v4, 23, v16
	s_mov_b32 s7, exec_lo
	s_delay_alu instid0(VALU_DEP_2) | instskip(NEXT) | instid1(VALU_DEP_1)
	v_cndmask_b32_e64 v1, v1, 0xffffff82, vcc_lo
	v_add3_u32 v4, v6, v1, v4
	v_and_b32_e32 v1, 0xfffff, v18
	s_delay_alu instid0(VALU_DEP_2) | instskip(NEXT) | instid1(VALU_DEP_2)
	v_add_nc_u32_e32 v6, 6, v4
	v_add_nc_u32_e32 v52, v1, v16
                                        ; implicit-def: $vgpr16_vgpr17
                                        ; implicit-def: $vgpr1
	s_delay_alu instid0(VALU_DEP_2)
	v_cmpx_ne_u32_e32 0, v6
	s_xor_b32 s7, exec_lo, s7
; %bb.11318:                            ;   in Loop: Header=BB6_11188 Depth=2
	s_delay_alu instid0(VALU_DEP_2) | instskip(SKIP_2) | instid1(VALU_DEP_2)
	v_cmp_lt_u64_e32 vcc_lo, 0xffffff, v[52:53]
	v_add_nc_u32_e32 v1, 7, v4
	v_cndmask_b32_e64 v4, 0, 1, vcc_lo
	v_cndmask_b32_e32 v1, v6, v1, vcc_lo
	s_delay_alu instid0(VALU_DEP_2)
	v_lshrrev_b64 v[16:17], v4, v[52:53]
; %bb.11319:                            ;   in Loop: Header=BB6_11188 Depth=2
	s_and_not1_saveexec_b32 s7, s7
; %bb.11320:                            ;   in Loop: Header=BB6_11188 Depth=2
	v_mov_b64_e32 v[16:17], v[52:53]
	v_bfe_u32 v1, v52, 23, 1
; %bb.11321:                            ;   in Loop: Header=BB6_11188 Depth=2
	s_or_b32 exec_lo, exec_lo, s7
	s_delay_alu instid0(VALU_DEP_2) | instskip(NEXT) | instid1(VALU_DEP_2)
	v_lshrrev_b64 v[6:7], 20, v[16:17]
	v_cmp_gt_i32_e32 vcc_lo, 16, v1
	v_cmp_ne_u32_e64 s7, 0, v1
                                        ; implicit-def: $vgpr100
	s_delay_alu instid0(VALU_DEP_3) | instskip(NEXT) | instid1(VALU_DEP_1)
	v_dual_cndmask_b32 v17, 0, v7 :: v_dual_cndmask_b32 v16, 7, v6
	v_cmp_ne_u64_e32 vcc_lo, 0, v[16:17]
	s_or_b32 s7, s7, vcc_lo
	s_delay_alu instid0(SALU_CYCLE_1) | instskip(NEXT) | instid1(SALU_CYCLE_1)
	s_and_saveexec_b32 s41, s7
	s_xor_b32 s7, exec_lo, s41
; %bb.11322:                            ;   in Loop: Header=BB6_11188 Depth=2
	v_min_i32_e32 v1, 15, v1
	s_delay_alu instid0(VALU_DEP_1) | instskip(NEXT) | instid1(VALU_DEP_1)
	v_lshl_or_b32 v0, v1, 3, v0
	v_and_or_b32 v100, v16, 7, v0
                                        ; implicit-def: $vgpr0
; %bb.11323:                            ;   in Loop: Header=BB6_11188 Depth=2
	s_and_not1_saveexec_b32 s7, s7
; %bb.11324:                            ;   in Loop: Header=BB6_11188 Depth=2
	v_mov_b32_e32 v100, v0
; %bb.11325:                            ;   in Loop: Header=BB6_11188 Depth=2
	s_or_b32 exec_lo, exec_lo, s7
.LBB6_11326:                            ;   in Loop: Header=BB6_11188 Depth=2
	s_delay_alu instid0(SALU_CYCLE_1)
	s_or_b32 exec_lo, exec_lo, s40
                                        ; implicit-def: $vgpr0
.LBB6_11327:                            ;   in Loop: Header=BB6_11188 Depth=2
	s_and_not1_saveexec_b32 s7, s11
; %bb.11328:                            ;   in Loop: Header=BB6_11188 Depth=2
	v_or_b32_e32 v100, 0x7e, v0
; %bb.11329:                            ;   in Loop: Header=BB6_11188 Depth=2
	s_or_b32 exec_lo, exec_lo, s7
                                        ; implicit-def: $vgpr0
.LBB6_11330:                            ;   in Loop: Header=BB6_11188 Depth=2
	s_and_not1_saveexec_b32 s7, s10
; %bb.11331:                            ;   in Loop: Header=BB6_11188 Depth=2
	v_or_b32_e32 v100, 0x7f, v0
; %bb.11332:                            ;   in Loop: Header=BB6_11188 Depth=2
	s_or_b32 exec_lo, exec_lo, s7
	flat_load_u8 v0, v[10:11] offset:160 th:TH_LOAD_NT
	v_mov_b32_e32 v1, 0
	s_mov_b32 s7, exec_lo
	s_wait_loadcnt_dscnt 0x0
	s_wait_xcnt 0x0
	v_cmpx_ne_u16_e32 0, v0
	s_cbranch_execz .LBB6_11340
; %bb.11333:                            ;   in Loop: Header=BB6_11188 Depth=2
	v_bfrev_b32_e32 v1, 1
	s_mov_b32 s10, exec_lo
	v_cmpx_ne_u16_e32 0x80, v0
	s_cbranch_execz .LBB6_11339
; %bb.11334:                            ;   in Loop: Header=BB6_11188 Depth=2
	v_and_b32_e32 v6, 0xffff, v0
	v_mov_b32_e32 v1, 0x7f800001
	s_mov_b32 s11, exec_lo
	s_delay_alu instid0(VALU_DEP_2) | instskip(NEXT) | instid1(VALU_DEP_1)
	v_and_b32_e32 v4, 0x7f, v6
	v_cmpx_ne_u32_e32 0x7f, v4
	s_cbranch_execz .LBB6_11338
; %bb.11335:                            ;   in Loop: Header=BB6_11188 Depth=2
	v_dual_lshrrev_b32 v1, 3, v4 :: v_dual_bitop2_b32 v52, 7, v6 bitop3:0x40
	s_mov_b32 s40, exec_lo
	s_delay_alu instid0(VALU_DEP_1)
	v_mov_b64_e32 v[16:17], v[52:53]
	v_cmpx_gt_u32_e32 8, v4
; %bb.11336:                            ;   in Loop: Header=BB6_11188 Depth=2
	v_clz_i32_u32_e32 v1, v52
	s_delay_alu instid0(VALU_DEP_1) | instskip(NEXT) | instid1(VALU_DEP_1)
	v_min_u32_e32 v1, 32, v1
	v_subrev_nc_u32_e32 v4, 28, v1
	s_delay_alu instid0(VALU_DEP_1) | instskip(NEXT) | instid1(VALU_DEP_1)
	v_lshlrev_b64_e32 v[6:7], v4, v[52:53]
	v_dual_sub_nc_u32 v1, 29, v1 :: v_dual_bitop2_b32 v16, 7, v6 bitop3:0x40
; %bb.11337:                            ;   in Loop: Header=BB6_11188 Depth=2
	s_or_b32 exec_lo, exec_lo, s40
	v_lshlrev_b32_e32 v0, 24, v0
	s_delay_alu instid0(VALU_DEP_2) | instskip(NEXT) | instid1(VALU_DEP_3)
	v_lshlrev_b32_e32 v4, 20, v16
	v_lshl_add_u32 v1, v1, 23, 0x3c000000
	s_delay_alu instid0(VALU_DEP_3) | instskip(NEXT) | instid1(VALU_DEP_1)
	v_and_b32_e32 v0, 0x80000000, v0
	v_or3_b32 v1, v4, v0, v1
.LBB6_11338:                            ;   in Loop: Header=BB6_11188 Depth=2
	s_or_b32 exec_lo, exec_lo, s11
.LBB6_11339:                            ;   in Loop: Header=BB6_11188 Depth=2
	s_delay_alu instid0(SALU_CYCLE_1)
	s_or_b32 exec_lo, exec_lo, s10
.LBB6_11340:                            ;   in Loop: Header=BB6_11188 Depth=2
	s_delay_alu instid0(SALU_CYCLE_1) | instskip(NEXT) | instid1(VALU_DEP_1)
	s_or_b32 exec_lo, exec_lo, s7
	v_mul_f32_e32 v1, s29, v1
                                        ; implicit-def: $vgpr112
	s_mov_b32 s7, exec_lo
	s_delay_alu instid0(VALU_DEP_1) | instskip(SKIP_1) | instid1(VALU_DEP_2)
	v_and_b32_e32 v52, 0x7f800000, v1
	v_lshrrev_b32_e32 v0, 24, v1
	v_cmpx_ne_u64_e32 0x7f800000, v[52:53]
	s_xor_b32 s10, exec_lo, s7
	s_cbranch_execz .LBB6_11358
; %bb.11341:                            ;   in Loop: Header=BB6_11188 Depth=2
	v_and_b32_e32 v52, 0x7fffffff, v1
	v_and_b32_e32 v0, 0x80, v0
                                        ; implicit-def: $vgpr112
	s_mov_b32 s7, exec_lo
	s_delay_alu instid0(VALU_DEP_2)
	v_cmpx_gt_u64_e32 0x43e00001, v[52:53]
	s_xor_b32 s11, exec_lo, s7
	s_cbranch_execz .LBB6_11355
; %bb.11342:                            ;   in Loop: Header=BB6_11188 Depth=2
	v_mov_b32_e32 v112, 0
	s_mov_b32 s40, exec_lo
	v_cmpx_ne_u32_e32 0, v1
	s_cbranch_execz .LBB6_11354
; %bb.11343:                            ;   in Loop: Header=BB6_11188 Depth=2
	v_bfe_u32 v4, v1, 23, 8
	v_and_b32_e32 v1, 0x7fffff, v1
	s_delay_alu instid0(VALU_DEP_2) | instskip(SKIP_1) | instid1(VALU_DEP_3)
	v_sub_nc_u32_e32 v6, 0x79, v4
	v_cmp_gt_u32_e32 vcc_lo, 0x7a, v4
	v_or_b32_e32 v16, 0x800000, v1
	s_delay_alu instid0(VALU_DEP_3) | instskip(SKIP_1) | instid1(VALU_DEP_3)
	v_cndmask_b32_e32 v6, 0, v6, vcc_lo
	v_cmp_eq_u32_e32 vcc_lo, 0, v4
	v_cndmask_b32_e32 v52, v16, v1, vcc_lo
	s_delay_alu instid0(VALU_DEP_3) | instskip(NEXT) | instid1(VALU_DEP_1)
	v_cndmask_b32_e64 v6, v6, 0x78, vcc_lo
	v_add_nc_u32_e32 v7, 20, v6
	s_delay_alu instid0(VALU_DEP_3) | instskip(NEXT) | instid1(VALU_DEP_2)
	v_lshrrev_b64 v[16:17], v6, v[52:53]
	v_lshlrev_b64_e64 v[8:9], v7, -1
	v_add_nc_u32_e32 v7, 19, v6
	s_delay_alu instid0(VALU_DEP_1) | instskip(NEXT) | instid1(VALU_DEP_3)
	v_lshlrev_b64_e64 v[18:19], v7, 1
	v_bfi_b32 v9, v9, 0, 0
	s_delay_alu instid0(VALU_DEP_4) | instskip(NEXT) | instid1(VALU_DEP_1)
	v_bfi_b32 v8, v8, 0, v52
	v_cmp_eq_u64_e64 s7, v[8:9], v[18:19]
	v_mov_b64_e32 v[18:19], v[16:17]
	s_and_saveexec_b32 s41, s7
; %bb.11344:                            ;   in Loop: Header=BB6_11188 Depth=2
	v_bfe_u32 v52, v16, 20, 1
	s_delay_alu instid0(VALU_DEP_1) | instskip(NEXT) | instid1(VALU_DEP_1)
	v_add_nc_u64_e32 v[8:9], v[16:17], v[52:53]
	v_add_nc_u64_e32 v[18:19], -1, v[8:9]
; %bb.11345:                            ;   in Loop: Header=BB6_11188 Depth=2
	s_or_b32 exec_lo, exec_lo, s41
	v_add_nc_u32_e32 v1, 0xffffff81, v4
	v_lshrrev_b32_e32 v4, 23, v16
	s_mov_b32 s7, exec_lo
	s_delay_alu instid0(VALU_DEP_2) | instskip(NEXT) | instid1(VALU_DEP_1)
	v_cndmask_b32_e64 v1, v1, 0xffffff82, vcc_lo
	v_add3_u32 v4, v6, v1, v4
	v_and_b32_e32 v1, 0xfffff, v18
	s_delay_alu instid0(VALU_DEP_2) | instskip(NEXT) | instid1(VALU_DEP_2)
	v_add_nc_u32_e32 v6, 6, v4
	v_add_nc_u32_e32 v52, v1, v16
                                        ; implicit-def: $vgpr16_vgpr17
                                        ; implicit-def: $vgpr1
	s_delay_alu instid0(VALU_DEP_2)
	v_cmpx_ne_u32_e32 0, v6
	s_xor_b32 s7, exec_lo, s7
; %bb.11346:                            ;   in Loop: Header=BB6_11188 Depth=2
	s_delay_alu instid0(VALU_DEP_2) | instskip(SKIP_2) | instid1(VALU_DEP_2)
	v_cmp_lt_u64_e32 vcc_lo, 0xffffff, v[52:53]
	v_add_nc_u32_e32 v1, 7, v4
	v_cndmask_b32_e64 v4, 0, 1, vcc_lo
	v_cndmask_b32_e32 v1, v6, v1, vcc_lo
	s_delay_alu instid0(VALU_DEP_2)
	v_lshrrev_b64 v[16:17], v4, v[52:53]
; %bb.11347:                            ;   in Loop: Header=BB6_11188 Depth=2
	s_and_not1_saveexec_b32 s7, s7
; %bb.11348:                            ;   in Loop: Header=BB6_11188 Depth=2
	v_mov_b64_e32 v[16:17], v[52:53]
	v_bfe_u32 v1, v52, 23, 1
; %bb.11349:                            ;   in Loop: Header=BB6_11188 Depth=2
	s_or_b32 exec_lo, exec_lo, s7
	s_delay_alu instid0(VALU_DEP_2) | instskip(NEXT) | instid1(VALU_DEP_2)
	v_lshrrev_b64 v[6:7], 20, v[16:17]
	v_cmp_gt_i32_e32 vcc_lo, 16, v1
	v_cmp_ne_u32_e64 s7, 0, v1
                                        ; implicit-def: $vgpr112
	s_delay_alu instid0(VALU_DEP_3) | instskip(NEXT) | instid1(VALU_DEP_1)
	v_dual_cndmask_b32 v17, 0, v7 :: v_dual_cndmask_b32 v16, 7, v6
	v_cmp_ne_u64_e32 vcc_lo, 0, v[16:17]
	s_or_b32 s7, s7, vcc_lo
	s_delay_alu instid0(SALU_CYCLE_1) | instskip(NEXT) | instid1(SALU_CYCLE_1)
	s_and_saveexec_b32 s41, s7
	s_xor_b32 s7, exec_lo, s41
; %bb.11350:                            ;   in Loop: Header=BB6_11188 Depth=2
	v_min_i32_e32 v1, 15, v1
	s_delay_alu instid0(VALU_DEP_1) | instskip(NEXT) | instid1(VALU_DEP_1)
	v_lshl_or_b32 v0, v1, 3, v0
	v_and_or_b32 v112, v16, 7, v0
                                        ; implicit-def: $vgpr0
; %bb.11351:                            ;   in Loop: Header=BB6_11188 Depth=2
	s_and_not1_saveexec_b32 s7, s7
; %bb.11352:                            ;   in Loop: Header=BB6_11188 Depth=2
	v_mov_b32_e32 v112, v0
; %bb.11353:                            ;   in Loop: Header=BB6_11188 Depth=2
	s_or_b32 exec_lo, exec_lo, s7
.LBB6_11354:                            ;   in Loop: Header=BB6_11188 Depth=2
	s_delay_alu instid0(SALU_CYCLE_1)
	s_or_b32 exec_lo, exec_lo, s40
                                        ; implicit-def: $vgpr0
.LBB6_11355:                            ;   in Loop: Header=BB6_11188 Depth=2
	s_and_not1_saveexec_b32 s7, s11
; %bb.11356:                            ;   in Loop: Header=BB6_11188 Depth=2
	v_or_b32_e32 v112, 0x7e, v0
; %bb.11357:                            ;   in Loop: Header=BB6_11188 Depth=2
	s_or_b32 exec_lo, exec_lo, s7
                                        ; implicit-def: $vgpr0
.LBB6_11358:                            ;   in Loop: Header=BB6_11188 Depth=2
	s_and_not1_saveexec_b32 s7, s10
; %bb.11359:                            ;   in Loop: Header=BB6_11188 Depth=2
	v_or_b32_e32 v112, 0x7f, v0
; %bb.11360:                            ;   in Loop: Header=BB6_11188 Depth=2
	s_or_b32 exec_lo, exec_lo, s7
	flat_load_u8 v0, v[10:11] offset:192 th:TH_LOAD_NT
	v_mov_b32_e32 v1, 0
	s_mov_b32 s7, exec_lo
	s_wait_loadcnt_dscnt 0x0
	s_wait_xcnt 0x0
	v_cmpx_ne_u16_e32 0, v0
	s_cbranch_execz .LBB6_11368
; %bb.11361:                            ;   in Loop: Header=BB6_11188 Depth=2
	v_bfrev_b32_e32 v1, 1
	s_mov_b32 s10, exec_lo
	v_cmpx_ne_u16_e32 0x80, v0
	s_cbranch_execz .LBB6_11367
; %bb.11362:                            ;   in Loop: Header=BB6_11188 Depth=2
	v_and_b32_e32 v6, 0xffff, v0
	v_mov_b32_e32 v1, 0x7f800001
	s_mov_b32 s11, exec_lo
	s_delay_alu instid0(VALU_DEP_2) | instskip(NEXT) | instid1(VALU_DEP_1)
	v_and_b32_e32 v4, 0x7f, v6
	v_cmpx_ne_u32_e32 0x7f, v4
	s_cbranch_execz .LBB6_11366
; %bb.11363:                            ;   in Loop: Header=BB6_11188 Depth=2
	v_dual_lshrrev_b32 v1, 3, v4 :: v_dual_bitop2_b32 v52, 7, v6 bitop3:0x40
	s_mov_b32 s40, exec_lo
	s_delay_alu instid0(VALU_DEP_1)
	v_mov_b64_e32 v[16:17], v[52:53]
	v_cmpx_gt_u32_e32 8, v4
; %bb.11364:                            ;   in Loop: Header=BB6_11188 Depth=2
	v_clz_i32_u32_e32 v1, v52
	s_delay_alu instid0(VALU_DEP_1) | instskip(NEXT) | instid1(VALU_DEP_1)
	v_min_u32_e32 v1, 32, v1
	v_subrev_nc_u32_e32 v4, 28, v1
	s_delay_alu instid0(VALU_DEP_1) | instskip(NEXT) | instid1(VALU_DEP_1)
	v_lshlrev_b64_e32 v[6:7], v4, v[52:53]
	v_dual_sub_nc_u32 v1, 29, v1 :: v_dual_bitop2_b32 v16, 7, v6 bitop3:0x40
; %bb.11365:                            ;   in Loop: Header=BB6_11188 Depth=2
	s_or_b32 exec_lo, exec_lo, s40
	v_lshlrev_b32_e32 v0, 24, v0
	s_delay_alu instid0(VALU_DEP_2) | instskip(NEXT) | instid1(VALU_DEP_3)
	v_lshlrev_b32_e32 v4, 20, v16
	v_lshl_add_u32 v1, v1, 23, 0x3c000000
	s_delay_alu instid0(VALU_DEP_3) | instskip(NEXT) | instid1(VALU_DEP_1)
	v_and_b32_e32 v0, 0x80000000, v0
	v_or3_b32 v1, v4, v0, v1
.LBB6_11366:                            ;   in Loop: Header=BB6_11188 Depth=2
	s_or_b32 exec_lo, exec_lo, s11
.LBB6_11367:                            ;   in Loop: Header=BB6_11188 Depth=2
	s_delay_alu instid0(SALU_CYCLE_1)
	s_or_b32 exec_lo, exec_lo, s10
.LBB6_11368:                            ;   in Loop: Header=BB6_11188 Depth=2
	s_delay_alu instid0(SALU_CYCLE_1) | instskip(NEXT) | instid1(VALU_DEP_1)
	s_or_b32 exec_lo, exec_lo, s7
	v_mul_f32_e32 v1, s29, v1
                                        ; implicit-def: $vgpr103
	s_mov_b32 s7, exec_lo
	s_delay_alu instid0(VALU_DEP_1) | instskip(SKIP_1) | instid1(VALU_DEP_2)
	v_and_b32_e32 v52, 0x7f800000, v1
	v_lshrrev_b32_e32 v0, 24, v1
	v_cmpx_ne_u64_e32 0x7f800000, v[52:53]
	s_xor_b32 s10, exec_lo, s7
	s_cbranch_execz .LBB6_11386
; %bb.11369:                            ;   in Loop: Header=BB6_11188 Depth=2
	v_and_b32_e32 v52, 0x7fffffff, v1
	v_and_b32_e32 v0, 0x80, v0
                                        ; implicit-def: $vgpr103
	s_mov_b32 s7, exec_lo
	s_delay_alu instid0(VALU_DEP_2)
	v_cmpx_gt_u64_e32 0x43e00001, v[52:53]
	s_xor_b32 s11, exec_lo, s7
	s_cbranch_execz .LBB6_11383
; %bb.11370:                            ;   in Loop: Header=BB6_11188 Depth=2
	v_mov_b32_e32 v103, 0
	s_mov_b32 s40, exec_lo
	v_cmpx_ne_u32_e32 0, v1
	s_cbranch_execz .LBB6_11382
; %bb.11371:                            ;   in Loop: Header=BB6_11188 Depth=2
	v_bfe_u32 v4, v1, 23, 8
	v_and_b32_e32 v1, 0x7fffff, v1
	s_delay_alu instid0(VALU_DEP_2) | instskip(SKIP_1) | instid1(VALU_DEP_3)
	v_sub_nc_u32_e32 v6, 0x79, v4
	v_cmp_gt_u32_e32 vcc_lo, 0x7a, v4
	v_or_b32_e32 v16, 0x800000, v1
	s_delay_alu instid0(VALU_DEP_3) | instskip(SKIP_1) | instid1(VALU_DEP_3)
	v_cndmask_b32_e32 v6, 0, v6, vcc_lo
	v_cmp_eq_u32_e32 vcc_lo, 0, v4
	v_cndmask_b32_e32 v52, v16, v1, vcc_lo
	s_delay_alu instid0(VALU_DEP_3) | instskip(NEXT) | instid1(VALU_DEP_1)
	v_cndmask_b32_e64 v6, v6, 0x78, vcc_lo
	v_add_nc_u32_e32 v7, 20, v6
	s_delay_alu instid0(VALU_DEP_3) | instskip(NEXT) | instid1(VALU_DEP_2)
	v_lshrrev_b64 v[16:17], v6, v[52:53]
	v_lshlrev_b64_e64 v[8:9], v7, -1
	v_add_nc_u32_e32 v7, 19, v6
	s_delay_alu instid0(VALU_DEP_1) | instskip(NEXT) | instid1(VALU_DEP_3)
	v_lshlrev_b64_e64 v[18:19], v7, 1
	v_bfi_b32 v9, v9, 0, 0
	s_delay_alu instid0(VALU_DEP_4) | instskip(NEXT) | instid1(VALU_DEP_1)
	v_bfi_b32 v8, v8, 0, v52
	v_cmp_eq_u64_e64 s7, v[8:9], v[18:19]
	v_mov_b64_e32 v[18:19], v[16:17]
	s_and_saveexec_b32 s41, s7
; %bb.11372:                            ;   in Loop: Header=BB6_11188 Depth=2
	v_bfe_u32 v52, v16, 20, 1
	s_delay_alu instid0(VALU_DEP_1) | instskip(NEXT) | instid1(VALU_DEP_1)
	v_add_nc_u64_e32 v[8:9], v[16:17], v[52:53]
	v_add_nc_u64_e32 v[18:19], -1, v[8:9]
; %bb.11373:                            ;   in Loop: Header=BB6_11188 Depth=2
	s_or_b32 exec_lo, exec_lo, s41
	v_add_nc_u32_e32 v1, 0xffffff81, v4
	v_lshrrev_b32_e32 v4, 23, v16
	s_mov_b32 s7, exec_lo
	s_delay_alu instid0(VALU_DEP_2) | instskip(NEXT) | instid1(VALU_DEP_1)
	v_cndmask_b32_e64 v1, v1, 0xffffff82, vcc_lo
	v_add3_u32 v4, v6, v1, v4
	v_and_b32_e32 v1, 0xfffff, v18
	s_delay_alu instid0(VALU_DEP_2) | instskip(NEXT) | instid1(VALU_DEP_2)
	v_add_nc_u32_e32 v6, 6, v4
	v_add_nc_u32_e32 v52, v1, v16
                                        ; implicit-def: $vgpr16_vgpr17
                                        ; implicit-def: $vgpr1
	s_delay_alu instid0(VALU_DEP_2)
	v_cmpx_ne_u32_e32 0, v6
	s_xor_b32 s7, exec_lo, s7
; %bb.11374:                            ;   in Loop: Header=BB6_11188 Depth=2
	s_delay_alu instid0(VALU_DEP_2) | instskip(SKIP_2) | instid1(VALU_DEP_2)
	v_cmp_lt_u64_e32 vcc_lo, 0xffffff, v[52:53]
	v_add_nc_u32_e32 v1, 7, v4
	v_cndmask_b32_e64 v4, 0, 1, vcc_lo
	v_cndmask_b32_e32 v1, v6, v1, vcc_lo
	s_delay_alu instid0(VALU_DEP_2)
	v_lshrrev_b64 v[16:17], v4, v[52:53]
; %bb.11375:                            ;   in Loop: Header=BB6_11188 Depth=2
	s_and_not1_saveexec_b32 s7, s7
; %bb.11376:                            ;   in Loop: Header=BB6_11188 Depth=2
	v_mov_b64_e32 v[16:17], v[52:53]
	v_bfe_u32 v1, v52, 23, 1
; %bb.11377:                            ;   in Loop: Header=BB6_11188 Depth=2
	s_or_b32 exec_lo, exec_lo, s7
	s_delay_alu instid0(VALU_DEP_2) | instskip(NEXT) | instid1(VALU_DEP_2)
	v_lshrrev_b64 v[6:7], 20, v[16:17]
	v_cmp_gt_i32_e32 vcc_lo, 16, v1
	v_cmp_ne_u32_e64 s7, 0, v1
                                        ; implicit-def: $vgpr103
	s_delay_alu instid0(VALU_DEP_3) | instskip(NEXT) | instid1(VALU_DEP_1)
	v_dual_cndmask_b32 v17, 0, v7 :: v_dual_cndmask_b32 v16, 7, v6
	v_cmp_ne_u64_e32 vcc_lo, 0, v[16:17]
	s_or_b32 s7, s7, vcc_lo
	s_delay_alu instid0(SALU_CYCLE_1) | instskip(NEXT) | instid1(SALU_CYCLE_1)
	s_and_saveexec_b32 s41, s7
	s_xor_b32 s7, exec_lo, s41
; %bb.11378:                            ;   in Loop: Header=BB6_11188 Depth=2
	v_min_i32_e32 v1, 15, v1
	s_delay_alu instid0(VALU_DEP_1) | instskip(NEXT) | instid1(VALU_DEP_1)
	v_lshl_or_b32 v0, v1, 3, v0
	v_and_or_b32 v103, v16, 7, v0
                                        ; implicit-def: $vgpr0
; %bb.11379:                            ;   in Loop: Header=BB6_11188 Depth=2
	s_and_not1_saveexec_b32 s7, s7
; %bb.11380:                            ;   in Loop: Header=BB6_11188 Depth=2
	v_mov_b32_e32 v103, v0
; %bb.11381:                            ;   in Loop: Header=BB6_11188 Depth=2
	s_or_b32 exec_lo, exec_lo, s7
.LBB6_11382:                            ;   in Loop: Header=BB6_11188 Depth=2
	s_delay_alu instid0(SALU_CYCLE_1)
	s_or_b32 exec_lo, exec_lo, s40
                                        ; implicit-def: $vgpr0
.LBB6_11383:                            ;   in Loop: Header=BB6_11188 Depth=2
	s_and_not1_saveexec_b32 s7, s11
; %bb.11384:                            ;   in Loop: Header=BB6_11188 Depth=2
	v_or_b32_e32 v103, 0x7e, v0
; %bb.11385:                            ;   in Loop: Header=BB6_11188 Depth=2
	s_or_b32 exec_lo, exec_lo, s7
                                        ; implicit-def: $vgpr0
.LBB6_11386:                            ;   in Loop: Header=BB6_11188 Depth=2
	s_and_not1_saveexec_b32 s7, s10
; %bb.11387:                            ;   in Loop: Header=BB6_11188 Depth=2
	v_or_b32_e32 v103, 0x7f, v0
; %bb.11388:                            ;   in Loop: Header=BB6_11188 Depth=2
	s_or_b32 exec_lo, exec_lo, s7
	flat_load_u8 v0, v[10:11] offset:224 th:TH_LOAD_NT
	v_mov_b32_e32 v1, 0
	s_mov_b32 s7, exec_lo
	s_wait_loadcnt_dscnt 0x0
	s_wait_xcnt 0x0
	v_cmpx_ne_u16_e32 0, v0
	s_cbranch_execz .LBB6_11396
; %bb.11389:                            ;   in Loop: Header=BB6_11188 Depth=2
	v_bfrev_b32_e32 v1, 1
	s_mov_b32 s10, exec_lo
	v_cmpx_ne_u16_e32 0x80, v0
	s_cbranch_execz .LBB6_11395
; %bb.11390:                            ;   in Loop: Header=BB6_11188 Depth=2
	v_and_b32_e32 v6, 0xffff, v0
	v_mov_b32_e32 v1, 0x7f800001
	s_mov_b32 s11, exec_lo
	s_delay_alu instid0(VALU_DEP_2) | instskip(NEXT) | instid1(VALU_DEP_1)
	v_and_b32_e32 v4, 0x7f, v6
	v_cmpx_ne_u32_e32 0x7f, v4
	s_cbranch_execz .LBB6_11394
; %bb.11391:                            ;   in Loop: Header=BB6_11188 Depth=2
	v_dual_lshrrev_b32 v1, 3, v4 :: v_dual_bitop2_b32 v52, 7, v6 bitop3:0x40
	s_mov_b32 s40, exec_lo
	s_delay_alu instid0(VALU_DEP_1)
	v_mov_b64_e32 v[16:17], v[52:53]
	v_cmpx_gt_u32_e32 8, v4
; %bb.11392:                            ;   in Loop: Header=BB6_11188 Depth=2
	v_clz_i32_u32_e32 v1, v52
	s_delay_alu instid0(VALU_DEP_1) | instskip(NEXT) | instid1(VALU_DEP_1)
	v_min_u32_e32 v1, 32, v1
	v_subrev_nc_u32_e32 v4, 28, v1
	s_delay_alu instid0(VALU_DEP_1) | instskip(NEXT) | instid1(VALU_DEP_1)
	v_lshlrev_b64_e32 v[6:7], v4, v[52:53]
	v_dual_sub_nc_u32 v1, 29, v1 :: v_dual_bitop2_b32 v16, 7, v6 bitop3:0x40
; %bb.11393:                            ;   in Loop: Header=BB6_11188 Depth=2
	s_or_b32 exec_lo, exec_lo, s40
	v_lshlrev_b32_e32 v0, 24, v0
	s_delay_alu instid0(VALU_DEP_2) | instskip(NEXT) | instid1(VALU_DEP_3)
	v_lshlrev_b32_e32 v4, 20, v16
	v_lshl_add_u32 v1, v1, 23, 0x3c000000
	s_delay_alu instid0(VALU_DEP_3) | instskip(NEXT) | instid1(VALU_DEP_1)
	v_and_b32_e32 v0, 0x80000000, v0
	v_or3_b32 v1, v4, v0, v1
.LBB6_11394:                            ;   in Loop: Header=BB6_11188 Depth=2
	s_or_b32 exec_lo, exec_lo, s11
.LBB6_11395:                            ;   in Loop: Header=BB6_11188 Depth=2
	s_delay_alu instid0(SALU_CYCLE_1)
	s_or_b32 exec_lo, exec_lo, s10
.LBB6_11396:                            ;   in Loop: Header=BB6_11188 Depth=2
	s_delay_alu instid0(SALU_CYCLE_1) | instskip(NEXT) | instid1(VALU_DEP_1)
	s_or_b32 exec_lo, exec_lo, s7
	v_mul_f32_e32 v1, s29, v1
                                        ; implicit-def: $vgpr101
	s_mov_b32 s7, exec_lo
	s_delay_alu instid0(VALU_DEP_1) | instskip(SKIP_1) | instid1(VALU_DEP_2)
	v_and_b32_e32 v52, 0x7f800000, v1
	v_lshrrev_b32_e32 v0, 24, v1
	v_cmpx_ne_u64_e32 0x7f800000, v[52:53]
	s_xor_b32 s10, exec_lo, s7
	s_cbranch_execz .LBB6_11414
; %bb.11397:                            ;   in Loop: Header=BB6_11188 Depth=2
	v_and_b32_e32 v52, 0x7fffffff, v1
	v_and_b32_e32 v0, 0x80, v0
                                        ; implicit-def: $vgpr101
	s_mov_b32 s7, exec_lo
	s_delay_alu instid0(VALU_DEP_2)
	v_cmpx_gt_u64_e32 0x43e00001, v[52:53]
	s_xor_b32 s11, exec_lo, s7
	s_cbranch_execz .LBB6_11411
; %bb.11398:                            ;   in Loop: Header=BB6_11188 Depth=2
	v_mov_b32_e32 v101, 0
	s_mov_b32 s40, exec_lo
	v_cmpx_ne_u32_e32 0, v1
	s_cbranch_execz .LBB6_11410
; %bb.11399:                            ;   in Loop: Header=BB6_11188 Depth=2
	v_bfe_u32 v4, v1, 23, 8
	v_and_b32_e32 v1, 0x7fffff, v1
	s_delay_alu instid0(VALU_DEP_2) | instskip(SKIP_1) | instid1(VALU_DEP_3)
	v_sub_nc_u32_e32 v6, 0x79, v4
	v_cmp_gt_u32_e32 vcc_lo, 0x7a, v4
	v_or_b32_e32 v16, 0x800000, v1
	s_delay_alu instid0(VALU_DEP_3) | instskip(SKIP_1) | instid1(VALU_DEP_3)
	v_cndmask_b32_e32 v6, 0, v6, vcc_lo
	v_cmp_eq_u32_e32 vcc_lo, 0, v4
	v_cndmask_b32_e32 v52, v16, v1, vcc_lo
	s_delay_alu instid0(VALU_DEP_3) | instskip(NEXT) | instid1(VALU_DEP_1)
	v_cndmask_b32_e64 v6, v6, 0x78, vcc_lo
	v_add_nc_u32_e32 v7, 20, v6
	s_delay_alu instid0(VALU_DEP_3) | instskip(NEXT) | instid1(VALU_DEP_2)
	v_lshrrev_b64 v[16:17], v6, v[52:53]
	v_lshlrev_b64_e64 v[8:9], v7, -1
	v_add_nc_u32_e32 v7, 19, v6
	s_delay_alu instid0(VALU_DEP_1) | instskip(NEXT) | instid1(VALU_DEP_3)
	v_lshlrev_b64_e64 v[18:19], v7, 1
	v_bfi_b32 v9, v9, 0, 0
	s_delay_alu instid0(VALU_DEP_4) | instskip(NEXT) | instid1(VALU_DEP_1)
	v_bfi_b32 v8, v8, 0, v52
	v_cmp_eq_u64_e64 s7, v[8:9], v[18:19]
	v_mov_b64_e32 v[18:19], v[16:17]
	s_and_saveexec_b32 s41, s7
; %bb.11400:                            ;   in Loop: Header=BB6_11188 Depth=2
	v_bfe_u32 v52, v16, 20, 1
	s_delay_alu instid0(VALU_DEP_1) | instskip(NEXT) | instid1(VALU_DEP_1)
	v_add_nc_u64_e32 v[8:9], v[16:17], v[52:53]
	v_add_nc_u64_e32 v[18:19], -1, v[8:9]
; %bb.11401:                            ;   in Loop: Header=BB6_11188 Depth=2
	s_or_b32 exec_lo, exec_lo, s41
	v_add_nc_u32_e32 v1, 0xffffff81, v4
	v_lshrrev_b32_e32 v4, 23, v16
	s_mov_b32 s7, exec_lo
	s_delay_alu instid0(VALU_DEP_2) | instskip(NEXT) | instid1(VALU_DEP_1)
	v_cndmask_b32_e64 v1, v1, 0xffffff82, vcc_lo
	v_add3_u32 v4, v6, v1, v4
	v_and_b32_e32 v1, 0xfffff, v18
	s_delay_alu instid0(VALU_DEP_2) | instskip(NEXT) | instid1(VALU_DEP_2)
	v_add_nc_u32_e32 v6, 6, v4
	v_add_nc_u32_e32 v52, v1, v16
                                        ; implicit-def: $vgpr16_vgpr17
                                        ; implicit-def: $vgpr1
	s_delay_alu instid0(VALU_DEP_2)
	v_cmpx_ne_u32_e32 0, v6
	s_xor_b32 s7, exec_lo, s7
; %bb.11402:                            ;   in Loop: Header=BB6_11188 Depth=2
	s_delay_alu instid0(VALU_DEP_2) | instskip(SKIP_2) | instid1(VALU_DEP_2)
	v_cmp_lt_u64_e32 vcc_lo, 0xffffff, v[52:53]
	v_add_nc_u32_e32 v1, 7, v4
	v_cndmask_b32_e64 v4, 0, 1, vcc_lo
	v_cndmask_b32_e32 v1, v6, v1, vcc_lo
	s_delay_alu instid0(VALU_DEP_2)
	v_lshrrev_b64 v[16:17], v4, v[52:53]
; %bb.11403:                            ;   in Loop: Header=BB6_11188 Depth=2
	s_and_not1_saveexec_b32 s7, s7
; %bb.11404:                            ;   in Loop: Header=BB6_11188 Depth=2
	v_mov_b64_e32 v[16:17], v[52:53]
	v_bfe_u32 v1, v52, 23, 1
; %bb.11405:                            ;   in Loop: Header=BB6_11188 Depth=2
	s_or_b32 exec_lo, exec_lo, s7
	s_delay_alu instid0(VALU_DEP_2) | instskip(NEXT) | instid1(VALU_DEP_2)
	v_lshrrev_b64 v[6:7], 20, v[16:17]
	v_cmp_gt_i32_e32 vcc_lo, 16, v1
	v_cmp_ne_u32_e64 s7, 0, v1
                                        ; implicit-def: $vgpr101
	s_delay_alu instid0(VALU_DEP_3) | instskip(NEXT) | instid1(VALU_DEP_1)
	v_dual_cndmask_b32 v17, 0, v7 :: v_dual_cndmask_b32 v16, 7, v6
	v_cmp_ne_u64_e32 vcc_lo, 0, v[16:17]
	s_or_b32 s7, s7, vcc_lo
	s_delay_alu instid0(SALU_CYCLE_1) | instskip(NEXT) | instid1(SALU_CYCLE_1)
	s_and_saveexec_b32 s41, s7
	s_xor_b32 s7, exec_lo, s41
; %bb.11406:                            ;   in Loop: Header=BB6_11188 Depth=2
	v_min_i32_e32 v1, 15, v1
	s_delay_alu instid0(VALU_DEP_1) | instskip(NEXT) | instid1(VALU_DEP_1)
	v_lshl_or_b32 v0, v1, 3, v0
	v_and_or_b32 v101, v16, 7, v0
                                        ; implicit-def: $vgpr0
; %bb.11407:                            ;   in Loop: Header=BB6_11188 Depth=2
	s_and_not1_saveexec_b32 s7, s7
; %bb.11408:                            ;   in Loop: Header=BB6_11188 Depth=2
	v_mov_b32_e32 v101, v0
; %bb.11409:                            ;   in Loop: Header=BB6_11188 Depth=2
	s_or_b32 exec_lo, exec_lo, s7
.LBB6_11410:                            ;   in Loop: Header=BB6_11188 Depth=2
	s_delay_alu instid0(SALU_CYCLE_1)
	s_or_b32 exec_lo, exec_lo, s40
                                        ; implicit-def: $vgpr0
.LBB6_11411:                            ;   in Loop: Header=BB6_11188 Depth=2
	s_and_not1_saveexec_b32 s7, s11
; %bb.11412:                            ;   in Loop: Header=BB6_11188 Depth=2
	v_or_b32_e32 v101, 0x7e, v0
; %bb.11413:                            ;   in Loop: Header=BB6_11188 Depth=2
	s_or_b32 exec_lo, exec_lo, s7
                                        ; implicit-def: $vgpr0
.LBB6_11414:                            ;   in Loop: Header=BB6_11188 Depth=2
	s_and_not1_saveexec_b32 s7, s10
; %bb.11415:                            ;   in Loop: Header=BB6_11188 Depth=2
	v_or_b32_e32 v101, 0x7f, v0
; %bb.11416:                            ;   in Loop: Header=BB6_11188 Depth=2
	s_or_b32 exec_lo, exec_lo, s7
	flat_load_u8 v0, v[10:11] offset:256 th:TH_LOAD_NT
	v_mov_b32_e32 v1, 0
	s_mov_b32 s7, exec_lo
	s_wait_loadcnt_dscnt 0x0
	s_wait_xcnt 0x0
	v_cmpx_ne_u16_e32 0, v0
	s_cbranch_execz .LBB6_11424
; %bb.11417:                            ;   in Loop: Header=BB6_11188 Depth=2
	v_bfrev_b32_e32 v1, 1
	s_mov_b32 s10, exec_lo
	v_cmpx_ne_u16_e32 0x80, v0
	s_cbranch_execz .LBB6_11423
; %bb.11418:                            ;   in Loop: Header=BB6_11188 Depth=2
	v_and_b32_e32 v6, 0xffff, v0
	v_mov_b32_e32 v1, 0x7f800001
	s_mov_b32 s11, exec_lo
	s_delay_alu instid0(VALU_DEP_2) | instskip(NEXT) | instid1(VALU_DEP_1)
	v_and_b32_e32 v4, 0x7f, v6
	v_cmpx_ne_u32_e32 0x7f, v4
	s_cbranch_execz .LBB6_11422
; %bb.11419:                            ;   in Loop: Header=BB6_11188 Depth=2
	v_dual_lshrrev_b32 v1, 3, v4 :: v_dual_bitop2_b32 v52, 7, v6 bitop3:0x40
	s_mov_b32 s40, exec_lo
	s_delay_alu instid0(VALU_DEP_1)
	v_mov_b64_e32 v[16:17], v[52:53]
	v_cmpx_gt_u32_e32 8, v4
; %bb.11420:                            ;   in Loop: Header=BB6_11188 Depth=2
	v_clz_i32_u32_e32 v1, v52
	s_delay_alu instid0(VALU_DEP_1) | instskip(NEXT) | instid1(VALU_DEP_1)
	v_min_u32_e32 v1, 32, v1
	v_subrev_nc_u32_e32 v4, 28, v1
	s_delay_alu instid0(VALU_DEP_1) | instskip(NEXT) | instid1(VALU_DEP_1)
	v_lshlrev_b64_e32 v[6:7], v4, v[52:53]
	v_dual_sub_nc_u32 v1, 29, v1 :: v_dual_bitop2_b32 v16, 7, v6 bitop3:0x40
; %bb.11421:                            ;   in Loop: Header=BB6_11188 Depth=2
	s_or_b32 exec_lo, exec_lo, s40
	v_lshlrev_b32_e32 v0, 24, v0
	s_delay_alu instid0(VALU_DEP_2) | instskip(NEXT) | instid1(VALU_DEP_3)
	v_lshlrev_b32_e32 v4, 20, v16
	v_lshl_add_u32 v1, v1, 23, 0x3c000000
	s_delay_alu instid0(VALU_DEP_3) | instskip(NEXT) | instid1(VALU_DEP_1)
	v_and_b32_e32 v0, 0x80000000, v0
	v_or3_b32 v1, v4, v0, v1
.LBB6_11422:                            ;   in Loop: Header=BB6_11188 Depth=2
	s_or_b32 exec_lo, exec_lo, s11
.LBB6_11423:                            ;   in Loop: Header=BB6_11188 Depth=2
	s_delay_alu instid0(SALU_CYCLE_1)
	s_or_b32 exec_lo, exec_lo, s10
.LBB6_11424:                            ;   in Loop: Header=BB6_11188 Depth=2
	s_delay_alu instid0(SALU_CYCLE_1) | instskip(NEXT) | instid1(VALU_DEP_1)
	s_or_b32 exec_lo, exec_lo, s7
	v_mul_f32_e32 v1, s29, v1
                                        ; implicit-def: $vgpr99
	s_mov_b32 s7, exec_lo
	s_delay_alu instid0(VALU_DEP_1) | instskip(SKIP_1) | instid1(VALU_DEP_2)
	v_and_b32_e32 v52, 0x7f800000, v1
	v_lshrrev_b32_e32 v0, 24, v1
	v_cmpx_ne_u64_e32 0x7f800000, v[52:53]
	s_xor_b32 s10, exec_lo, s7
	s_cbranch_execz .LBB6_11442
; %bb.11425:                            ;   in Loop: Header=BB6_11188 Depth=2
	v_and_b32_e32 v52, 0x7fffffff, v1
	v_and_b32_e32 v0, 0x80, v0
                                        ; implicit-def: $vgpr99
	s_mov_b32 s7, exec_lo
	s_delay_alu instid0(VALU_DEP_2)
	v_cmpx_gt_u64_e32 0x43e00001, v[52:53]
	s_xor_b32 s11, exec_lo, s7
	s_cbranch_execz .LBB6_11439
; %bb.11426:                            ;   in Loop: Header=BB6_11188 Depth=2
	v_mov_b32_e32 v99, 0
	s_mov_b32 s40, exec_lo
	v_cmpx_ne_u32_e32 0, v1
	s_cbranch_execz .LBB6_11438
; %bb.11427:                            ;   in Loop: Header=BB6_11188 Depth=2
	v_bfe_u32 v4, v1, 23, 8
	v_and_b32_e32 v1, 0x7fffff, v1
	s_delay_alu instid0(VALU_DEP_2) | instskip(SKIP_1) | instid1(VALU_DEP_3)
	v_sub_nc_u32_e32 v6, 0x79, v4
	v_cmp_gt_u32_e32 vcc_lo, 0x7a, v4
	v_or_b32_e32 v16, 0x800000, v1
	s_delay_alu instid0(VALU_DEP_3) | instskip(SKIP_1) | instid1(VALU_DEP_3)
	v_cndmask_b32_e32 v6, 0, v6, vcc_lo
	v_cmp_eq_u32_e32 vcc_lo, 0, v4
	v_cndmask_b32_e32 v52, v16, v1, vcc_lo
	s_delay_alu instid0(VALU_DEP_3) | instskip(NEXT) | instid1(VALU_DEP_1)
	v_cndmask_b32_e64 v6, v6, 0x78, vcc_lo
	v_add_nc_u32_e32 v7, 20, v6
	s_delay_alu instid0(VALU_DEP_3) | instskip(NEXT) | instid1(VALU_DEP_2)
	v_lshrrev_b64 v[16:17], v6, v[52:53]
	v_lshlrev_b64_e64 v[8:9], v7, -1
	v_add_nc_u32_e32 v7, 19, v6
	s_delay_alu instid0(VALU_DEP_1) | instskip(NEXT) | instid1(VALU_DEP_3)
	v_lshlrev_b64_e64 v[18:19], v7, 1
	v_bfi_b32 v9, v9, 0, 0
	s_delay_alu instid0(VALU_DEP_4) | instskip(NEXT) | instid1(VALU_DEP_1)
	v_bfi_b32 v8, v8, 0, v52
	v_cmp_eq_u64_e64 s7, v[8:9], v[18:19]
	v_mov_b64_e32 v[18:19], v[16:17]
	s_and_saveexec_b32 s41, s7
; %bb.11428:                            ;   in Loop: Header=BB6_11188 Depth=2
	v_bfe_u32 v52, v16, 20, 1
	s_delay_alu instid0(VALU_DEP_1) | instskip(NEXT) | instid1(VALU_DEP_1)
	v_add_nc_u64_e32 v[8:9], v[16:17], v[52:53]
	v_add_nc_u64_e32 v[18:19], -1, v[8:9]
; %bb.11429:                            ;   in Loop: Header=BB6_11188 Depth=2
	s_or_b32 exec_lo, exec_lo, s41
	v_add_nc_u32_e32 v1, 0xffffff81, v4
	v_lshrrev_b32_e32 v4, 23, v16
	s_mov_b32 s7, exec_lo
	s_delay_alu instid0(VALU_DEP_2) | instskip(NEXT) | instid1(VALU_DEP_1)
	v_cndmask_b32_e64 v1, v1, 0xffffff82, vcc_lo
	v_add3_u32 v4, v6, v1, v4
	v_and_b32_e32 v1, 0xfffff, v18
	s_delay_alu instid0(VALU_DEP_2) | instskip(NEXT) | instid1(VALU_DEP_2)
	v_add_nc_u32_e32 v6, 6, v4
	v_add_nc_u32_e32 v52, v1, v16
                                        ; implicit-def: $vgpr16_vgpr17
                                        ; implicit-def: $vgpr1
	s_delay_alu instid0(VALU_DEP_2)
	v_cmpx_ne_u32_e32 0, v6
	s_xor_b32 s7, exec_lo, s7
; %bb.11430:                            ;   in Loop: Header=BB6_11188 Depth=2
	s_delay_alu instid0(VALU_DEP_2) | instskip(SKIP_2) | instid1(VALU_DEP_2)
	v_cmp_lt_u64_e32 vcc_lo, 0xffffff, v[52:53]
	v_add_nc_u32_e32 v1, 7, v4
	v_cndmask_b32_e64 v4, 0, 1, vcc_lo
	v_cndmask_b32_e32 v1, v6, v1, vcc_lo
	s_delay_alu instid0(VALU_DEP_2)
	v_lshrrev_b64 v[16:17], v4, v[52:53]
; %bb.11431:                            ;   in Loop: Header=BB6_11188 Depth=2
	s_and_not1_saveexec_b32 s7, s7
; %bb.11432:                            ;   in Loop: Header=BB6_11188 Depth=2
	v_mov_b64_e32 v[16:17], v[52:53]
	v_bfe_u32 v1, v52, 23, 1
; %bb.11433:                            ;   in Loop: Header=BB6_11188 Depth=2
	s_or_b32 exec_lo, exec_lo, s7
	s_delay_alu instid0(VALU_DEP_2) | instskip(NEXT) | instid1(VALU_DEP_2)
	v_lshrrev_b64 v[6:7], 20, v[16:17]
	v_cmp_gt_i32_e32 vcc_lo, 16, v1
	v_cmp_ne_u32_e64 s7, 0, v1
                                        ; implicit-def: $vgpr99
	s_delay_alu instid0(VALU_DEP_3) | instskip(NEXT) | instid1(VALU_DEP_1)
	v_dual_cndmask_b32 v17, 0, v7 :: v_dual_cndmask_b32 v16, 7, v6
	v_cmp_ne_u64_e32 vcc_lo, 0, v[16:17]
	s_or_b32 s7, s7, vcc_lo
	s_delay_alu instid0(SALU_CYCLE_1) | instskip(NEXT) | instid1(SALU_CYCLE_1)
	s_and_saveexec_b32 s41, s7
	s_xor_b32 s7, exec_lo, s41
; %bb.11434:                            ;   in Loop: Header=BB6_11188 Depth=2
	v_min_i32_e32 v1, 15, v1
	s_delay_alu instid0(VALU_DEP_1) | instskip(NEXT) | instid1(VALU_DEP_1)
	v_lshl_or_b32 v0, v1, 3, v0
	v_and_or_b32 v99, v16, 7, v0
                                        ; implicit-def: $vgpr0
; %bb.11435:                            ;   in Loop: Header=BB6_11188 Depth=2
	s_and_not1_saveexec_b32 s7, s7
; %bb.11436:                            ;   in Loop: Header=BB6_11188 Depth=2
	v_mov_b32_e32 v99, v0
; %bb.11437:                            ;   in Loop: Header=BB6_11188 Depth=2
	s_or_b32 exec_lo, exec_lo, s7
.LBB6_11438:                            ;   in Loop: Header=BB6_11188 Depth=2
	s_delay_alu instid0(SALU_CYCLE_1)
	s_or_b32 exec_lo, exec_lo, s40
                                        ; implicit-def: $vgpr0
.LBB6_11439:                            ;   in Loop: Header=BB6_11188 Depth=2
	s_and_not1_saveexec_b32 s7, s11
; %bb.11440:                            ;   in Loop: Header=BB6_11188 Depth=2
	v_or_b32_e32 v99, 0x7e, v0
; %bb.11441:                            ;   in Loop: Header=BB6_11188 Depth=2
	s_or_b32 exec_lo, exec_lo, s7
                                        ; implicit-def: $vgpr0
.LBB6_11442:                            ;   in Loop: Header=BB6_11188 Depth=2
	s_and_not1_saveexec_b32 s7, s10
; %bb.11443:                            ;   in Loop: Header=BB6_11188 Depth=2
	v_or_b32_e32 v99, 0x7f, v0
; %bb.11444:                            ;   in Loop: Header=BB6_11188 Depth=2
	s_or_b32 exec_lo, exec_lo, s7
	flat_load_u8 v0, v[10:11] offset:288 th:TH_LOAD_NT
	v_mov_b32_e32 v1, 0
	s_mov_b32 s7, exec_lo
	s_wait_loadcnt_dscnt 0x0
	s_wait_xcnt 0x0
	v_cmpx_ne_u16_e32 0, v0
	s_cbranch_execz .LBB6_11452
; %bb.11445:                            ;   in Loop: Header=BB6_11188 Depth=2
	v_bfrev_b32_e32 v1, 1
	s_mov_b32 s10, exec_lo
	v_cmpx_ne_u16_e32 0x80, v0
	s_cbranch_execz .LBB6_11451
; %bb.11446:                            ;   in Loop: Header=BB6_11188 Depth=2
	v_and_b32_e32 v6, 0xffff, v0
	v_mov_b32_e32 v1, 0x7f800001
	s_mov_b32 s11, exec_lo
	s_delay_alu instid0(VALU_DEP_2) | instskip(NEXT) | instid1(VALU_DEP_1)
	v_and_b32_e32 v4, 0x7f, v6
	v_cmpx_ne_u32_e32 0x7f, v4
	s_cbranch_execz .LBB6_11450
; %bb.11447:                            ;   in Loop: Header=BB6_11188 Depth=2
	v_dual_lshrrev_b32 v1, 3, v4 :: v_dual_bitop2_b32 v52, 7, v6 bitop3:0x40
	s_mov_b32 s40, exec_lo
	s_delay_alu instid0(VALU_DEP_1)
	v_mov_b64_e32 v[16:17], v[52:53]
	v_cmpx_gt_u32_e32 8, v4
; %bb.11448:                            ;   in Loop: Header=BB6_11188 Depth=2
	v_clz_i32_u32_e32 v1, v52
	s_delay_alu instid0(VALU_DEP_1) | instskip(NEXT) | instid1(VALU_DEP_1)
	v_min_u32_e32 v1, 32, v1
	v_subrev_nc_u32_e32 v4, 28, v1
	s_delay_alu instid0(VALU_DEP_1) | instskip(NEXT) | instid1(VALU_DEP_1)
	v_lshlrev_b64_e32 v[6:7], v4, v[52:53]
	v_dual_sub_nc_u32 v1, 29, v1 :: v_dual_bitop2_b32 v16, 7, v6 bitop3:0x40
; %bb.11449:                            ;   in Loop: Header=BB6_11188 Depth=2
	s_or_b32 exec_lo, exec_lo, s40
	v_lshlrev_b32_e32 v0, 24, v0
	s_delay_alu instid0(VALU_DEP_2) | instskip(NEXT) | instid1(VALU_DEP_3)
	v_lshlrev_b32_e32 v4, 20, v16
	v_lshl_add_u32 v1, v1, 23, 0x3c000000
	s_delay_alu instid0(VALU_DEP_3) | instskip(NEXT) | instid1(VALU_DEP_1)
	v_and_b32_e32 v0, 0x80000000, v0
	v_or3_b32 v1, v4, v0, v1
.LBB6_11450:                            ;   in Loop: Header=BB6_11188 Depth=2
	s_or_b32 exec_lo, exec_lo, s11
.LBB6_11451:                            ;   in Loop: Header=BB6_11188 Depth=2
	s_delay_alu instid0(SALU_CYCLE_1)
	s_or_b32 exec_lo, exec_lo, s10
.LBB6_11452:                            ;   in Loop: Header=BB6_11188 Depth=2
	s_delay_alu instid0(SALU_CYCLE_1) | instskip(NEXT) | instid1(VALU_DEP_1)
	s_or_b32 exec_lo, exec_lo, s7
	v_mul_f32_e32 v1, s29, v1
                                        ; implicit-def: $vgpr98
	s_mov_b32 s7, exec_lo
	s_delay_alu instid0(VALU_DEP_1) | instskip(SKIP_1) | instid1(VALU_DEP_2)
	v_and_b32_e32 v52, 0x7f800000, v1
	v_lshrrev_b32_e32 v0, 24, v1
	v_cmpx_ne_u64_e32 0x7f800000, v[52:53]
	s_xor_b32 s10, exec_lo, s7
	s_cbranch_execz .LBB6_11470
; %bb.11453:                            ;   in Loop: Header=BB6_11188 Depth=2
	v_and_b32_e32 v52, 0x7fffffff, v1
	v_and_b32_e32 v0, 0x80, v0
                                        ; implicit-def: $vgpr98
	s_mov_b32 s7, exec_lo
	s_delay_alu instid0(VALU_DEP_2)
	v_cmpx_gt_u64_e32 0x43e00001, v[52:53]
	s_xor_b32 s11, exec_lo, s7
	s_cbranch_execz .LBB6_11467
; %bb.11454:                            ;   in Loop: Header=BB6_11188 Depth=2
	v_mov_b32_e32 v98, 0
	s_mov_b32 s40, exec_lo
	v_cmpx_ne_u32_e32 0, v1
	s_cbranch_execz .LBB6_11466
; %bb.11455:                            ;   in Loop: Header=BB6_11188 Depth=2
	v_bfe_u32 v4, v1, 23, 8
	v_and_b32_e32 v1, 0x7fffff, v1
	s_delay_alu instid0(VALU_DEP_2) | instskip(SKIP_1) | instid1(VALU_DEP_3)
	v_sub_nc_u32_e32 v6, 0x79, v4
	v_cmp_gt_u32_e32 vcc_lo, 0x7a, v4
	v_or_b32_e32 v16, 0x800000, v1
	s_delay_alu instid0(VALU_DEP_3) | instskip(SKIP_1) | instid1(VALU_DEP_3)
	v_cndmask_b32_e32 v6, 0, v6, vcc_lo
	v_cmp_eq_u32_e32 vcc_lo, 0, v4
	v_cndmask_b32_e32 v52, v16, v1, vcc_lo
	s_delay_alu instid0(VALU_DEP_3) | instskip(NEXT) | instid1(VALU_DEP_1)
	v_cndmask_b32_e64 v6, v6, 0x78, vcc_lo
	v_add_nc_u32_e32 v7, 20, v6
	s_delay_alu instid0(VALU_DEP_3) | instskip(NEXT) | instid1(VALU_DEP_2)
	v_lshrrev_b64 v[16:17], v6, v[52:53]
	v_lshlrev_b64_e64 v[8:9], v7, -1
	v_add_nc_u32_e32 v7, 19, v6
	s_delay_alu instid0(VALU_DEP_1) | instskip(NEXT) | instid1(VALU_DEP_3)
	v_lshlrev_b64_e64 v[18:19], v7, 1
	v_bfi_b32 v9, v9, 0, 0
	s_delay_alu instid0(VALU_DEP_4) | instskip(NEXT) | instid1(VALU_DEP_1)
	v_bfi_b32 v8, v8, 0, v52
	v_cmp_eq_u64_e64 s7, v[8:9], v[18:19]
	v_mov_b64_e32 v[18:19], v[16:17]
	s_and_saveexec_b32 s41, s7
; %bb.11456:                            ;   in Loop: Header=BB6_11188 Depth=2
	v_bfe_u32 v52, v16, 20, 1
	s_delay_alu instid0(VALU_DEP_1) | instskip(NEXT) | instid1(VALU_DEP_1)
	v_add_nc_u64_e32 v[8:9], v[16:17], v[52:53]
	v_add_nc_u64_e32 v[18:19], -1, v[8:9]
; %bb.11457:                            ;   in Loop: Header=BB6_11188 Depth=2
	s_or_b32 exec_lo, exec_lo, s41
	v_add_nc_u32_e32 v1, 0xffffff81, v4
	v_lshrrev_b32_e32 v4, 23, v16
	s_mov_b32 s7, exec_lo
	s_delay_alu instid0(VALU_DEP_2) | instskip(NEXT) | instid1(VALU_DEP_1)
	v_cndmask_b32_e64 v1, v1, 0xffffff82, vcc_lo
	v_add3_u32 v4, v6, v1, v4
	v_and_b32_e32 v1, 0xfffff, v18
	s_delay_alu instid0(VALU_DEP_2) | instskip(NEXT) | instid1(VALU_DEP_2)
	v_add_nc_u32_e32 v6, 6, v4
	v_add_nc_u32_e32 v52, v1, v16
                                        ; implicit-def: $vgpr16_vgpr17
                                        ; implicit-def: $vgpr1
	s_delay_alu instid0(VALU_DEP_2)
	v_cmpx_ne_u32_e32 0, v6
	s_xor_b32 s7, exec_lo, s7
; %bb.11458:                            ;   in Loop: Header=BB6_11188 Depth=2
	s_delay_alu instid0(VALU_DEP_2) | instskip(SKIP_2) | instid1(VALU_DEP_2)
	v_cmp_lt_u64_e32 vcc_lo, 0xffffff, v[52:53]
	v_add_nc_u32_e32 v1, 7, v4
	v_cndmask_b32_e64 v4, 0, 1, vcc_lo
	v_cndmask_b32_e32 v1, v6, v1, vcc_lo
	s_delay_alu instid0(VALU_DEP_2)
	v_lshrrev_b64 v[16:17], v4, v[52:53]
; %bb.11459:                            ;   in Loop: Header=BB6_11188 Depth=2
	s_and_not1_saveexec_b32 s7, s7
; %bb.11460:                            ;   in Loop: Header=BB6_11188 Depth=2
	v_mov_b64_e32 v[16:17], v[52:53]
	v_bfe_u32 v1, v52, 23, 1
; %bb.11461:                            ;   in Loop: Header=BB6_11188 Depth=2
	s_or_b32 exec_lo, exec_lo, s7
	s_delay_alu instid0(VALU_DEP_2) | instskip(NEXT) | instid1(VALU_DEP_2)
	v_lshrrev_b64 v[6:7], 20, v[16:17]
	v_cmp_gt_i32_e32 vcc_lo, 16, v1
	v_cmp_ne_u32_e64 s7, 0, v1
                                        ; implicit-def: $vgpr98
	s_delay_alu instid0(VALU_DEP_3) | instskip(NEXT) | instid1(VALU_DEP_1)
	v_dual_cndmask_b32 v17, 0, v7 :: v_dual_cndmask_b32 v16, 7, v6
	v_cmp_ne_u64_e32 vcc_lo, 0, v[16:17]
	s_or_b32 s7, s7, vcc_lo
	s_delay_alu instid0(SALU_CYCLE_1) | instskip(NEXT) | instid1(SALU_CYCLE_1)
	s_and_saveexec_b32 s41, s7
	s_xor_b32 s7, exec_lo, s41
; %bb.11462:                            ;   in Loop: Header=BB6_11188 Depth=2
	v_min_i32_e32 v1, 15, v1
	s_delay_alu instid0(VALU_DEP_1) | instskip(NEXT) | instid1(VALU_DEP_1)
	v_lshl_or_b32 v0, v1, 3, v0
	v_and_or_b32 v98, v16, 7, v0
                                        ; implicit-def: $vgpr0
; %bb.11463:                            ;   in Loop: Header=BB6_11188 Depth=2
	s_and_not1_saveexec_b32 s7, s7
; %bb.11464:                            ;   in Loop: Header=BB6_11188 Depth=2
	v_mov_b32_e32 v98, v0
; %bb.11465:                            ;   in Loop: Header=BB6_11188 Depth=2
	s_or_b32 exec_lo, exec_lo, s7
.LBB6_11466:                            ;   in Loop: Header=BB6_11188 Depth=2
	s_delay_alu instid0(SALU_CYCLE_1)
	s_or_b32 exec_lo, exec_lo, s40
                                        ; implicit-def: $vgpr0
.LBB6_11467:                            ;   in Loop: Header=BB6_11188 Depth=2
	s_and_not1_saveexec_b32 s7, s11
; %bb.11468:                            ;   in Loop: Header=BB6_11188 Depth=2
	v_or_b32_e32 v98, 0x7e, v0
; %bb.11469:                            ;   in Loop: Header=BB6_11188 Depth=2
	s_or_b32 exec_lo, exec_lo, s7
                                        ; implicit-def: $vgpr0
.LBB6_11470:                            ;   in Loop: Header=BB6_11188 Depth=2
	s_and_not1_saveexec_b32 s7, s10
; %bb.11471:                            ;   in Loop: Header=BB6_11188 Depth=2
	v_or_b32_e32 v98, 0x7f, v0
; %bb.11472:                            ;   in Loop: Header=BB6_11188 Depth=2
	s_or_b32 exec_lo, exec_lo, s7
	flat_load_u8 v0, v[10:11] offset:320 th:TH_LOAD_NT
	v_mov_b32_e32 v1, 0
	s_mov_b32 s7, exec_lo
	s_wait_loadcnt_dscnt 0x0
	s_wait_xcnt 0x0
	v_cmpx_ne_u16_e32 0, v0
	s_cbranch_execz .LBB6_11480
; %bb.11473:                            ;   in Loop: Header=BB6_11188 Depth=2
	v_bfrev_b32_e32 v1, 1
	s_mov_b32 s10, exec_lo
	v_cmpx_ne_u16_e32 0x80, v0
	s_cbranch_execz .LBB6_11479
; %bb.11474:                            ;   in Loop: Header=BB6_11188 Depth=2
	v_and_b32_e32 v6, 0xffff, v0
	v_mov_b32_e32 v1, 0x7f800001
	s_mov_b32 s11, exec_lo
	s_delay_alu instid0(VALU_DEP_2) | instskip(NEXT) | instid1(VALU_DEP_1)
	v_and_b32_e32 v4, 0x7f, v6
	v_cmpx_ne_u32_e32 0x7f, v4
	s_cbranch_execz .LBB6_11478
; %bb.11475:                            ;   in Loop: Header=BB6_11188 Depth=2
	v_dual_lshrrev_b32 v1, 3, v4 :: v_dual_bitop2_b32 v52, 7, v6 bitop3:0x40
	s_mov_b32 s40, exec_lo
	s_delay_alu instid0(VALU_DEP_1)
	v_mov_b64_e32 v[16:17], v[52:53]
	v_cmpx_gt_u32_e32 8, v4
; %bb.11476:                            ;   in Loop: Header=BB6_11188 Depth=2
	v_clz_i32_u32_e32 v1, v52
	s_delay_alu instid0(VALU_DEP_1) | instskip(NEXT) | instid1(VALU_DEP_1)
	v_min_u32_e32 v1, 32, v1
	v_subrev_nc_u32_e32 v4, 28, v1
	s_delay_alu instid0(VALU_DEP_1) | instskip(NEXT) | instid1(VALU_DEP_1)
	v_lshlrev_b64_e32 v[6:7], v4, v[52:53]
	v_dual_sub_nc_u32 v1, 29, v1 :: v_dual_bitop2_b32 v16, 7, v6 bitop3:0x40
; %bb.11477:                            ;   in Loop: Header=BB6_11188 Depth=2
	s_or_b32 exec_lo, exec_lo, s40
	v_lshlrev_b32_e32 v0, 24, v0
	s_delay_alu instid0(VALU_DEP_2) | instskip(NEXT) | instid1(VALU_DEP_3)
	v_lshlrev_b32_e32 v4, 20, v16
	v_lshl_add_u32 v1, v1, 23, 0x3c000000
	s_delay_alu instid0(VALU_DEP_3) | instskip(NEXT) | instid1(VALU_DEP_1)
	v_and_b32_e32 v0, 0x80000000, v0
	v_or3_b32 v1, v4, v0, v1
.LBB6_11478:                            ;   in Loop: Header=BB6_11188 Depth=2
	s_or_b32 exec_lo, exec_lo, s11
.LBB6_11479:                            ;   in Loop: Header=BB6_11188 Depth=2
	s_delay_alu instid0(SALU_CYCLE_1)
	s_or_b32 exec_lo, exec_lo, s10
.LBB6_11480:                            ;   in Loop: Header=BB6_11188 Depth=2
	s_delay_alu instid0(SALU_CYCLE_1) | instskip(NEXT) | instid1(VALU_DEP_1)
	s_or_b32 exec_lo, exec_lo, s7
	v_mul_f32_e32 v1, s29, v1
                                        ; implicit-def: $vgpr97
	s_mov_b32 s7, exec_lo
	s_delay_alu instid0(VALU_DEP_1) | instskip(SKIP_1) | instid1(VALU_DEP_2)
	v_and_b32_e32 v52, 0x7f800000, v1
	v_lshrrev_b32_e32 v0, 24, v1
	v_cmpx_ne_u64_e32 0x7f800000, v[52:53]
	s_xor_b32 s10, exec_lo, s7
	s_cbranch_execz .LBB6_11498
; %bb.11481:                            ;   in Loop: Header=BB6_11188 Depth=2
	v_and_b32_e32 v52, 0x7fffffff, v1
	v_and_b32_e32 v0, 0x80, v0
                                        ; implicit-def: $vgpr97
	s_mov_b32 s7, exec_lo
	s_delay_alu instid0(VALU_DEP_2)
	v_cmpx_gt_u64_e32 0x43e00001, v[52:53]
	s_xor_b32 s11, exec_lo, s7
	s_cbranch_execz .LBB6_11495
; %bb.11482:                            ;   in Loop: Header=BB6_11188 Depth=2
	v_mov_b32_e32 v97, 0
	s_mov_b32 s40, exec_lo
	v_cmpx_ne_u32_e32 0, v1
	s_cbranch_execz .LBB6_11494
; %bb.11483:                            ;   in Loop: Header=BB6_11188 Depth=2
	v_bfe_u32 v4, v1, 23, 8
	v_and_b32_e32 v1, 0x7fffff, v1
	s_delay_alu instid0(VALU_DEP_2) | instskip(SKIP_1) | instid1(VALU_DEP_3)
	v_sub_nc_u32_e32 v6, 0x79, v4
	v_cmp_gt_u32_e32 vcc_lo, 0x7a, v4
	v_or_b32_e32 v16, 0x800000, v1
	s_delay_alu instid0(VALU_DEP_3) | instskip(SKIP_1) | instid1(VALU_DEP_3)
	v_cndmask_b32_e32 v6, 0, v6, vcc_lo
	v_cmp_eq_u32_e32 vcc_lo, 0, v4
	v_cndmask_b32_e32 v52, v16, v1, vcc_lo
	s_delay_alu instid0(VALU_DEP_3) | instskip(NEXT) | instid1(VALU_DEP_1)
	v_cndmask_b32_e64 v6, v6, 0x78, vcc_lo
	v_add_nc_u32_e32 v7, 20, v6
	s_delay_alu instid0(VALU_DEP_3) | instskip(NEXT) | instid1(VALU_DEP_2)
	v_lshrrev_b64 v[16:17], v6, v[52:53]
	v_lshlrev_b64_e64 v[8:9], v7, -1
	v_add_nc_u32_e32 v7, 19, v6
	s_delay_alu instid0(VALU_DEP_1) | instskip(NEXT) | instid1(VALU_DEP_3)
	v_lshlrev_b64_e64 v[18:19], v7, 1
	v_bfi_b32 v9, v9, 0, 0
	s_delay_alu instid0(VALU_DEP_4) | instskip(NEXT) | instid1(VALU_DEP_1)
	v_bfi_b32 v8, v8, 0, v52
	v_cmp_eq_u64_e64 s7, v[8:9], v[18:19]
	v_mov_b64_e32 v[18:19], v[16:17]
	s_and_saveexec_b32 s41, s7
; %bb.11484:                            ;   in Loop: Header=BB6_11188 Depth=2
	v_bfe_u32 v52, v16, 20, 1
	s_delay_alu instid0(VALU_DEP_1) | instskip(NEXT) | instid1(VALU_DEP_1)
	v_add_nc_u64_e32 v[8:9], v[16:17], v[52:53]
	v_add_nc_u64_e32 v[18:19], -1, v[8:9]
; %bb.11485:                            ;   in Loop: Header=BB6_11188 Depth=2
	s_or_b32 exec_lo, exec_lo, s41
	v_add_nc_u32_e32 v1, 0xffffff81, v4
	v_lshrrev_b32_e32 v4, 23, v16
	s_mov_b32 s7, exec_lo
	s_delay_alu instid0(VALU_DEP_2) | instskip(NEXT) | instid1(VALU_DEP_1)
	v_cndmask_b32_e64 v1, v1, 0xffffff82, vcc_lo
	v_add3_u32 v4, v6, v1, v4
	v_and_b32_e32 v1, 0xfffff, v18
	s_delay_alu instid0(VALU_DEP_2) | instskip(NEXT) | instid1(VALU_DEP_2)
	v_add_nc_u32_e32 v6, 6, v4
	v_add_nc_u32_e32 v52, v1, v16
                                        ; implicit-def: $vgpr16_vgpr17
                                        ; implicit-def: $vgpr1
	s_delay_alu instid0(VALU_DEP_2)
	v_cmpx_ne_u32_e32 0, v6
	s_xor_b32 s7, exec_lo, s7
; %bb.11486:                            ;   in Loop: Header=BB6_11188 Depth=2
	s_delay_alu instid0(VALU_DEP_2) | instskip(SKIP_2) | instid1(VALU_DEP_2)
	v_cmp_lt_u64_e32 vcc_lo, 0xffffff, v[52:53]
	v_add_nc_u32_e32 v1, 7, v4
	v_cndmask_b32_e64 v4, 0, 1, vcc_lo
	v_cndmask_b32_e32 v1, v6, v1, vcc_lo
	s_delay_alu instid0(VALU_DEP_2)
	v_lshrrev_b64 v[16:17], v4, v[52:53]
; %bb.11487:                            ;   in Loop: Header=BB6_11188 Depth=2
	s_and_not1_saveexec_b32 s7, s7
; %bb.11488:                            ;   in Loop: Header=BB6_11188 Depth=2
	v_mov_b64_e32 v[16:17], v[52:53]
	v_bfe_u32 v1, v52, 23, 1
; %bb.11489:                            ;   in Loop: Header=BB6_11188 Depth=2
	s_or_b32 exec_lo, exec_lo, s7
	s_delay_alu instid0(VALU_DEP_2) | instskip(NEXT) | instid1(VALU_DEP_2)
	v_lshrrev_b64 v[6:7], 20, v[16:17]
	v_cmp_gt_i32_e32 vcc_lo, 16, v1
	v_cmp_ne_u32_e64 s7, 0, v1
                                        ; implicit-def: $vgpr97
	s_delay_alu instid0(VALU_DEP_3) | instskip(NEXT) | instid1(VALU_DEP_1)
	v_dual_cndmask_b32 v17, 0, v7 :: v_dual_cndmask_b32 v16, 7, v6
	v_cmp_ne_u64_e32 vcc_lo, 0, v[16:17]
	s_or_b32 s7, s7, vcc_lo
	s_delay_alu instid0(SALU_CYCLE_1) | instskip(NEXT) | instid1(SALU_CYCLE_1)
	s_and_saveexec_b32 s41, s7
	s_xor_b32 s7, exec_lo, s41
; %bb.11490:                            ;   in Loop: Header=BB6_11188 Depth=2
	v_min_i32_e32 v1, 15, v1
	s_delay_alu instid0(VALU_DEP_1) | instskip(NEXT) | instid1(VALU_DEP_1)
	v_lshl_or_b32 v0, v1, 3, v0
	v_and_or_b32 v97, v16, 7, v0
                                        ; implicit-def: $vgpr0
; %bb.11491:                            ;   in Loop: Header=BB6_11188 Depth=2
	s_and_not1_saveexec_b32 s7, s7
; %bb.11492:                            ;   in Loop: Header=BB6_11188 Depth=2
	v_mov_b32_e32 v97, v0
; %bb.11493:                            ;   in Loop: Header=BB6_11188 Depth=2
	s_or_b32 exec_lo, exec_lo, s7
.LBB6_11494:                            ;   in Loop: Header=BB6_11188 Depth=2
	s_delay_alu instid0(SALU_CYCLE_1)
	s_or_b32 exec_lo, exec_lo, s40
                                        ; implicit-def: $vgpr0
.LBB6_11495:                            ;   in Loop: Header=BB6_11188 Depth=2
	s_and_not1_saveexec_b32 s7, s11
; %bb.11496:                            ;   in Loop: Header=BB6_11188 Depth=2
	v_or_b32_e32 v97, 0x7e, v0
; %bb.11497:                            ;   in Loop: Header=BB6_11188 Depth=2
	s_or_b32 exec_lo, exec_lo, s7
                                        ; implicit-def: $vgpr0
.LBB6_11498:                            ;   in Loop: Header=BB6_11188 Depth=2
	s_and_not1_saveexec_b32 s7, s10
; %bb.11499:                            ;   in Loop: Header=BB6_11188 Depth=2
	v_or_b32_e32 v97, 0x7f, v0
; %bb.11500:                            ;   in Loop: Header=BB6_11188 Depth=2
	s_or_b32 exec_lo, exec_lo, s7
	flat_load_u8 v0, v[10:11] offset:352 th:TH_LOAD_NT
	v_mov_b32_e32 v1, 0
	s_mov_b32 s7, exec_lo
	s_wait_loadcnt_dscnt 0x0
	s_wait_xcnt 0x0
	v_cmpx_ne_u16_e32 0, v0
	s_cbranch_execz .LBB6_11508
; %bb.11501:                            ;   in Loop: Header=BB6_11188 Depth=2
	v_bfrev_b32_e32 v1, 1
	s_mov_b32 s10, exec_lo
	v_cmpx_ne_u16_e32 0x80, v0
	s_cbranch_execz .LBB6_11507
; %bb.11502:                            ;   in Loop: Header=BB6_11188 Depth=2
	v_and_b32_e32 v6, 0xffff, v0
	v_mov_b32_e32 v1, 0x7f800001
	s_mov_b32 s11, exec_lo
	s_delay_alu instid0(VALU_DEP_2) | instskip(NEXT) | instid1(VALU_DEP_1)
	v_and_b32_e32 v4, 0x7f, v6
	v_cmpx_ne_u32_e32 0x7f, v4
	s_cbranch_execz .LBB6_11506
; %bb.11503:                            ;   in Loop: Header=BB6_11188 Depth=2
	v_dual_lshrrev_b32 v1, 3, v4 :: v_dual_bitop2_b32 v52, 7, v6 bitop3:0x40
	s_mov_b32 s40, exec_lo
	s_delay_alu instid0(VALU_DEP_1)
	v_mov_b64_e32 v[16:17], v[52:53]
	v_cmpx_gt_u32_e32 8, v4
; %bb.11504:                            ;   in Loop: Header=BB6_11188 Depth=2
	v_clz_i32_u32_e32 v1, v52
	s_delay_alu instid0(VALU_DEP_1) | instskip(NEXT) | instid1(VALU_DEP_1)
	v_min_u32_e32 v1, 32, v1
	v_subrev_nc_u32_e32 v4, 28, v1
	s_delay_alu instid0(VALU_DEP_1) | instskip(NEXT) | instid1(VALU_DEP_1)
	v_lshlrev_b64_e32 v[6:7], v4, v[52:53]
	v_dual_sub_nc_u32 v1, 29, v1 :: v_dual_bitop2_b32 v16, 7, v6 bitop3:0x40
; %bb.11505:                            ;   in Loop: Header=BB6_11188 Depth=2
	s_or_b32 exec_lo, exec_lo, s40
	v_lshlrev_b32_e32 v0, 24, v0
	s_delay_alu instid0(VALU_DEP_2) | instskip(NEXT) | instid1(VALU_DEP_3)
	v_lshlrev_b32_e32 v4, 20, v16
	v_lshl_add_u32 v1, v1, 23, 0x3c000000
	s_delay_alu instid0(VALU_DEP_3) | instskip(NEXT) | instid1(VALU_DEP_1)
	v_and_b32_e32 v0, 0x80000000, v0
	v_or3_b32 v1, v4, v0, v1
.LBB6_11506:                            ;   in Loop: Header=BB6_11188 Depth=2
	s_or_b32 exec_lo, exec_lo, s11
.LBB6_11507:                            ;   in Loop: Header=BB6_11188 Depth=2
	s_delay_alu instid0(SALU_CYCLE_1)
	s_or_b32 exec_lo, exec_lo, s10
.LBB6_11508:                            ;   in Loop: Header=BB6_11188 Depth=2
	s_delay_alu instid0(SALU_CYCLE_1) | instskip(NEXT) | instid1(VALU_DEP_1)
	s_or_b32 exec_lo, exec_lo, s7
	v_mul_f32_e32 v1, s29, v1
                                        ; implicit-def: $vgpr96
	s_mov_b32 s7, exec_lo
	s_delay_alu instid0(VALU_DEP_1) | instskip(SKIP_1) | instid1(VALU_DEP_2)
	v_and_b32_e32 v52, 0x7f800000, v1
	v_lshrrev_b32_e32 v0, 24, v1
	v_cmpx_ne_u64_e32 0x7f800000, v[52:53]
	s_xor_b32 s10, exec_lo, s7
	s_cbranch_execz .LBB6_11526
; %bb.11509:                            ;   in Loop: Header=BB6_11188 Depth=2
	v_and_b32_e32 v52, 0x7fffffff, v1
	v_and_b32_e32 v0, 0x80, v0
                                        ; implicit-def: $vgpr96
	s_mov_b32 s7, exec_lo
	s_delay_alu instid0(VALU_DEP_2)
	v_cmpx_gt_u64_e32 0x43e00001, v[52:53]
	s_xor_b32 s11, exec_lo, s7
	s_cbranch_execz .LBB6_11523
; %bb.11510:                            ;   in Loop: Header=BB6_11188 Depth=2
	v_mov_b32_e32 v96, 0
	s_mov_b32 s40, exec_lo
	v_cmpx_ne_u32_e32 0, v1
	s_cbranch_execz .LBB6_11522
; %bb.11511:                            ;   in Loop: Header=BB6_11188 Depth=2
	v_bfe_u32 v4, v1, 23, 8
	v_and_b32_e32 v1, 0x7fffff, v1
	s_delay_alu instid0(VALU_DEP_2) | instskip(SKIP_1) | instid1(VALU_DEP_3)
	v_sub_nc_u32_e32 v6, 0x79, v4
	v_cmp_gt_u32_e32 vcc_lo, 0x7a, v4
	v_or_b32_e32 v16, 0x800000, v1
	s_delay_alu instid0(VALU_DEP_3) | instskip(SKIP_1) | instid1(VALU_DEP_3)
	v_cndmask_b32_e32 v6, 0, v6, vcc_lo
	v_cmp_eq_u32_e32 vcc_lo, 0, v4
	v_cndmask_b32_e32 v52, v16, v1, vcc_lo
	s_delay_alu instid0(VALU_DEP_3) | instskip(NEXT) | instid1(VALU_DEP_1)
	v_cndmask_b32_e64 v6, v6, 0x78, vcc_lo
	v_add_nc_u32_e32 v7, 20, v6
	s_delay_alu instid0(VALU_DEP_3) | instskip(NEXT) | instid1(VALU_DEP_2)
	v_lshrrev_b64 v[16:17], v6, v[52:53]
	v_lshlrev_b64_e64 v[8:9], v7, -1
	v_add_nc_u32_e32 v7, 19, v6
	s_delay_alu instid0(VALU_DEP_1) | instskip(NEXT) | instid1(VALU_DEP_3)
	v_lshlrev_b64_e64 v[18:19], v7, 1
	v_bfi_b32 v9, v9, 0, 0
	s_delay_alu instid0(VALU_DEP_4) | instskip(NEXT) | instid1(VALU_DEP_1)
	v_bfi_b32 v8, v8, 0, v52
	v_cmp_eq_u64_e64 s7, v[8:9], v[18:19]
	v_mov_b64_e32 v[18:19], v[16:17]
	s_and_saveexec_b32 s41, s7
; %bb.11512:                            ;   in Loop: Header=BB6_11188 Depth=2
	v_bfe_u32 v52, v16, 20, 1
	s_delay_alu instid0(VALU_DEP_1) | instskip(NEXT) | instid1(VALU_DEP_1)
	v_add_nc_u64_e32 v[8:9], v[16:17], v[52:53]
	v_add_nc_u64_e32 v[18:19], -1, v[8:9]
; %bb.11513:                            ;   in Loop: Header=BB6_11188 Depth=2
	s_or_b32 exec_lo, exec_lo, s41
	v_add_nc_u32_e32 v1, 0xffffff81, v4
	v_lshrrev_b32_e32 v4, 23, v16
	s_mov_b32 s7, exec_lo
	s_delay_alu instid0(VALU_DEP_2) | instskip(NEXT) | instid1(VALU_DEP_1)
	v_cndmask_b32_e64 v1, v1, 0xffffff82, vcc_lo
	v_add3_u32 v4, v6, v1, v4
	v_and_b32_e32 v1, 0xfffff, v18
	s_delay_alu instid0(VALU_DEP_2) | instskip(NEXT) | instid1(VALU_DEP_2)
	v_add_nc_u32_e32 v6, 6, v4
	v_add_nc_u32_e32 v52, v1, v16
                                        ; implicit-def: $vgpr16_vgpr17
                                        ; implicit-def: $vgpr1
	s_delay_alu instid0(VALU_DEP_2)
	v_cmpx_ne_u32_e32 0, v6
	s_xor_b32 s7, exec_lo, s7
; %bb.11514:                            ;   in Loop: Header=BB6_11188 Depth=2
	s_delay_alu instid0(VALU_DEP_2) | instskip(SKIP_2) | instid1(VALU_DEP_2)
	v_cmp_lt_u64_e32 vcc_lo, 0xffffff, v[52:53]
	v_add_nc_u32_e32 v1, 7, v4
	v_cndmask_b32_e64 v4, 0, 1, vcc_lo
	v_cndmask_b32_e32 v1, v6, v1, vcc_lo
	s_delay_alu instid0(VALU_DEP_2)
	v_lshrrev_b64 v[16:17], v4, v[52:53]
; %bb.11515:                            ;   in Loop: Header=BB6_11188 Depth=2
	s_and_not1_saveexec_b32 s7, s7
; %bb.11516:                            ;   in Loop: Header=BB6_11188 Depth=2
	v_mov_b64_e32 v[16:17], v[52:53]
	v_bfe_u32 v1, v52, 23, 1
; %bb.11517:                            ;   in Loop: Header=BB6_11188 Depth=2
	s_or_b32 exec_lo, exec_lo, s7
	s_delay_alu instid0(VALU_DEP_2) | instskip(NEXT) | instid1(VALU_DEP_2)
	v_lshrrev_b64 v[6:7], 20, v[16:17]
	v_cmp_gt_i32_e32 vcc_lo, 16, v1
	v_cmp_ne_u32_e64 s7, 0, v1
                                        ; implicit-def: $vgpr96
	s_delay_alu instid0(VALU_DEP_3) | instskip(NEXT) | instid1(VALU_DEP_1)
	v_dual_cndmask_b32 v17, 0, v7 :: v_dual_cndmask_b32 v16, 7, v6
	v_cmp_ne_u64_e32 vcc_lo, 0, v[16:17]
	s_or_b32 s7, s7, vcc_lo
	s_delay_alu instid0(SALU_CYCLE_1) | instskip(NEXT) | instid1(SALU_CYCLE_1)
	s_and_saveexec_b32 s41, s7
	s_xor_b32 s7, exec_lo, s41
; %bb.11518:                            ;   in Loop: Header=BB6_11188 Depth=2
	v_min_i32_e32 v1, 15, v1
	s_delay_alu instid0(VALU_DEP_1) | instskip(NEXT) | instid1(VALU_DEP_1)
	v_lshl_or_b32 v0, v1, 3, v0
	v_and_or_b32 v96, v16, 7, v0
                                        ; implicit-def: $vgpr0
; %bb.11519:                            ;   in Loop: Header=BB6_11188 Depth=2
	s_and_not1_saveexec_b32 s7, s7
; %bb.11520:                            ;   in Loop: Header=BB6_11188 Depth=2
	v_mov_b32_e32 v96, v0
; %bb.11521:                            ;   in Loop: Header=BB6_11188 Depth=2
	s_or_b32 exec_lo, exec_lo, s7
.LBB6_11522:                            ;   in Loop: Header=BB6_11188 Depth=2
	s_delay_alu instid0(SALU_CYCLE_1)
	s_or_b32 exec_lo, exec_lo, s40
                                        ; implicit-def: $vgpr0
.LBB6_11523:                            ;   in Loop: Header=BB6_11188 Depth=2
	s_and_not1_saveexec_b32 s7, s11
; %bb.11524:                            ;   in Loop: Header=BB6_11188 Depth=2
	v_or_b32_e32 v96, 0x7e, v0
; %bb.11525:                            ;   in Loop: Header=BB6_11188 Depth=2
	s_or_b32 exec_lo, exec_lo, s7
                                        ; implicit-def: $vgpr0
.LBB6_11526:                            ;   in Loop: Header=BB6_11188 Depth=2
	s_and_not1_saveexec_b32 s7, s10
; %bb.11527:                            ;   in Loop: Header=BB6_11188 Depth=2
	v_or_b32_e32 v96, 0x7f, v0
; %bb.11528:                            ;   in Loop: Header=BB6_11188 Depth=2
	s_or_b32 exec_lo, exec_lo, s7
	flat_load_u8 v0, v[10:11] offset:384 th:TH_LOAD_NT
	v_mov_b32_e32 v1, 0
	s_mov_b32 s7, exec_lo
	s_wait_loadcnt_dscnt 0x0
	s_wait_xcnt 0x0
	v_cmpx_ne_u16_e32 0, v0
	s_cbranch_execz .LBB6_11536
; %bb.11529:                            ;   in Loop: Header=BB6_11188 Depth=2
	v_bfrev_b32_e32 v1, 1
	s_mov_b32 s10, exec_lo
	v_cmpx_ne_u16_e32 0x80, v0
	s_cbranch_execz .LBB6_11535
; %bb.11530:                            ;   in Loop: Header=BB6_11188 Depth=2
	v_and_b32_e32 v6, 0xffff, v0
	v_mov_b32_e32 v1, 0x7f800001
	s_mov_b32 s11, exec_lo
	s_delay_alu instid0(VALU_DEP_2) | instskip(NEXT) | instid1(VALU_DEP_1)
	v_and_b32_e32 v4, 0x7f, v6
	v_cmpx_ne_u32_e32 0x7f, v4
	s_cbranch_execz .LBB6_11534
; %bb.11531:                            ;   in Loop: Header=BB6_11188 Depth=2
	v_dual_lshrrev_b32 v1, 3, v4 :: v_dual_bitop2_b32 v52, 7, v6 bitop3:0x40
	s_mov_b32 s40, exec_lo
	s_delay_alu instid0(VALU_DEP_1)
	v_mov_b64_e32 v[16:17], v[52:53]
	v_cmpx_gt_u32_e32 8, v4
; %bb.11532:                            ;   in Loop: Header=BB6_11188 Depth=2
	v_clz_i32_u32_e32 v1, v52
	s_delay_alu instid0(VALU_DEP_1) | instskip(NEXT) | instid1(VALU_DEP_1)
	v_min_u32_e32 v1, 32, v1
	v_subrev_nc_u32_e32 v4, 28, v1
	s_delay_alu instid0(VALU_DEP_1) | instskip(NEXT) | instid1(VALU_DEP_1)
	v_lshlrev_b64_e32 v[6:7], v4, v[52:53]
	v_dual_sub_nc_u32 v1, 29, v1 :: v_dual_bitop2_b32 v16, 7, v6 bitop3:0x40
; %bb.11533:                            ;   in Loop: Header=BB6_11188 Depth=2
	s_or_b32 exec_lo, exec_lo, s40
	v_lshlrev_b32_e32 v0, 24, v0
	s_delay_alu instid0(VALU_DEP_2) | instskip(NEXT) | instid1(VALU_DEP_3)
	v_lshlrev_b32_e32 v4, 20, v16
	v_lshl_add_u32 v1, v1, 23, 0x3c000000
	s_delay_alu instid0(VALU_DEP_3) | instskip(NEXT) | instid1(VALU_DEP_1)
	v_and_b32_e32 v0, 0x80000000, v0
	v_or3_b32 v1, v4, v0, v1
.LBB6_11534:                            ;   in Loop: Header=BB6_11188 Depth=2
	s_or_b32 exec_lo, exec_lo, s11
.LBB6_11535:                            ;   in Loop: Header=BB6_11188 Depth=2
	s_delay_alu instid0(SALU_CYCLE_1)
	s_or_b32 exec_lo, exec_lo, s10
.LBB6_11536:                            ;   in Loop: Header=BB6_11188 Depth=2
	s_delay_alu instid0(SALU_CYCLE_1) | instskip(NEXT) | instid1(VALU_DEP_1)
	s_or_b32 exec_lo, exec_lo, s7
	v_mul_f32_e32 v1, s29, v1
                                        ; implicit-def: $vgpr86
	s_mov_b32 s7, exec_lo
	s_delay_alu instid0(VALU_DEP_1) | instskip(SKIP_1) | instid1(VALU_DEP_2)
	v_and_b32_e32 v52, 0x7f800000, v1
	v_lshrrev_b32_e32 v0, 24, v1
	v_cmpx_ne_u64_e32 0x7f800000, v[52:53]
	s_xor_b32 s10, exec_lo, s7
	s_cbranch_execz .LBB6_11554
; %bb.11537:                            ;   in Loop: Header=BB6_11188 Depth=2
	v_and_b32_e32 v52, 0x7fffffff, v1
	v_and_b32_e32 v0, 0x80, v0
                                        ; implicit-def: $vgpr86
	s_mov_b32 s7, exec_lo
	s_delay_alu instid0(VALU_DEP_2)
	v_cmpx_gt_u64_e32 0x43e00001, v[52:53]
	s_xor_b32 s11, exec_lo, s7
	s_cbranch_execz .LBB6_11551
; %bb.11538:                            ;   in Loop: Header=BB6_11188 Depth=2
	v_mov_b32_e32 v86, 0
	s_mov_b32 s40, exec_lo
	v_cmpx_ne_u32_e32 0, v1
	s_cbranch_execz .LBB6_11550
; %bb.11539:                            ;   in Loop: Header=BB6_11188 Depth=2
	v_bfe_u32 v4, v1, 23, 8
	v_and_b32_e32 v1, 0x7fffff, v1
	s_delay_alu instid0(VALU_DEP_2) | instskip(SKIP_1) | instid1(VALU_DEP_3)
	v_sub_nc_u32_e32 v6, 0x79, v4
	v_cmp_gt_u32_e32 vcc_lo, 0x7a, v4
	v_or_b32_e32 v16, 0x800000, v1
	s_delay_alu instid0(VALU_DEP_3) | instskip(SKIP_1) | instid1(VALU_DEP_3)
	v_cndmask_b32_e32 v6, 0, v6, vcc_lo
	v_cmp_eq_u32_e32 vcc_lo, 0, v4
	v_cndmask_b32_e32 v52, v16, v1, vcc_lo
	s_delay_alu instid0(VALU_DEP_3) | instskip(NEXT) | instid1(VALU_DEP_1)
	v_cndmask_b32_e64 v6, v6, 0x78, vcc_lo
	v_add_nc_u32_e32 v7, 20, v6
	s_delay_alu instid0(VALU_DEP_3) | instskip(NEXT) | instid1(VALU_DEP_2)
	v_lshrrev_b64 v[16:17], v6, v[52:53]
	v_lshlrev_b64_e64 v[8:9], v7, -1
	v_add_nc_u32_e32 v7, 19, v6
	s_delay_alu instid0(VALU_DEP_1) | instskip(NEXT) | instid1(VALU_DEP_3)
	v_lshlrev_b64_e64 v[18:19], v7, 1
	v_bfi_b32 v9, v9, 0, 0
	s_delay_alu instid0(VALU_DEP_4) | instskip(NEXT) | instid1(VALU_DEP_1)
	v_bfi_b32 v8, v8, 0, v52
	v_cmp_eq_u64_e64 s7, v[8:9], v[18:19]
	v_mov_b64_e32 v[18:19], v[16:17]
	s_and_saveexec_b32 s41, s7
; %bb.11540:                            ;   in Loop: Header=BB6_11188 Depth=2
	v_bfe_u32 v52, v16, 20, 1
	s_delay_alu instid0(VALU_DEP_1) | instskip(NEXT) | instid1(VALU_DEP_1)
	v_add_nc_u64_e32 v[8:9], v[16:17], v[52:53]
	v_add_nc_u64_e32 v[18:19], -1, v[8:9]
; %bb.11541:                            ;   in Loop: Header=BB6_11188 Depth=2
	s_or_b32 exec_lo, exec_lo, s41
	v_add_nc_u32_e32 v1, 0xffffff81, v4
	v_lshrrev_b32_e32 v4, 23, v16
	s_mov_b32 s7, exec_lo
	s_delay_alu instid0(VALU_DEP_2) | instskip(NEXT) | instid1(VALU_DEP_1)
	v_cndmask_b32_e64 v1, v1, 0xffffff82, vcc_lo
	v_add3_u32 v4, v6, v1, v4
	v_and_b32_e32 v1, 0xfffff, v18
	s_delay_alu instid0(VALU_DEP_2) | instskip(NEXT) | instid1(VALU_DEP_2)
	v_add_nc_u32_e32 v6, 6, v4
	v_add_nc_u32_e32 v52, v1, v16
                                        ; implicit-def: $vgpr16_vgpr17
                                        ; implicit-def: $vgpr1
	s_delay_alu instid0(VALU_DEP_2)
	v_cmpx_ne_u32_e32 0, v6
	s_xor_b32 s7, exec_lo, s7
; %bb.11542:                            ;   in Loop: Header=BB6_11188 Depth=2
	s_delay_alu instid0(VALU_DEP_2) | instskip(SKIP_2) | instid1(VALU_DEP_2)
	v_cmp_lt_u64_e32 vcc_lo, 0xffffff, v[52:53]
	v_add_nc_u32_e32 v1, 7, v4
	v_cndmask_b32_e64 v4, 0, 1, vcc_lo
	v_cndmask_b32_e32 v1, v6, v1, vcc_lo
	s_delay_alu instid0(VALU_DEP_2)
	v_lshrrev_b64 v[16:17], v4, v[52:53]
; %bb.11543:                            ;   in Loop: Header=BB6_11188 Depth=2
	s_and_not1_saveexec_b32 s7, s7
; %bb.11544:                            ;   in Loop: Header=BB6_11188 Depth=2
	v_mov_b64_e32 v[16:17], v[52:53]
	v_bfe_u32 v1, v52, 23, 1
; %bb.11545:                            ;   in Loop: Header=BB6_11188 Depth=2
	s_or_b32 exec_lo, exec_lo, s7
	s_delay_alu instid0(VALU_DEP_2) | instskip(NEXT) | instid1(VALU_DEP_2)
	v_lshrrev_b64 v[6:7], 20, v[16:17]
	v_cmp_gt_i32_e32 vcc_lo, 16, v1
	v_cmp_ne_u32_e64 s7, 0, v1
                                        ; implicit-def: $vgpr86
	s_delay_alu instid0(VALU_DEP_3) | instskip(NEXT) | instid1(VALU_DEP_1)
	v_dual_cndmask_b32 v17, 0, v7 :: v_dual_cndmask_b32 v16, 7, v6
	v_cmp_ne_u64_e32 vcc_lo, 0, v[16:17]
	s_or_b32 s7, s7, vcc_lo
	s_delay_alu instid0(SALU_CYCLE_1) | instskip(NEXT) | instid1(SALU_CYCLE_1)
	s_and_saveexec_b32 s41, s7
	s_xor_b32 s7, exec_lo, s41
; %bb.11546:                            ;   in Loop: Header=BB6_11188 Depth=2
	v_min_i32_e32 v1, 15, v1
	s_delay_alu instid0(VALU_DEP_1) | instskip(NEXT) | instid1(VALU_DEP_1)
	v_lshl_or_b32 v0, v1, 3, v0
	v_and_or_b32 v86, v16, 7, v0
                                        ; implicit-def: $vgpr0
; %bb.11547:                            ;   in Loop: Header=BB6_11188 Depth=2
	s_and_not1_saveexec_b32 s7, s7
; %bb.11548:                            ;   in Loop: Header=BB6_11188 Depth=2
	v_mov_b32_e32 v86, v0
; %bb.11549:                            ;   in Loop: Header=BB6_11188 Depth=2
	s_or_b32 exec_lo, exec_lo, s7
.LBB6_11550:                            ;   in Loop: Header=BB6_11188 Depth=2
	s_delay_alu instid0(SALU_CYCLE_1)
	s_or_b32 exec_lo, exec_lo, s40
                                        ; implicit-def: $vgpr0
.LBB6_11551:                            ;   in Loop: Header=BB6_11188 Depth=2
	s_and_not1_saveexec_b32 s7, s11
; %bb.11552:                            ;   in Loop: Header=BB6_11188 Depth=2
	v_or_b32_e32 v86, 0x7e, v0
; %bb.11553:                            ;   in Loop: Header=BB6_11188 Depth=2
	s_or_b32 exec_lo, exec_lo, s7
                                        ; implicit-def: $vgpr0
.LBB6_11554:                            ;   in Loop: Header=BB6_11188 Depth=2
	s_and_not1_saveexec_b32 s7, s10
; %bb.11555:                            ;   in Loop: Header=BB6_11188 Depth=2
	v_or_b32_e32 v86, 0x7f, v0
; %bb.11556:                            ;   in Loop: Header=BB6_11188 Depth=2
	s_or_b32 exec_lo, exec_lo, s7
	flat_load_u8 v0, v[10:11] offset:416 th:TH_LOAD_NT
	v_mov_b32_e32 v1, 0
	s_mov_b32 s7, exec_lo
	s_wait_loadcnt_dscnt 0x0
	s_wait_xcnt 0x0
	v_cmpx_ne_u16_e32 0, v0
	s_cbranch_execz .LBB6_11564
; %bb.11557:                            ;   in Loop: Header=BB6_11188 Depth=2
	v_bfrev_b32_e32 v1, 1
	s_mov_b32 s10, exec_lo
	v_cmpx_ne_u16_e32 0x80, v0
	s_cbranch_execz .LBB6_11563
; %bb.11558:                            ;   in Loop: Header=BB6_11188 Depth=2
	v_and_b32_e32 v6, 0xffff, v0
	v_mov_b32_e32 v1, 0x7f800001
	s_mov_b32 s11, exec_lo
	s_delay_alu instid0(VALU_DEP_2) | instskip(NEXT) | instid1(VALU_DEP_1)
	v_and_b32_e32 v4, 0x7f, v6
	v_cmpx_ne_u32_e32 0x7f, v4
	s_cbranch_execz .LBB6_11562
; %bb.11559:                            ;   in Loop: Header=BB6_11188 Depth=2
	v_dual_lshrrev_b32 v1, 3, v4 :: v_dual_bitop2_b32 v52, 7, v6 bitop3:0x40
	s_mov_b32 s40, exec_lo
	s_delay_alu instid0(VALU_DEP_1)
	v_mov_b64_e32 v[16:17], v[52:53]
	v_cmpx_gt_u32_e32 8, v4
; %bb.11560:                            ;   in Loop: Header=BB6_11188 Depth=2
	v_clz_i32_u32_e32 v1, v52
	s_delay_alu instid0(VALU_DEP_1) | instskip(NEXT) | instid1(VALU_DEP_1)
	v_min_u32_e32 v1, 32, v1
	v_subrev_nc_u32_e32 v4, 28, v1
	s_delay_alu instid0(VALU_DEP_1) | instskip(NEXT) | instid1(VALU_DEP_1)
	v_lshlrev_b64_e32 v[6:7], v4, v[52:53]
	v_dual_sub_nc_u32 v1, 29, v1 :: v_dual_bitop2_b32 v16, 7, v6 bitop3:0x40
; %bb.11561:                            ;   in Loop: Header=BB6_11188 Depth=2
	s_or_b32 exec_lo, exec_lo, s40
	v_lshlrev_b32_e32 v0, 24, v0
	s_delay_alu instid0(VALU_DEP_2) | instskip(NEXT) | instid1(VALU_DEP_3)
	v_lshlrev_b32_e32 v4, 20, v16
	v_lshl_add_u32 v1, v1, 23, 0x3c000000
	s_delay_alu instid0(VALU_DEP_3) | instskip(NEXT) | instid1(VALU_DEP_1)
	v_and_b32_e32 v0, 0x80000000, v0
	v_or3_b32 v1, v4, v0, v1
.LBB6_11562:                            ;   in Loop: Header=BB6_11188 Depth=2
	s_or_b32 exec_lo, exec_lo, s11
.LBB6_11563:                            ;   in Loop: Header=BB6_11188 Depth=2
	s_delay_alu instid0(SALU_CYCLE_1)
	s_or_b32 exec_lo, exec_lo, s10
.LBB6_11564:                            ;   in Loop: Header=BB6_11188 Depth=2
	s_delay_alu instid0(SALU_CYCLE_1) | instskip(NEXT) | instid1(VALU_DEP_1)
	s_or_b32 exec_lo, exec_lo, s7
	v_mul_f32_e32 v1, s29, v1
                                        ; implicit-def: $vgpr65
	s_mov_b32 s7, exec_lo
	s_delay_alu instid0(VALU_DEP_1) | instskip(SKIP_1) | instid1(VALU_DEP_2)
	v_and_b32_e32 v52, 0x7f800000, v1
	v_lshrrev_b32_e32 v0, 24, v1
	v_cmpx_ne_u64_e32 0x7f800000, v[52:53]
	s_xor_b32 s10, exec_lo, s7
	s_cbranch_execz .LBB6_11582
; %bb.11565:                            ;   in Loop: Header=BB6_11188 Depth=2
	v_and_b32_e32 v52, 0x7fffffff, v1
	v_and_b32_e32 v0, 0x80, v0
                                        ; implicit-def: $vgpr65
	s_mov_b32 s7, exec_lo
	s_delay_alu instid0(VALU_DEP_2)
	v_cmpx_gt_u64_e32 0x43e00001, v[52:53]
	s_xor_b32 s11, exec_lo, s7
	s_cbranch_execz .LBB6_11579
; %bb.11566:                            ;   in Loop: Header=BB6_11188 Depth=2
	v_mov_b32_e32 v65, 0
	s_mov_b32 s40, exec_lo
	v_cmpx_ne_u32_e32 0, v1
	s_cbranch_execz .LBB6_11578
; %bb.11567:                            ;   in Loop: Header=BB6_11188 Depth=2
	v_bfe_u32 v4, v1, 23, 8
	v_and_b32_e32 v1, 0x7fffff, v1
	s_delay_alu instid0(VALU_DEP_2) | instskip(SKIP_1) | instid1(VALU_DEP_3)
	v_sub_nc_u32_e32 v6, 0x79, v4
	v_cmp_gt_u32_e32 vcc_lo, 0x7a, v4
	v_or_b32_e32 v16, 0x800000, v1
	s_delay_alu instid0(VALU_DEP_3) | instskip(SKIP_1) | instid1(VALU_DEP_3)
	v_cndmask_b32_e32 v6, 0, v6, vcc_lo
	v_cmp_eq_u32_e32 vcc_lo, 0, v4
	v_cndmask_b32_e32 v52, v16, v1, vcc_lo
	s_delay_alu instid0(VALU_DEP_3) | instskip(NEXT) | instid1(VALU_DEP_1)
	v_cndmask_b32_e64 v6, v6, 0x78, vcc_lo
	v_add_nc_u32_e32 v7, 20, v6
	s_delay_alu instid0(VALU_DEP_3) | instskip(NEXT) | instid1(VALU_DEP_2)
	v_lshrrev_b64 v[16:17], v6, v[52:53]
	v_lshlrev_b64_e64 v[8:9], v7, -1
	v_add_nc_u32_e32 v7, 19, v6
	s_delay_alu instid0(VALU_DEP_1) | instskip(NEXT) | instid1(VALU_DEP_3)
	v_lshlrev_b64_e64 v[18:19], v7, 1
	v_bfi_b32 v9, v9, 0, 0
	s_delay_alu instid0(VALU_DEP_4) | instskip(NEXT) | instid1(VALU_DEP_1)
	v_bfi_b32 v8, v8, 0, v52
	v_cmp_eq_u64_e64 s7, v[8:9], v[18:19]
	v_mov_b64_e32 v[18:19], v[16:17]
	s_and_saveexec_b32 s41, s7
; %bb.11568:                            ;   in Loop: Header=BB6_11188 Depth=2
	v_bfe_u32 v52, v16, 20, 1
	s_delay_alu instid0(VALU_DEP_1) | instskip(NEXT) | instid1(VALU_DEP_1)
	v_add_nc_u64_e32 v[8:9], v[16:17], v[52:53]
	v_add_nc_u64_e32 v[18:19], -1, v[8:9]
; %bb.11569:                            ;   in Loop: Header=BB6_11188 Depth=2
	s_or_b32 exec_lo, exec_lo, s41
	v_add_nc_u32_e32 v1, 0xffffff81, v4
	v_lshrrev_b32_e32 v4, 23, v16
	s_mov_b32 s7, exec_lo
	s_delay_alu instid0(VALU_DEP_2) | instskip(NEXT) | instid1(VALU_DEP_1)
	v_cndmask_b32_e64 v1, v1, 0xffffff82, vcc_lo
	v_add3_u32 v4, v6, v1, v4
	v_and_b32_e32 v1, 0xfffff, v18
	s_delay_alu instid0(VALU_DEP_2) | instskip(NEXT) | instid1(VALU_DEP_2)
	v_add_nc_u32_e32 v6, 6, v4
	v_add_nc_u32_e32 v52, v1, v16
                                        ; implicit-def: $vgpr16_vgpr17
                                        ; implicit-def: $vgpr1
	s_delay_alu instid0(VALU_DEP_2)
	v_cmpx_ne_u32_e32 0, v6
	s_xor_b32 s7, exec_lo, s7
; %bb.11570:                            ;   in Loop: Header=BB6_11188 Depth=2
	s_delay_alu instid0(VALU_DEP_2) | instskip(SKIP_2) | instid1(VALU_DEP_2)
	v_cmp_lt_u64_e32 vcc_lo, 0xffffff, v[52:53]
	v_add_nc_u32_e32 v1, 7, v4
	v_cndmask_b32_e64 v4, 0, 1, vcc_lo
	v_cndmask_b32_e32 v1, v6, v1, vcc_lo
	s_delay_alu instid0(VALU_DEP_2)
	v_lshrrev_b64 v[16:17], v4, v[52:53]
; %bb.11571:                            ;   in Loop: Header=BB6_11188 Depth=2
	s_and_not1_saveexec_b32 s7, s7
; %bb.11572:                            ;   in Loop: Header=BB6_11188 Depth=2
	v_mov_b64_e32 v[16:17], v[52:53]
	v_bfe_u32 v1, v52, 23, 1
; %bb.11573:                            ;   in Loop: Header=BB6_11188 Depth=2
	s_or_b32 exec_lo, exec_lo, s7
	s_delay_alu instid0(VALU_DEP_2) | instskip(NEXT) | instid1(VALU_DEP_2)
	v_lshrrev_b64 v[6:7], 20, v[16:17]
	v_cmp_gt_i32_e32 vcc_lo, 16, v1
	v_cmp_ne_u32_e64 s7, 0, v1
                                        ; implicit-def: $vgpr65
	s_delay_alu instid0(VALU_DEP_3) | instskip(NEXT) | instid1(VALU_DEP_1)
	v_dual_cndmask_b32 v17, 0, v7 :: v_dual_cndmask_b32 v16, 7, v6
	v_cmp_ne_u64_e32 vcc_lo, 0, v[16:17]
	s_or_b32 s7, s7, vcc_lo
	s_delay_alu instid0(SALU_CYCLE_1) | instskip(NEXT) | instid1(SALU_CYCLE_1)
	s_and_saveexec_b32 s41, s7
	s_xor_b32 s7, exec_lo, s41
; %bb.11574:                            ;   in Loop: Header=BB6_11188 Depth=2
	v_min_i32_e32 v1, 15, v1
	s_delay_alu instid0(VALU_DEP_1) | instskip(NEXT) | instid1(VALU_DEP_1)
	v_lshl_or_b32 v0, v1, 3, v0
	v_and_or_b32 v65, v16, 7, v0
                                        ; implicit-def: $vgpr0
; %bb.11575:                            ;   in Loop: Header=BB6_11188 Depth=2
	s_and_not1_saveexec_b32 s7, s7
; %bb.11576:                            ;   in Loop: Header=BB6_11188 Depth=2
	v_mov_b32_e32 v65, v0
; %bb.11577:                            ;   in Loop: Header=BB6_11188 Depth=2
	s_or_b32 exec_lo, exec_lo, s7
.LBB6_11578:                            ;   in Loop: Header=BB6_11188 Depth=2
	s_delay_alu instid0(SALU_CYCLE_1)
	s_or_b32 exec_lo, exec_lo, s40
                                        ; implicit-def: $vgpr0
.LBB6_11579:                            ;   in Loop: Header=BB6_11188 Depth=2
	s_and_not1_saveexec_b32 s7, s11
; %bb.11580:                            ;   in Loop: Header=BB6_11188 Depth=2
	v_or_b32_e32 v65, 0x7e, v0
; %bb.11581:                            ;   in Loop: Header=BB6_11188 Depth=2
	s_or_b32 exec_lo, exec_lo, s7
                                        ; implicit-def: $vgpr0
.LBB6_11582:                            ;   in Loop: Header=BB6_11188 Depth=2
	s_and_not1_saveexec_b32 s7, s10
; %bb.11583:                            ;   in Loop: Header=BB6_11188 Depth=2
	v_or_b32_e32 v65, 0x7f, v0
; %bb.11584:                            ;   in Loop: Header=BB6_11188 Depth=2
	s_or_b32 exec_lo, exec_lo, s7
	flat_load_u8 v0, v[10:11] offset:448 th:TH_LOAD_NT
	v_mov_b32_e32 v1, 0
	s_mov_b32 s7, exec_lo
	s_wait_loadcnt_dscnt 0x0
	s_wait_xcnt 0x0
	v_cmpx_ne_u16_e32 0, v0
	s_cbranch_execz .LBB6_11592
; %bb.11585:                            ;   in Loop: Header=BB6_11188 Depth=2
	v_bfrev_b32_e32 v1, 1
	s_mov_b32 s10, exec_lo
	v_cmpx_ne_u16_e32 0x80, v0
	s_cbranch_execz .LBB6_11591
; %bb.11586:                            ;   in Loop: Header=BB6_11188 Depth=2
	v_and_b32_e32 v6, 0xffff, v0
	v_mov_b32_e32 v1, 0x7f800001
	s_mov_b32 s11, exec_lo
	s_delay_alu instid0(VALU_DEP_2) | instskip(NEXT) | instid1(VALU_DEP_1)
	v_and_b32_e32 v4, 0x7f, v6
	v_cmpx_ne_u32_e32 0x7f, v4
	s_cbranch_execz .LBB6_11590
; %bb.11587:                            ;   in Loop: Header=BB6_11188 Depth=2
	v_dual_lshrrev_b32 v1, 3, v4 :: v_dual_bitop2_b32 v52, 7, v6 bitop3:0x40
	s_mov_b32 s40, exec_lo
	s_delay_alu instid0(VALU_DEP_1)
	v_mov_b64_e32 v[16:17], v[52:53]
	v_cmpx_gt_u32_e32 8, v4
; %bb.11588:                            ;   in Loop: Header=BB6_11188 Depth=2
	v_clz_i32_u32_e32 v1, v52
	s_delay_alu instid0(VALU_DEP_1) | instskip(NEXT) | instid1(VALU_DEP_1)
	v_min_u32_e32 v1, 32, v1
	v_subrev_nc_u32_e32 v4, 28, v1
	s_delay_alu instid0(VALU_DEP_1) | instskip(NEXT) | instid1(VALU_DEP_1)
	v_lshlrev_b64_e32 v[6:7], v4, v[52:53]
	v_dual_sub_nc_u32 v1, 29, v1 :: v_dual_bitop2_b32 v16, 7, v6 bitop3:0x40
; %bb.11589:                            ;   in Loop: Header=BB6_11188 Depth=2
	s_or_b32 exec_lo, exec_lo, s40
	v_lshlrev_b32_e32 v0, 24, v0
	s_delay_alu instid0(VALU_DEP_2) | instskip(NEXT) | instid1(VALU_DEP_3)
	v_lshlrev_b32_e32 v4, 20, v16
	v_lshl_add_u32 v1, v1, 23, 0x3c000000
	s_delay_alu instid0(VALU_DEP_3) | instskip(NEXT) | instid1(VALU_DEP_1)
	v_and_b32_e32 v0, 0x80000000, v0
	v_or3_b32 v1, v4, v0, v1
.LBB6_11590:                            ;   in Loop: Header=BB6_11188 Depth=2
	s_or_b32 exec_lo, exec_lo, s11
.LBB6_11591:                            ;   in Loop: Header=BB6_11188 Depth=2
	s_delay_alu instid0(SALU_CYCLE_1)
	s_or_b32 exec_lo, exec_lo, s10
.LBB6_11592:                            ;   in Loop: Header=BB6_11188 Depth=2
	s_delay_alu instid0(SALU_CYCLE_1) | instskip(NEXT) | instid1(VALU_DEP_1)
	s_or_b32 exec_lo, exec_lo, s7
	v_mul_f32_e32 v1, s29, v1
                                        ; implicit-def: $vgpr51
	s_mov_b32 s7, exec_lo
	s_delay_alu instid0(VALU_DEP_1) | instskip(SKIP_1) | instid1(VALU_DEP_2)
	v_and_b32_e32 v52, 0x7f800000, v1
	v_lshrrev_b32_e32 v0, 24, v1
	v_cmpx_ne_u64_e32 0x7f800000, v[52:53]
	s_xor_b32 s10, exec_lo, s7
	s_cbranch_execz .LBB6_11610
; %bb.11593:                            ;   in Loop: Header=BB6_11188 Depth=2
	v_and_b32_e32 v52, 0x7fffffff, v1
	v_and_b32_e32 v0, 0x80, v0
                                        ; implicit-def: $vgpr51
	s_mov_b32 s7, exec_lo
	s_delay_alu instid0(VALU_DEP_2)
	v_cmpx_gt_u64_e32 0x43e00001, v[52:53]
	s_xor_b32 s11, exec_lo, s7
	s_cbranch_execz .LBB6_11607
; %bb.11594:                            ;   in Loop: Header=BB6_11188 Depth=2
	v_mov_b32_e32 v51, 0
	s_mov_b32 s40, exec_lo
	v_cmpx_ne_u32_e32 0, v1
	s_cbranch_execz .LBB6_11606
; %bb.11595:                            ;   in Loop: Header=BB6_11188 Depth=2
	v_bfe_u32 v4, v1, 23, 8
	v_and_b32_e32 v1, 0x7fffff, v1
	s_delay_alu instid0(VALU_DEP_2) | instskip(SKIP_1) | instid1(VALU_DEP_3)
	v_sub_nc_u32_e32 v6, 0x79, v4
	v_cmp_gt_u32_e32 vcc_lo, 0x7a, v4
	v_or_b32_e32 v16, 0x800000, v1
	s_delay_alu instid0(VALU_DEP_3) | instskip(SKIP_1) | instid1(VALU_DEP_3)
	v_cndmask_b32_e32 v6, 0, v6, vcc_lo
	v_cmp_eq_u32_e32 vcc_lo, 0, v4
	v_cndmask_b32_e32 v52, v16, v1, vcc_lo
	s_delay_alu instid0(VALU_DEP_3) | instskip(NEXT) | instid1(VALU_DEP_1)
	v_cndmask_b32_e64 v6, v6, 0x78, vcc_lo
	v_add_nc_u32_e32 v7, 20, v6
	s_delay_alu instid0(VALU_DEP_3) | instskip(NEXT) | instid1(VALU_DEP_2)
	v_lshrrev_b64 v[16:17], v6, v[52:53]
	v_lshlrev_b64_e64 v[8:9], v7, -1
	v_add_nc_u32_e32 v7, 19, v6
	s_delay_alu instid0(VALU_DEP_1) | instskip(NEXT) | instid1(VALU_DEP_3)
	v_lshlrev_b64_e64 v[18:19], v7, 1
	v_bfi_b32 v9, v9, 0, 0
	s_delay_alu instid0(VALU_DEP_4) | instskip(NEXT) | instid1(VALU_DEP_1)
	v_bfi_b32 v8, v8, 0, v52
	v_cmp_eq_u64_e64 s7, v[8:9], v[18:19]
	v_mov_b64_e32 v[18:19], v[16:17]
	s_and_saveexec_b32 s41, s7
; %bb.11596:                            ;   in Loop: Header=BB6_11188 Depth=2
	v_bfe_u32 v52, v16, 20, 1
	s_delay_alu instid0(VALU_DEP_1) | instskip(NEXT) | instid1(VALU_DEP_1)
	v_add_nc_u64_e32 v[8:9], v[16:17], v[52:53]
	v_add_nc_u64_e32 v[18:19], -1, v[8:9]
; %bb.11597:                            ;   in Loop: Header=BB6_11188 Depth=2
	s_or_b32 exec_lo, exec_lo, s41
	v_add_nc_u32_e32 v1, 0xffffff81, v4
	v_lshrrev_b32_e32 v4, 23, v16
	s_mov_b32 s7, exec_lo
	s_delay_alu instid0(VALU_DEP_2) | instskip(NEXT) | instid1(VALU_DEP_1)
	v_cndmask_b32_e64 v1, v1, 0xffffff82, vcc_lo
	v_add3_u32 v4, v6, v1, v4
	v_and_b32_e32 v1, 0xfffff, v18
	s_delay_alu instid0(VALU_DEP_2) | instskip(NEXT) | instid1(VALU_DEP_2)
	v_add_nc_u32_e32 v6, 6, v4
	v_add_nc_u32_e32 v52, v1, v16
                                        ; implicit-def: $vgpr16_vgpr17
                                        ; implicit-def: $vgpr1
	s_delay_alu instid0(VALU_DEP_2)
	v_cmpx_ne_u32_e32 0, v6
	s_xor_b32 s7, exec_lo, s7
; %bb.11598:                            ;   in Loop: Header=BB6_11188 Depth=2
	s_delay_alu instid0(VALU_DEP_2) | instskip(SKIP_2) | instid1(VALU_DEP_2)
	v_cmp_lt_u64_e32 vcc_lo, 0xffffff, v[52:53]
	v_add_nc_u32_e32 v1, 7, v4
	v_cndmask_b32_e64 v4, 0, 1, vcc_lo
	v_cndmask_b32_e32 v1, v6, v1, vcc_lo
	s_delay_alu instid0(VALU_DEP_2)
	v_lshrrev_b64 v[16:17], v4, v[52:53]
; %bb.11599:                            ;   in Loop: Header=BB6_11188 Depth=2
	s_and_not1_saveexec_b32 s7, s7
; %bb.11600:                            ;   in Loop: Header=BB6_11188 Depth=2
	v_mov_b64_e32 v[16:17], v[52:53]
	v_bfe_u32 v1, v52, 23, 1
; %bb.11601:                            ;   in Loop: Header=BB6_11188 Depth=2
	s_or_b32 exec_lo, exec_lo, s7
	s_delay_alu instid0(VALU_DEP_2) | instskip(NEXT) | instid1(VALU_DEP_2)
	v_lshrrev_b64 v[6:7], 20, v[16:17]
	v_cmp_gt_i32_e32 vcc_lo, 16, v1
	v_cmp_ne_u32_e64 s7, 0, v1
                                        ; implicit-def: $vgpr51
	s_delay_alu instid0(VALU_DEP_3) | instskip(NEXT) | instid1(VALU_DEP_1)
	v_dual_cndmask_b32 v17, 0, v7 :: v_dual_cndmask_b32 v16, 7, v6
	v_cmp_ne_u64_e32 vcc_lo, 0, v[16:17]
	s_or_b32 s7, s7, vcc_lo
	s_delay_alu instid0(SALU_CYCLE_1) | instskip(NEXT) | instid1(SALU_CYCLE_1)
	s_and_saveexec_b32 s41, s7
	s_xor_b32 s7, exec_lo, s41
; %bb.11602:                            ;   in Loop: Header=BB6_11188 Depth=2
	v_min_i32_e32 v1, 15, v1
	s_delay_alu instid0(VALU_DEP_1) | instskip(NEXT) | instid1(VALU_DEP_1)
	v_lshl_or_b32 v0, v1, 3, v0
	v_and_or_b32 v51, v16, 7, v0
                                        ; implicit-def: $vgpr0
; %bb.11603:                            ;   in Loop: Header=BB6_11188 Depth=2
	s_and_not1_saveexec_b32 s7, s7
; %bb.11604:                            ;   in Loop: Header=BB6_11188 Depth=2
	v_mov_b32_e32 v51, v0
; %bb.11605:                            ;   in Loop: Header=BB6_11188 Depth=2
	s_or_b32 exec_lo, exec_lo, s7
.LBB6_11606:                            ;   in Loop: Header=BB6_11188 Depth=2
	s_delay_alu instid0(SALU_CYCLE_1)
	s_or_b32 exec_lo, exec_lo, s40
                                        ; implicit-def: $vgpr0
.LBB6_11607:                            ;   in Loop: Header=BB6_11188 Depth=2
	s_and_not1_saveexec_b32 s7, s11
; %bb.11608:                            ;   in Loop: Header=BB6_11188 Depth=2
	v_or_b32_e32 v51, 0x7e, v0
; %bb.11609:                            ;   in Loop: Header=BB6_11188 Depth=2
	s_or_b32 exec_lo, exec_lo, s7
                                        ; implicit-def: $vgpr0
.LBB6_11610:                            ;   in Loop: Header=BB6_11188 Depth=2
	s_and_not1_saveexec_b32 s7, s10
; %bb.11611:                            ;   in Loop: Header=BB6_11188 Depth=2
	v_or_b32_e32 v51, 0x7f, v0
; %bb.11612:                            ;   in Loop: Header=BB6_11188 Depth=2
	s_or_b32 exec_lo, exec_lo, s7
	flat_load_u8 v0, v[10:11] offset:480 th:TH_LOAD_NT
	v_mov_b32_e32 v1, 0
	s_mov_b32 s7, exec_lo
	s_wait_loadcnt_dscnt 0x0
	s_wait_xcnt 0x0
	v_cmpx_ne_u16_e32 0, v0
	s_cbranch_execz .LBB6_11620
; %bb.11613:                            ;   in Loop: Header=BB6_11188 Depth=2
	v_bfrev_b32_e32 v1, 1
	s_mov_b32 s10, exec_lo
	v_cmpx_ne_u16_e32 0x80, v0
	s_cbranch_execz .LBB6_11619
; %bb.11614:                            ;   in Loop: Header=BB6_11188 Depth=2
	v_and_b32_e32 v6, 0xffff, v0
	v_mov_b32_e32 v1, 0x7f800001
	s_mov_b32 s11, exec_lo
	s_delay_alu instid0(VALU_DEP_2) | instskip(NEXT) | instid1(VALU_DEP_1)
	v_and_b32_e32 v4, 0x7f, v6
	v_cmpx_ne_u32_e32 0x7f, v4
	s_cbranch_execz .LBB6_11618
; %bb.11615:                            ;   in Loop: Header=BB6_11188 Depth=2
	v_dual_lshrrev_b32 v1, 3, v4 :: v_dual_bitop2_b32 v52, 7, v6 bitop3:0x40
	s_mov_b32 s40, exec_lo
	s_delay_alu instid0(VALU_DEP_1)
	v_mov_b64_e32 v[16:17], v[52:53]
	v_cmpx_gt_u32_e32 8, v4
; %bb.11616:                            ;   in Loop: Header=BB6_11188 Depth=2
	v_clz_i32_u32_e32 v1, v52
	s_delay_alu instid0(VALU_DEP_1) | instskip(NEXT) | instid1(VALU_DEP_1)
	v_min_u32_e32 v1, 32, v1
	v_subrev_nc_u32_e32 v4, 28, v1
	s_delay_alu instid0(VALU_DEP_1) | instskip(NEXT) | instid1(VALU_DEP_1)
	v_lshlrev_b64_e32 v[6:7], v4, v[52:53]
	v_dual_sub_nc_u32 v1, 29, v1 :: v_dual_bitop2_b32 v16, 7, v6 bitop3:0x40
; %bb.11617:                            ;   in Loop: Header=BB6_11188 Depth=2
	s_or_b32 exec_lo, exec_lo, s40
	v_lshlrev_b32_e32 v0, 24, v0
	s_delay_alu instid0(VALU_DEP_2) | instskip(NEXT) | instid1(VALU_DEP_3)
	v_lshlrev_b32_e32 v4, 20, v16
	v_lshl_add_u32 v1, v1, 23, 0x3c000000
	s_delay_alu instid0(VALU_DEP_3) | instskip(NEXT) | instid1(VALU_DEP_1)
	v_and_b32_e32 v0, 0x80000000, v0
	v_or3_b32 v1, v4, v0, v1
.LBB6_11618:                            ;   in Loop: Header=BB6_11188 Depth=2
	s_or_b32 exec_lo, exec_lo, s11
.LBB6_11619:                            ;   in Loop: Header=BB6_11188 Depth=2
	s_delay_alu instid0(SALU_CYCLE_1)
	s_or_b32 exec_lo, exec_lo, s10
.LBB6_11620:                            ;   in Loop: Header=BB6_11188 Depth=2
	s_delay_alu instid0(SALU_CYCLE_1) | instskip(NEXT) | instid1(VALU_DEP_1)
	s_or_b32 exec_lo, exec_lo, s7
	v_mul_f32_e32 v1, s29, v1
                                        ; implicit-def: $vgpr50
	s_mov_b32 s7, exec_lo
	s_delay_alu instid0(VALU_DEP_1) | instskip(SKIP_1) | instid1(VALU_DEP_2)
	v_and_b32_e32 v52, 0x7f800000, v1
	v_lshrrev_b32_e32 v0, 24, v1
	v_cmpx_ne_u64_e32 0x7f800000, v[52:53]
	s_xor_b32 s10, exec_lo, s7
	s_cbranch_execz .LBB6_11638
; %bb.11621:                            ;   in Loop: Header=BB6_11188 Depth=2
	v_and_b32_e32 v52, 0x7fffffff, v1
	v_and_b32_e32 v0, 0x80, v0
                                        ; implicit-def: $vgpr50
	s_mov_b32 s7, exec_lo
	s_delay_alu instid0(VALU_DEP_2)
	v_cmpx_gt_u64_e32 0x43e00001, v[52:53]
	s_xor_b32 s11, exec_lo, s7
	s_cbranch_execz .LBB6_11635
; %bb.11622:                            ;   in Loop: Header=BB6_11188 Depth=2
	v_mov_b32_e32 v50, 0
	s_mov_b32 s40, exec_lo
	v_cmpx_ne_u32_e32 0, v1
	s_cbranch_execz .LBB6_11634
; %bb.11623:                            ;   in Loop: Header=BB6_11188 Depth=2
	v_bfe_u32 v4, v1, 23, 8
	v_and_b32_e32 v1, 0x7fffff, v1
	s_delay_alu instid0(VALU_DEP_2) | instskip(SKIP_1) | instid1(VALU_DEP_3)
	v_sub_nc_u32_e32 v6, 0x79, v4
	v_cmp_gt_u32_e32 vcc_lo, 0x7a, v4
	v_or_b32_e32 v16, 0x800000, v1
	s_delay_alu instid0(VALU_DEP_3) | instskip(SKIP_1) | instid1(VALU_DEP_3)
	v_cndmask_b32_e32 v6, 0, v6, vcc_lo
	v_cmp_eq_u32_e32 vcc_lo, 0, v4
	v_cndmask_b32_e32 v52, v16, v1, vcc_lo
	s_delay_alu instid0(VALU_DEP_3) | instskip(NEXT) | instid1(VALU_DEP_1)
	v_cndmask_b32_e64 v6, v6, 0x78, vcc_lo
	v_add_nc_u32_e32 v7, 20, v6
	s_delay_alu instid0(VALU_DEP_3) | instskip(NEXT) | instid1(VALU_DEP_2)
	v_lshrrev_b64 v[16:17], v6, v[52:53]
	v_lshlrev_b64_e64 v[8:9], v7, -1
	v_add_nc_u32_e32 v7, 19, v6
	s_delay_alu instid0(VALU_DEP_1) | instskip(NEXT) | instid1(VALU_DEP_3)
	v_lshlrev_b64_e64 v[18:19], v7, 1
	v_bfi_b32 v9, v9, 0, 0
	s_delay_alu instid0(VALU_DEP_4) | instskip(NEXT) | instid1(VALU_DEP_1)
	v_bfi_b32 v8, v8, 0, v52
	v_cmp_eq_u64_e64 s7, v[8:9], v[18:19]
	v_mov_b64_e32 v[18:19], v[16:17]
	s_and_saveexec_b32 s41, s7
; %bb.11624:                            ;   in Loop: Header=BB6_11188 Depth=2
	v_bfe_u32 v52, v16, 20, 1
	s_delay_alu instid0(VALU_DEP_1) | instskip(NEXT) | instid1(VALU_DEP_1)
	v_add_nc_u64_e32 v[8:9], v[16:17], v[52:53]
	v_add_nc_u64_e32 v[18:19], -1, v[8:9]
; %bb.11625:                            ;   in Loop: Header=BB6_11188 Depth=2
	s_or_b32 exec_lo, exec_lo, s41
	v_add_nc_u32_e32 v1, 0xffffff81, v4
	v_lshrrev_b32_e32 v4, 23, v16
	s_mov_b32 s7, exec_lo
	s_delay_alu instid0(VALU_DEP_2) | instskip(NEXT) | instid1(VALU_DEP_1)
	v_cndmask_b32_e64 v1, v1, 0xffffff82, vcc_lo
	v_add3_u32 v4, v6, v1, v4
	v_and_b32_e32 v1, 0xfffff, v18
	s_delay_alu instid0(VALU_DEP_2) | instskip(NEXT) | instid1(VALU_DEP_2)
	v_add_nc_u32_e32 v6, 6, v4
	v_add_nc_u32_e32 v52, v1, v16
                                        ; implicit-def: $vgpr16_vgpr17
                                        ; implicit-def: $vgpr1
	s_delay_alu instid0(VALU_DEP_2)
	v_cmpx_ne_u32_e32 0, v6
	s_xor_b32 s7, exec_lo, s7
; %bb.11626:                            ;   in Loop: Header=BB6_11188 Depth=2
	s_delay_alu instid0(VALU_DEP_2) | instskip(SKIP_2) | instid1(VALU_DEP_2)
	v_cmp_lt_u64_e32 vcc_lo, 0xffffff, v[52:53]
	v_add_nc_u32_e32 v1, 7, v4
	v_cndmask_b32_e64 v4, 0, 1, vcc_lo
	v_cndmask_b32_e32 v1, v6, v1, vcc_lo
	s_delay_alu instid0(VALU_DEP_2)
	v_lshrrev_b64 v[16:17], v4, v[52:53]
; %bb.11627:                            ;   in Loop: Header=BB6_11188 Depth=2
	s_and_not1_saveexec_b32 s7, s7
; %bb.11628:                            ;   in Loop: Header=BB6_11188 Depth=2
	v_mov_b64_e32 v[16:17], v[52:53]
	v_bfe_u32 v1, v52, 23, 1
; %bb.11629:                            ;   in Loop: Header=BB6_11188 Depth=2
	s_or_b32 exec_lo, exec_lo, s7
	s_delay_alu instid0(VALU_DEP_2) | instskip(NEXT) | instid1(VALU_DEP_2)
	v_lshrrev_b64 v[6:7], 20, v[16:17]
	v_cmp_gt_i32_e32 vcc_lo, 16, v1
	v_cmp_ne_u32_e64 s7, 0, v1
                                        ; implicit-def: $vgpr50
	s_delay_alu instid0(VALU_DEP_3) | instskip(NEXT) | instid1(VALU_DEP_1)
	v_dual_cndmask_b32 v17, 0, v7 :: v_dual_cndmask_b32 v16, 7, v6
	v_cmp_ne_u64_e32 vcc_lo, 0, v[16:17]
	s_or_b32 s7, s7, vcc_lo
	s_delay_alu instid0(SALU_CYCLE_1) | instskip(NEXT) | instid1(SALU_CYCLE_1)
	s_and_saveexec_b32 s41, s7
	s_xor_b32 s7, exec_lo, s41
; %bb.11630:                            ;   in Loop: Header=BB6_11188 Depth=2
	v_min_i32_e32 v1, 15, v1
	s_delay_alu instid0(VALU_DEP_1) | instskip(NEXT) | instid1(VALU_DEP_1)
	v_lshl_or_b32 v0, v1, 3, v0
	v_and_or_b32 v50, v16, 7, v0
                                        ; implicit-def: $vgpr0
; %bb.11631:                            ;   in Loop: Header=BB6_11188 Depth=2
	s_and_not1_saveexec_b32 s7, s7
; %bb.11632:                            ;   in Loop: Header=BB6_11188 Depth=2
	v_mov_b32_e32 v50, v0
; %bb.11633:                            ;   in Loop: Header=BB6_11188 Depth=2
	s_or_b32 exec_lo, exec_lo, s7
.LBB6_11634:                            ;   in Loop: Header=BB6_11188 Depth=2
	s_delay_alu instid0(SALU_CYCLE_1)
	s_or_b32 exec_lo, exec_lo, s40
                                        ; implicit-def: $vgpr0
.LBB6_11635:                            ;   in Loop: Header=BB6_11188 Depth=2
	s_and_not1_saveexec_b32 s7, s11
; %bb.11636:                            ;   in Loop: Header=BB6_11188 Depth=2
	v_or_b32_e32 v50, 0x7e, v0
; %bb.11637:                            ;   in Loop: Header=BB6_11188 Depth=2
	s_or_b32 exec_lo, exec_lo, s7
                                        ; implicit-def: $vgpr0
.LBB6_11638:                            ;   in Loop: Header=BB6_11188 Depth=2
	s_and_not1_saveexec_b32 s7, s10
; %bb.11639:                            ;   in Loop: Header=BB6_11188 Depth=2
	v_or_b32_e32 v50, 0x7f, v0
; %bb.11640:                            ;   in Loop: Header=BB6_11188 Depth=2
	s_or_b32 exec_lo, exec_lo, s7
	flat_load_u8 v0, v[10:11] offset:512 th:TH_LOAD_NT
	v_mov_b32_e32 v1, 0
	s_mov_b32 s7, exec_lo
	s_wait_loadcnt_dscnt 0x0
	s_wait_xcnt 0x0
	v_cmpx_ne_u16_e32 0, v0
	s_cbranch_execz .LBB6_11648
; %bb.11641:                            ;   in Loop: Header=BB6_11188 Depth=2
	v_bfrev_b32_e32 v1, 1
	s_mov_b32 s10, exec_lo
	v_cmpx_ne_u16_e32 0x80, v0
	s_cbranch_execz .LBB6_11647
; %bb.11642:                            ;   in Loop: Header=BB6_11188 Depth=2
	v_and_b32_e32 v6, 0xffff, v0
	v_mov_b32_e32 v1, 0x7f800001
	s_mov_b32 s11, exec_lo
	s_delay_alu instid0(VALU_DEP_2) | instskip(NEXT) | instid1(VALU_DEP_1)
	v_and_b32_e32 v4, 0x7f, v6
	v_cmpx_ne_u32_e32 0x7f, v4
	s_cbranch_execz .LBB6_11646
; %bb.11643:                            ;   in Loop: Header=BB6_11188 Depth=2
	v_dual_lshrrev_b32 v1, 3, v4 :: v_dual_bitop2_b32 v52, 7, v6 bitop3:0x40
	s_mov_b32 s40, exec_lo
	s_delay_alu instid0(VALU_DEP_1)
	v_mov_b64_e32 v[16:17], v[52:53]
	v_cmpx_gt_u32_e32 8, v4
; %bb.11644:                            ;   in Loop: Header=BB6_11188 Depth=2
	v_clz_i32_u32_e32 v1, v52
	s_delay_alu instid0(VALU_DEP_1) | instskip(NEXT) | instid1(VALU_DEP_1)
	v_min_u32_e32 v1, 32, v1
	v_subrev_nc_u32_e32 v4, 28, v1
	s_delay_alu instid0(VALU_DEP_1) | instskip(NEXT) | instid1(VALU_DEP_1)
	v_lshlrev_b64_e32 v[6:7], v4, v[52:53]
	v_dual_sub_nc_u32 v1, 29, v1 :: v_dual_bitop2_b32 v16, 7, v6 bitop3:0x40
; %bb.11645:                            ;   in Loop: Header=BB6_11188 Depth=2
	s_or_b32 exec_lo, exec_lo, s40
	v_lshlrev_b32_e32 v0, 24, v0
	s_delay_alu instid0(VALU_DEP_2) | instskip(NEXT) | instid1(VALU_DEP_3)
	v_lshlrev_b32_e32 v4, 20, v16
	v_lshl_add_u32 v1, v1, 23, 0x3c000000
	s_delay_alu instid0(VALU_DEP_3) | instskip(NEXT) | instid1(VALU_DEP_1)
	v_and_b32_e32 v0, 0x80000000, v0
	v_or3_b32 v1, v4, v0, v1
.LBB6_11646:                            ;   in Loop: Header=BB6_11188 Depth=2
	s_or_b32 exec_lo, exec_lo, s11
.LBB6_11647:                            ;   in Loop: Header=BB6_11188 Depth=2
	s_delay_alu instid0(SALU_CYCLE_1)
	s_or_b32 exec_lo, exec_lo, s10
.LBB6_11648:                            ;   in Loop: Header=BB6_11188 Depth=2
	s_delay_alu instid0(SALU_CYCLE_1) | instskip(NEXT) | instid1(VALU_DEP_1)
	s_or_b32 exec_lo, exec_lo, s7
	v_mul_f32_e32 v1, s29, v1
                                        ; implicit-def: $vgpr38
	s_mov_b32 s7, exec_lo
	s_delay_alu instid0(VALU_DEP_1) | instskip(SKIP_1) | instid1(VALU_DEP_2)
	v_and_b32_e32 v52, 0x7f800000, v1
	v_lshrrev_b32_e32 v0, 24, v1
	v_cmpx_ne_u64_e32 0x7f800000, v[52:53]
	s_xor_b32 s10, exec_lo, s7
	s_cbranch_execz .LBB6_11666
; %bb.11649:                            ;   in Loop: Header=BB6_11188 Depth=2
	v_and_b32_e32 v52, 0x7fffffff, v1
	v_and_b32_e32 v0, 0x80, v0
                                        ; implicit-def: $vgpr38
	s_mov_b32 s7, exec_lo
	s_delay_alu instid0(VALU_DEP_2)
	v_cmpx_gt_u64_e32 0x43e00001, v[52:53]
	s_xor_b32 s11, exec_lo, s7
	s_cbranch_execz .LBB6_11663
; %bb.11650:                            ;   in Loop: Header=BB6_11188 Depth=2
	v_mov_b32_e32 v38, 0
	s_mov_b32 s40, exec_lo
	v_cmpx_ne_u32_e32 0, v1
	s_cbranch_execz .LBB6_11662
; %bb.11651:                            ;   in Loop: Header=BB6_11188 Depth=2
	v_bfe_u32 v4, v1, 23, 8
	v_and_b32_e32 v1, 0x7fffff, v1
	s_delay_alu instid0(VALU_DEP_2) | instskip(SKIP_1) | instid1(VALU_DEP_3)
	v_sub_nc_u32_e32 v6, 0x79, v4
	v_cmp_gt_u32_e32 vcc_lo, 0x7a, v4
	v_or_b32_e32 v16, 0x800000, v1
	s_delay_alu instid0(VALU_DEP_3) | instskip(SKIP_1) | instid1(VALU_DEP_3)
	v_cndmask_b32_e32 v6, 0, v6, vcc_lo
	v_cmp_eq_u32_e32 vcc_lo, 0, v4
	v_cndmask_b32_e32 v52, v16, v1, vcc_lo
	s_delay_alu instid0(VALU_DEP_3) | instskip(NEXT) | instid1(VALU_DEP_1)
	v_cndmask_b32_e64 v6, v6, 0x78, vcc_lo
	v_add_nc_u32_e32 v7, 20, v6
	s_delay_alu instid0(VALU_DEP_3) | instskip(NEXT) | instid1(VALU_DEP_2)
	v_lshrrev_b64 v[16:17], v6, v[52:53]
	v_lshlrev_b64_e64 v[8:9], v7, -1
	v_add_nc_u32_e32 v7, 19, v6
	s_delay_alu instid0(VALU_DEP_1) | instskip(NEXT) | instid1(VALU_DEP_3)
	v_lshlrev_b64_e64 v[18:19], v7, 1
	v_bfi_b32 v9, v9, 0, 0
	s_delay_alu instid0(VALU_DEP_4) | instskip(NEXT) | instid1(VALU_DEP_1)
	v_bfi_b32 v8, v8, 0, v52
	v_cmp_eq_u64_e64 s7, v[8:9], v[18:19]
	v_mov_b64_e32 v[18:19], v[16:17]
	s_and_saveexec_b32 s41, s7
; %bb.11652:                            ;   in Loop: Header=BB6_11188 Depth=2
	v_bfe_u32 v52, v16, 20, 1
	s_delay_alu instid0(VALU_DEP_1) | instskip(NEXT) | instid1(VALU_DEP_1)
	v_add_nc_u64_e32 v[8:9], v[16:17], v[52:53]
	v_add_nc_u64_e32 v[18:19], -1, v[8:9]
; %bb.11653:                            ;   in Loop: Header=BB6_11188 Depth=2
	s_or_b32 exec_lo, exec_lo, s41
	v_add_nc_u32_e32 v1, 0xffffff81, v4
	v_lshrrev_b32_e32 v4, 23, v16
	s_mov_b32 s7, exec_lo
	s_delay_alu instid0(VALU_DEP_2) | instskip(NEXT) | instid1(VALU_DEP_1)
	v_cndmask_b32_e64 v1, v1, 0xffffff82, vcc_lo
	v_add3_u32 v4, v6, v1, v4
	v_and_b32_e32 v1, 0xfffff, v18
	s_delay_alu instid0(VALU_DEP_2) | instskip(NEXT) | instid1(VALU_DEP_2)
	v_add_nc_u32_e32 v6, 6, v4
	v_add_nc_u32_e32 v52, v1, v16
                                        ; implicit-def: $vgpr16_vgpr17
                                        ; implicit-def: $vgpr1
	s_delay_alu instid0(VALU_DEP_2)
	v_cmpx_ne_u32_e32 0, v6
	s_xor_b32 s7, exec_lo, s7
; %bb.11654:                            ;   in Loop: Header=BB6_11188 Depth=2
	s_delay_alu instid0(VALU_DEP_2) | instskip(SKIP_2) | instid1(VALU_DEP_2)
	v_cmp_lt_u64_e32 vcc_lo, 0xffffff, v[52:53]
	v_add_nc_u32_e32 v1, 7, v4
	v_cndmask_b32_e64 v4, 0, 1, vcc_lo
	v_cndmask_b32_e32 v1, v6, v1, vcc_lo
	s_delay_alu instid0(VALU_DEP_2)
	v_lshrrev_b64 v[16:17], v4, v[52:53]
; %bb.11655:                            ;   in Loop: Header=BB6_11188 Depth=2
	s_and_not1_saveexec_b32 s7, s7
; %bb.11656:                            ;   in Loop: Header=BB6_11188 Depth=2
	v_mov_b64_e32 v[16:17], v[52:53]
	v_bfe_u32 v1, v52, 23, 1
; %bb.11657:                            ;   in Loop: Header=BB6_11188 Depth=2
	s_or_b32 exec_lo, exec_lo, s7
	s_delay_alu instid0(VALU_DEP_2) | instskip(NEXT) | instid1(VALU_DEP_2)
	v_lshrrev_b64 v[6:7], 20, v[16:17]
	v_cmp_gt_i32_e32 vcc_lo, 16, v1
	v_cmp_ne_u32_e64 s7, 0, v1
                                        ; implicit-def: $vgpr38
	s_delay_alu instid0(VALU_DEP_3) | instskip(NEXT) | instid1(VALU_DEP_1)
	v_dual_cndmask_b32 v17, 0, v7 :: v_dual_cndmask_b32 v16, 7, v6
	v_cmp_ne_u64_e32 vcc_lo, 0, v[16:17]
	s_or_b32 s7, s7, vcc_lo
	s_delay_alu instid0(SALU_CYCLE_1) | instskip(NEXT) | instid1(SALU_CYCLE_1)
	s_and_saveexec_b32 s41, s7
	s_xor_b32 s7, exec_lo, s41
; %bb.11658:                            ;   in Loop: Header=BB6_11188 Depth=2
	v_min_i32_e32 v1, 15, v1
	s_delay_alu instid0(VALU_DEP_1) | instskip(NEXT) | instid1(VALU_DEP_1)
	v_lshl_or_b32 v0, v1, 3, v0
	v_and_or_b32 v38, v16, 7, v0
                                        ; implicit-def: $vgpr0
; %bb.11659:                            ;   in Loop: Header=BB6_11188 Depth=2
	s_and_not1_saveexec_b32 s7, s7
; %bb.11660:                            ;   in Loop: Header=BB6_11188 Depth=2
	v_mov_b32_e32 v38, v0
; %bb.11661:                            ;   in Loop: Header=BB6_11188 Depth=2
	s_or_b32 exec_lo, exec_lo, s7
.LBB6_11662:                            ;   in Loop: Header=BB6_11188 Depth=2
	s_delay_alu instid0(SALU_CYCLE_1)
	s_or_b32 exec_lo, exec_lo, s40
                                        ; implicit-def: $vgpr0
.LBB6_11663:                            ;   in Loop: Header=BB6_11188 Depth=2
	s_and_not1_saveexec_b32 s7, s11
; %bb.11664:                            ;   in Loop: Header=BB6_11188 Depth=2
	v_or_b32_e32 v38, 0x7e, v0
; %bb.11665:                            ;   in Loop: Header=BB6_11188 Depth=2
	s_or_b32 exec_lo, exec_lo, s7
                                        ; implicit-def: $vgpr0
.LBB6_11666:                            ;   in Loop: Header=BB6_11188 Depth=2
	s_and_not1_saveexec_b32 s7, s10
; %bb.11667:                            ;   in Loop: Header=BB6_11188 Depth=2
	v_or_b32_e32 v38, 0x7f, v0
; %bb.11668:                            ;   in Loop: Header=BB6_11188 Depth=2
	s_or_b32 exec_lo, exec_lo, s7
	flat_load_u8 v0, v[10:11] offset:544 th:TH_LOAD_NT
	v_mov_b32_e32 v1, 0
	s_mov_b32 s7, exec_lo
	s_wait_loadcnt_dscnt 0x0
	s_wait_xcnt 0x0
	v_cmpx_ne_u16_e32 0, v0
	s_cbranch_execz .LBB6_11676
; %bb.11669:                            ;   in Loop: Header=BB6_11188 Depth=2
	v_bfrev_b32_e32 v1, 1
	s_mov_b32 s10, exec_lo
	v_cmpx_ne_u16_e32 0x80, v0
	s_cbranch_execz .LBB6_11675
; %bb.11670:                            ;   in Loop: Header=BB6_11188 Depth=2
	v_and_b32_e32 v6, 0xffff, v0
	v_mov_b32_e32 v1, 0x7f800001
	s_mov_b32 s11, exec_lo
	s_delay_alu instid0(VALU_DEP_2) | instskip(NEXT) | instid1(VALU_DEP_1)
	v_and_b32_e32 v4, 0x7f, v6
	v_cmpx_ne_u32_e32 0x7f, v4
	s_cbranch_execz .LBB6_11674
; %bb.11671:                            ;   in Loop: Header=BB6_11188 Depth=2
	v_dual_lshrrev_b32 v1, 3, v4 :: v_dual_bitop2_b32 v52, 7, v6 bitop3:0x40
	s_mov_b32 s40, exec_lo
	s_delay_alu instid0(VALU_DEP_1)
	v_mov_b64_e32 v[16:17], v[52:53]
	v_cmpx_gt_u32_e32 8, v4
; %bb.11672:                            ;   in Loop: Header=BB6_11188 Depth=2
	v_clz_i32_u32_e32 v1, v52
	s_delay_alu instid0(VALU_DEP_1) | instskip(NEXT) | instid1(VALU_DEP_1)
	v_min_u32_e32 v1, 32, v1
	v_subrev_nc_u32_e32 v4, 28, v1
	s_delay_alu instid0(VALU_DEP_1) | instskip(NEXT) | instid1(VALU_DEP_1)
	v_lshlrev_b64_e32 v[6:7], v4, v[52:53]
	v_dual_sub_nc_u32 v1, 29, v1 :: v_dual_bitop2_b32 v16, 7, v6 bitop3:0x40
; %bb.11673:                            ;   in Loop: Header=BB6_11188 Depth=2
	s_or_b32 exec_lo, exec_lo, s40
	v_lshlrev_b32_e32 v0, 24, v0
	s_delay_alu instid0(VALU_DEP_2) | instskip(NEXT) | instid1(VALU_DEP_3)
	v_lshlrev_b32_e32 v4, 20, v16
	v_lshl_add_u32 v1, v1, 23, 0x3c000000
	s_delay_alu instid0(VALU_DEP_3) | instskip(NEXT) | instid1(VALU_DEP_1)
	v_and_b32_e32 v0, 0x80000000, v0
	v_or3_b32 v1, v4, v0, v1
.LBB6_11674:                            ;   in Loop: Header=BB6_11188 Depth=2
	s_or_b32 exec_lo, exec_lo, s11
.LBB6_11675:                            ;   in Loop: Header=BB6_11188 Depth=2
	s_delay_alu instid0(SALU_CYCLE_1)
	s_or_b32 exec_lo, exec_lo, s10
.LBB6_11676:                            ;   in Loop: Header=BB6_11188 Depth=2
	s_delay_alu instid0(SALU_CYCLE_1) | instskip(NEXT) | instid1(VALU_DEP_1)
	s_or_b32 exec_lo, exec_lo, s7
	v_mul_f32_e32 v1, s29, v1
                                        ; implicit-def: $vgpr37
	s_mov_b32 s7, exec_lo
	s_delay_alu instid0(VALU_DEP_1) | instskip(SKIP_1) | instid1(VALU_DEP_2)
	v_and_b32_e32 v52, 0x7f800000, v1
	v_lshrrev_b32_e32 v0, 24, v1
	v_cmpx_ne_u64_e32 0x7f800000, v[52:53]
	s_xor_b32 s10, exec_lo, s7
	s_cbranch_execz .LBB6_11694
; %bb.11677:                            ;   in Loop: Header=BB6_11188 Depth=2
	v_and_b32_e32 v52, 0x7fffffff, v1
	v_and_b32_e32 v0, 0x80, v0
                                        ; implicit-def: $vgpr37
	s_mov_b32 s7, exec_lo
	s_delay_alu instid0(VALU_DEP_2)
	v_cmpx_gt_u64_e32 0x43e00001, v[52:53]
	s_xor_b32 s11, exec_lo, s7
	s_cbranch_execz .LBB6_11691
; %bb.11678:                            ;   in Loop: Header=BB6_11188 Depth=2
	v_mov_b32_e32 v37, 0
	s_mov_b32 s40, exec_lo
	v_cmpx_ne_u32_e32 0, v1
	s_cbranch_execz .LBB6_11690
; %bb.11679:                            ;   in Loop: Header=BB6_11188 Depth=2
	v_bfe_u32 v4, v1, 23, 8
	v_and_b32_e32 v1, 0x7fffff, v1
	s_delay_alu instid0(VALU_DEP_2) | instskip(SKIP_1) | instid1(VALU_DEP_3)
	v_sub_nc_u32_e32 v6, 0x79, v4
	v_cmp_gt_u32_e32 vcc_lo, 0x7a, v4
	v_or_b32_e32 v16, 0x800000, v1
	s_delay_alu instid0(VALU_DEP_3) | instskip(SKIP_1) | instid1(VALU_DEP_3)
	v_cndmask_b32_e32 v6, 0, v6, vcc_lo
	v_cmp_eq_u32_e32 vcc_lo, 0, v4
	v_cndmask_b32_e32 v52, v16, v1, vcc_lo
	s_delay_alu instid0(VALU_DEP_3) | instskip(NEXT) | instid1(VALU_DEP_1)
	v_cndmask_b32_e64 v6, v6, 0x78, vcc_lo
	v_add_nc_u32_e32 v7, 20, v6
	s_delay_alu instid0(VALU_DEP_3) | instskip(NEXT) | instid1(VALU_DEP_2)
	v_lshrrev_b64 v[16:17], v6, v[52:53]
	v_lshlrev_b64_e64 v[8:9], v7, -1
	v_add_nc_u32_e32 v7, 19, v6
	s_delay_alu instid0(VALU_DEP_1) | instskip(NEXT) | instid1(VALU_DEP_3)
	v_lshlrev_b64_e64 v[18:19], v7, 1
	v_bfi_b32 v9, v9, 0, 0
	s_delay_alu instid0(VALU_DEP_4) | instskip(NEXT) | instid1(VALU_DEP_1)
	v_bfi_b32 v8, v8, 0, v52
	v_cmp_eq_u64_e64 s7, v[8:9], v[18:19]
	v_mov_b64_e32 v[18:19], v[16:17]
	s_and_saveexec_b32 s41, s7
; %bb.11680:                            ;   in Loop: Header=BB6_11188 Depth=2
	v_bfe_u32 v52, v16, 20, 1
	s_delay_alu instid0(VALU_DEP_1) | instskip(NEXT) | instid1(VALU_DEP_1)
	v_add_nc_u64_e32 v[8:9], v[16:17], v[52:53]
	v_add_nc_u64_e32 v[18:19], -1, v[8:9]
; %bb.11681:                            ;   in Loop: Header=BB6_11188 Depth=2
	s_or_b32 exec_lo, exec_lo, s41
	v_add_nc_u32_e32 v1, 0xffffff81, v4
	v_lshrrev_b32_e32 v4, 23, v16
	s_mov_b32 s7, exec_lo
	s_delay_alu instid0(VALU_DEP_2) | instskip(NEXT) | instid1(VALU_DEP_1)
	v_cndmask_b32_e64 v1, v1, 0xffffff82, vcc_lo
	v_add3_u32 v4, v6, v1, v4
	v_and_b32_e32 v1, 0xfffff, v18
	s_delay_alu instid0(VALU_DEP_2) | instskip(NEXT) | instid1(VALU_DEP_2)
	v_add_nc_u32_e32 v6, 6, v4
	v_add_nc_u32_e32 v52, v1, v16
                                        ; implicit-def: $vgpr16_vgpr17
                                        ; implicit-def: $vgpr1
	s_delay_alu instid0(VALU_DEP_2)
	v_cmpx_ne_u32_e32 0, v6
	s_xor_b32 s7, exec_lo, s7
; %bb.11682:                            ;   in Loop: Header=BB6_11188 Depth=2
	s_delay_alu instid0(VALU_DEP_2) | instskip(SKIP_2) | instid1(VALU_DEP_2)
	v_cmp_lt_u64_e32 vcc_lo, 0xffffff, v[52:53]
	v_add_nc_u32_e32 v1, 7, v4
	v_cndmask_b32_e64 v4, 0, 1, vcc_lo
	v_cndmask_b32_e32 v1, v6, v1, vcc_lo
	s_delay_alu instid0(VALU_DEP_2)
	v_lshrrev_b64 v[16:17], v4, v[52:53]
; %bb.11683:                            ;   in Loop: Header=BB6_11188 Depth=2
	s_and_not1_saveexec_b32 s7, s7
; %bb.11684:                            ;   in Loop: Header=BB6_11188 Depth=2
	v_mov_b64_e32 v[16:17], v[52:53]
	v_bfe_u32 v1, v52, 23, 1
; %bb.11685:                            ;   in Loop: Header=BB6_11188 Depth=2
	s_or_b32 exec_lo, exec_lo, s7
	s_delay_alu instid0(VALU_DEP_2) | instskip(NEXT) | instid1(VALU_DEP_2)
	v_lshrrev_b64 v[6:7], 20, v[16:17]
	v_cmp_gt_i32_e32 vcc_lo, 16, v1
	v_cmp_ne_u32_e64 s7, 0, v1
                                        ; implicit-def: $vgpr37
	s_delay_alu instid0(VALU_DEP_3) | instskip(NEXT) | instid1(VALU_DEP_1)
	v_dual_cndmask_b32 v17, 0, v7 :: v_dual_cndmask_b32 v16, 7, v6
	v_cmp_ne_u64_e32 vcc_lo, 0, v[16:17]
	s_or_b32 s7, s7, vcc_lo
	s_delay_alu instid0(SALU_CYCLE_1) | instskip(NEXT) | instid1(SALU_CYCLE_1)
	s_and_saveexec_b32 s41, s7
	s_xor_b32 s7, exec_lo, s41
; %bb.11686:                            ;   in Loop: Header=BB6_11188 Depth=2
	v_min_i32_e32 v1, 15, v1
	s_delay_alu instid0(VALU_DEP_1) | instskip(NEXT) | instid1(VALU_DEP_1)
	v_lshl_or_b32 v0, v1, 3, v0
	v_and_or_b32 v37, v16, 7, v0
                                        ; implicit-def: $vgpr0
; %bb.11687:                            ;   in Loop: Header=BB6_11188 Depth=2
	s_and_not1_saveexec_b32 s7, s7
; %bb.11688:                            ;   in Loop: Header=BB6_11188 Depth=2
	v_mov_b32_e32 v37, v0
; %bb.11689:                            ;   in Loop: Header=BB6_11188 Depth=2
	s_or_b32 exec_lo, exec_lo, s7
.LBB6_11690:                            ;   in Loop: Header=BB6_11188 Depth=2
	s_delay_alu instid0(SALU_CYCLE_1)
	s_or_b32 exec_lo, exec_lo, s40
                                        ; implicit-def: $vgpr0
.LBB6_11691:                            ;   in Loop: Header=BB6_11188 Depth=2
	s_and_not1_saveexec_b32 s7, s11
; %bb.11692:                            ;   in Loop: Header=BB6_11188 Depth=2
	v_or_b32_e32 v37, 0x7e, v0
; %bb.11693:                            ;   in Loop: Header=BB6_11188 Depth=2
	s_or_b32 exec_lo, exec_lo, s7
                                        ; implicit-def: $vgpr0
.LBB6_11694:                            ;   in Loop: Header=BB6_11188 Depth=2
	s_and_not1_saveexec_b32 s7, s10
; %bb.11695:                            ;   in Loop: Header=BB6_11188 Depth=2
	v_or_b32_e32 v37, 0x7f, v0
; %bb.11696:                            ;   in Loop: Header=BB6_11188 Depth=2
	s_or_b32 exec_lo, exec_lo, s7
	flat_load_u8 v0, v[10:11] offset:576 th:TH_LOAD_NT
	v_mov_b32_e32 v1, 0
	s_mov_b32 s7, exec_lo
	s_wait_loadcnt_dscnt 0x0
	s_wait_xcnt 0x0
	v_cmpx_ne_u16_e32 0, v0
	s_cbranch_execz .LBB6_11704
; %bb.11697:                            ;   in Loop: Header=BB6_11188 Depth=2
	v_bfrev_b32_e32 v1, 1
	s_mov_b32 s10, exec_lo
	v_cmpx_ne_u16_e32 0x80, v0
	s_cbranch_execz .LBB6_11703
; %bb.11698:                            ;   in Loop: Header=BB6_11188 Depth=2
	v_and_b32_e32 v6, 0xffff, v0
	v_mov_b32_e32 v1, 0x7f800001
	s_mov_b32 s11, exec_lo
	s_delay_alu instid0(VALU_DEP_2) | instskip(NEXT) | instid1(VALU_DEP_1)
	v_and_b32_e32 v4, 0x7f, v6
	v_cmpx_ne_u32_e32 0x7f, v4
	s_cbranch_execz .LBB6_11702
; %bb.11699:                            ;   in Loop: Header=BB6_11188 Depth=2
	v_dual_lshrrev_b32 v1, 3, v4 :: v_dual_bitop2_b32 v52, 7, v6 bitop3:0x40
	s_mov_b32 s40, exec_lo
	s_delay_alu instid0(VALU_DEP_1)
	v_mov_b64_e32 v[16:17], v[52:53]
	v_cmpx_gt_u32_e32 8, v4
; %bb.11700:                            ;   in Loop: Header=BB6_11188 Depth=2
	v_clz_i32_u32_e32 v1, v52
	s_delay_alu instid0(VALU_DEP_1) | instskip(NEXT) | instid1(VALU_DEP_1)
	v_min_u32_e32 v1, 32, v1
	v_subrev_nc_u32_e32 v4, 28, v1
	s_delay_alu instid0(VALU_DEP_1) | instskip(NEXT) | instid1(VALU_DEP_1)
	v_lshlrev_b64_e32 v[6:7], v4, v[52:53]
	v_dual_sub_nc_u32 v1, 29, v1 :: v_dual_bitop2_b32 v16, 7, v6 bitop3:0x40
; %bb.11701:                            ;   in Loop: Header=BB6_11188 Depth=2
	s_or_b32 exec_lo, exec_lo, s40
	v_lshlrev_b32_e32 v0, 24, v0
	s_delay_alu instid0(VALU_DEP_2) | instskip(NEXT) | instid1(VALU_DEP_3)
	v_lshlrev_b32_e32 v4, 20, v16
	v_lshl_add_u32 v1, v1, 23, 0x3c000000
	s_delay_alu instid0(VALU_DEP_3) | instskip(NEXT) | instid1(VALU_DEP_1)
	v_and_b32_e32 v0, 0x80000000, v0
	v_or3_b32 v1, v4, v0, v1
.LBB6_11702:                            ;   in Loop: Header=BB6_11188 Depth=2
	s_or_b32 exec_lo, exec_lo, s11
.LBB6_11703:                            ;   in Loop: Header=BB6_11188 Depth=2
	s_delay_alu instid0(SALU_CYCLE_1)
	s_or_b32 exec_lo, exec_lo, s10
.LBB6_11704:                            ;   in Loop: Header=BB6_11188 Depth=2
	s_delay_alu instid0(SALU_CYCLE_1) | instskip(NEXT) | instid1(VALU_DEP_1)
	s_or_b32 exec_lo, exec_lo, s7
	v_mul_f32_e32 v1, s29, v1
                                        ; implicit-def: $vgpr36
	s_mov_b32 s7, exec_lo
	s_delay_alu instid0(VALU_DEP_1) | instskip(SKIP_1) | instid1(VALU_DEP_2)
	v_and_b32_e32 v52, 0x7f800000, v1
	v_lshrrev_b32_e32 v0, 24, v1
	v_cmpx_ne_u64_e32 0x7f800000, v[52:53]
	s_xor_b32 s10, exec_lo, s7
	s_cbranch_execz .LBB6_11722
; %bb.11705:                            ;   in Loop: Header=BB6_11188 Depth=2
	v_and_b32_e32 v52, 0x7fffffff, v1
	v_and_b32_e32 v0, 0x80, v0
                                        ; implicit-def: $vgpr36
	s_mov_b32 s7, exec_lo
	s_delay_alu instid0(VALU_DEP_2)
	v_cmpx_gt_u64_e32 0x43e00001, v[52:53]
	s_xor_b32 s11, exec_lo, s7
	s_cbranch_execz .LBB6_11719
; %bb.11706:                            ;   in Loop: Header=BB6_11188 Depth=2
	v_mov_b32_e32 v36, 0
	s_mov_b32 s40, exec_lo
	v_cmpx_ne_u32_e32 0, v1
	s_cbranch_execz .LBB6_11718
; %bb.11707:                            ;   in Loop: Header=BB6_11188 Depth=2
	v_bfe_u32 v4, v1, 23, 8
	v_and_b32_e32 v1, 0x7fffff, v1
	s_delay_alu instid0(VALU_DEP_2) | instskip(SKIP_1) | instid1(VALU_DEP_3)
	v_sub_nc_u32_e32 v6, 0x79, v4
	v_cmp_gt_u32_e32 vcc_lo, 0x7a, v4
	v_or_b32_e32 v16, 0x800000, v1
	s_delay_alu instid0(VALU_DEP_3) | instskip(SKIP_1) | instid1(VALU_DEP_3)
	v_cndmask_b32_e32 v6, 0, v6, vcc_lo
	v_cmp_eq_u32_e32 vcc_lo, 0, v4
	v_cndmask_b32_e32 v52, v16, v1, vcc_lo
	s_delay_alu instid0(VALU_DEP_3) | instskip(NEXT) | instid1(VALU_DEP_1)
	v_cndmask_b32_e64 v6, v6, 0x78, vcc_lo
	v_add_nc_u32_e32 v7, 20, v6
	s_delay_alu instid0(VALU_DEP_3) | instskip(NEXT) | instid1(VALU_DEP_2)
	v_lshrrev_b64 v[16:17], v6, v[52:53]
	v_lshlrev_b64_e64 v[8:9], v7, -1
	v_add_nc_u32_e32 v7, 19, v6
	s_delay_alu instid0(VALU_DEP_1) | instskip(NEXT) | instid1(VALU_DEP_3)
	v_lshlrev_b64_e64 v[18:19], v7, 1
	v_bfi_b32 v9, v9, 0, 0
	s_delay_alu instid0(VALU_DEP_4) | instskip(NEXT) | instid1(VALU_DEP_1)
	v_bfi_b32 v8, v8, 0, v52
	v_cmp_eq_u64_e64 s7, v[8:9], v[18:19]
	v_mov_b64_e32 v[18:19], v[16:17]
	s_and_saveexec_b32 s41, s7
; %bb.11708:                            ;   in Loop: Header=BB6_11188 Depth=2
	v_bfe_u32 v52, v16, 20, 1
	s_delay_alu instid0(VALU_DEP_1) | instskip(NEXT) | instid1(VALU_DEP_1)
	v_add_nc_u64_e32 v[8:9], v[16:17], v[52:53]
	v_add_nc_u64_e32 v[18:19], -1, v[8:9]
; %bb.11709:                            ;   in Loop: Header=BB6_11188 Depth=2
	s_or_b32 exec_lo, exec_lo, s41
	v_add_nc_u32_e32 v1, 0xffffff81, v4
	v_lshrrev_b32_e32 v4, 23, v16
	s_mov_b32 s7, exec_lo
	s_delay_alu instid0(VALU_DEP_2) | instskip(NEXT) | instid1(VALU_DEP_1)
	v_cndmask_b32_e64 v1, v1, 0xffffff82, vcc_lo
	v_add3_u32 v4, v6, v1, v4
	v_and_b32_e32 v1, 0xfffff, v18
	s_delay_alu instid0(VALU_DEP_2) | instskip(NEXT) | instid1(VALU_DEP_2)
	v_add_nc_u32_e32 v6, 6, v4
	v_add_nc_u32_e32 v52, v1, v16
                                        ; implicit-def: $vgpr16_vgpr17
                                        ; implicit-def: $vgpr1
	s_delay_alu instid0(VALU_DEP_2)
	v_cmpx_ne_u32_e32 0, v6
	s_xor_b32 s7, exec_lo, s7
; %bb.11710:                            ;   in Loop: Header=BB6_11188 Depth=2
	s_delay_alu instid0(VALU_DEP_2) | instskip(SKIP_2) | instid1(VALU_DEP_2)
	v_cmp_lt_u64_e32 vcc_lo, 0xffffff, v[52:53]
	v_add_nc_u32_e32 v1, 7, v4
	v_cndmask_b32_e64 v4, 0, 1, vcc_lo
	v_cndmask_b32_e32 v1, v6, v1, vcc_lo
	s_delay_alu instid0(VALU_DEP_2)
	v_lshrrev_b64 v[16:17], v4, v[52:53]
; %bb.11711:                            ;   in Loop: Header=BB6_11188 Depth=2
	s_and_not1_saveexec_b32 s7, s7
; %bb.11712:                            ;   in Loop: Header=BB6_11188 Depth=2
	v_mov_b64_e32 v[16:17], v[52:53]
	v_bfe_u32 v1, v52, 23, 1
; %bb.11713:                            ;   in Loop: Header=BB6_11188 Depth=2
	s_or_b32 exec_lo, exec_lo, s7
	s_delay_alu instid0(VALU_DEP_2) | instskip(NEXT) | instid1(VALU_DEP_2)
	v_lshrrev_b64 v[6:7], 20, v[16:17]
	v_cmp_gt_i32_e32 vcc_lo, 16, v1
	v_cmp_ne_u32_e64 s7, 0, v1
                                        ; implicit-def: $vgpr36
	s_delay_alu instid0(VALU_DEP_3) | instskip(NEXT) | instid1(VALU_DEP_1)
	v_dual_cndmask_b32 v17, 0, v7 :: v_dual_cndmask_b32 v16, 7, v6
	v_cmp_ne_u64_e32 vcc_lo, 0, v[16:17]
	s_or_b32 s7, s7, vcc_lo
	s_delay_alu instid0(SALU_CYCLE_1) | instskip(NEXT) | instid1(SALU_CYCLE_1)
	s_and_saveexec_b32 s41, s7
	s_xor_b32 s7, exec_lo, s41
; %bb.11714:                            ;   in Loop: Header=BB6_11188 Depth=2
	v_min_i32_e32 v1, 15, v1
	s_delay_alu instid0(VALU_DEP_1) | instskip(NEXT) | instid1(VALU_DEP_1)
	v_lshl_or_b32 v0, v1, 3, v0
	v_and_or_b32 v36, v16, 7, v0
                                        ; implicit-def: $vgpr0
; %bb.11715:                            ;   in Loop: Header=BB6_11188 Depth=2
	s_and_not1_saveexec_b32 s7, s7
; %bb.11716:                            ;   in Loop: Header=BB6_11188 Depth=2
	v_mov_b32_e32 v36, v0
; %bb.11717:                            ;   in Loop: Header=BB6_11188 Depth=2
	s_or_b32 exec_lo, exec_lo, s7
.LBB6_11718:                            ;   in Loop: Header=BB6_11188 Depth=2
	s_delay_alu instid0(SALU_CYCLE_1)
	s_or_b32 exec_lo, exec_lo, s40
                                        ; implicit-def: $vgpr0
.LBB6_11719:                            ;   in Loop: Header=BB6_11188 Depth=2
	s_and_not1_saveexec_b32 s7, s11
; %bb.11720:                            ;   in Loop: Header=BB6_11188 Depth=2
	v_or_b32_e32 v36, 0x7e, v0
; %bb.11721:                            ;   in Loop: Header=BB6_11188 Depth=2
	s_or_b32 exec_lo, exec_lo, s7
                                        ; implicit-def: $vgpr0
.LBB6_11722:                            ;   in Loop: Header=BB6_11188 Depth=2
	s_and_not1_saveexec_b32 s7, s10
; %bb.11723:                            ;   in Loop: Header=BB6_11188 Depth=2
	v_or_b32_e32 v36, 0x7f, v0
; %bb.11724:                            ;   in Loop: Header=BB6_11188 Depth=2
	s_or_b32 exec_lo, exec_lo, s7
	flat_load_u8 v0, v[10:11] offset:608 th:TH_LOAD_NT
	v_mov_b32_e32 v1, 0
	s_mov_b32 s7, exec_lo
	s_wait_loadcnt_dscnt 0x0
	s_wait_xcnt 0x0
	v_cmpx_ne_u16_e32 0, v0
	s_cbranch_execz .LBB6_11732
; %bb.11725:                            ;   in Loop: Header=BB6_11188 Depth=2
	v_bfrev_b32_e32 v1, 1
	s_mov_b32 s10, exec_lo
	v_cmpx_ne_u16_e32 0x80, v0
	s_cbranch_execz .LBB6_11731
; %bb.11726:                            ;   in Loop: Header=BB6_11188 Depth=2
	v_and_b32_e32 v6, 0xffff, v0
	v_mov_b32_e32 v1, 0x7f800001
	s_mov_b32 s11, exec_lo
	s_delay_alu instid0(VALU_DEP_2) | instskip(NEXT) | instid1(VALU_DEP_1)
	v_and_b32_e32 v4, 0x7f, v6
	v_cmpx_ne_u32_e32 0x7f, v4
	s_cbranch_execz .LBB6_11730
; %bb.11727:                            ;   in Loop: Header=BB6_11188 Depth=2
	v_dual_lshrrev_b32 v1, 3, v4 :: v_dual_bitop2_b32 v52, 7, v6 bitop3:0x40
	s_mov_b32 s40, exec_lo
	s_delay_alu instid0(VALU_DEP_1)
	v_mov_b64_e32 v[16:17], v[52:53]
	v_cmpx_gt_u32_e32 8, v4
; %bb.11728:                            ;   in Loop: Header=BB6_11188 Depth=2
	v_clz_i32_u32_e32 v1, v52
	s_delay_alu instid0(VALU_DEP_1) | instskip(NEXT) | instid1(VALU_DEP_1)
	v_min_u32_e32 v1, 32, v1
	v_subrev_nc_u32_e32 v4, 28, v1
	s_delay_alu instid0(VALU_DEP_1) | instskip(NEXT) | instid1(VALU_DEP_1)
	v_lshlrev_b64_e32 v[6:7], v4, v[52:53]
	v_dual_sub_nc_u32 v1, 29, v1 :: v_dual_bitop2_b32 v16, 7, v6 bitop3:0x40
; %bb.11729:                            ;   in Loop: Header=BB6_11188 Depth=2
	s_or_b32 exec_lo, exec_lo, s40
	v_lshlrev_b32_e32 v0, 24, v0
	s_delay_alu instid0(VALU_DEP_2) | instskip(NEXT) | instid1(VALU_DEP_3)
	v_lshlrev_b32_e32 v4, 20, v16
	v_lshl_add_u32 v1, v1, 23, 0x3c000000
	s_delay_alu instid0(VALU_DEP_3) | instskip(NEXT) | instid1(VALU_DEP_1)
	v_and_b32_e32 v0, 0x80000000, v0
	v_or3_b32 v1, v4, v0, v1
.LBB6_11730:                            ;   in Loop: Header=BB6_11188 Depth=2
	s_or_b32 exec_lo, exec_lo, s11
.LBB6_11731:                            ;   in Loop: Header=BB6_11188 Depth=2
	s_delay_alu instid0(SALU_CYCLE_1)
	s_or_b32 exec_lo, exec_lo, s10
.LBB6_11732:                            ;   in Loop: Header=BB6_11188 Depth=2
	s_delay_alu instid0(SALU_CYCLE_1) | instskip(NEXT) | instid1(VALU_DEP_1)
	s_or_b32 exec_lo, exec_lo, s7
	v_mul_f32_e32 v1, s29, v1
                                        ; implicit-def: $vgpr34
	s_mov_b32 s7, exec_lo
	s_delay_alu instid0(VALU_DEP_1) | instskip(SKIP_1) | instid1(VALU_DEP_2)
	v_and_b32_e32 v52, 0x7f800000, v1
	v_lshrrev_b32_e32 v0, 24, v1
	v_cmpx_ne_u64_e32 0x7f800000, v[52:53]
	s_xor_b32 s10, exec_lo, s7
	s_cbranch_execz .LBB6_11750
; %bb.11733:                            ;   in Loop: Header=BB6_11188 Depth=2
	v_and_b32_e32 v52, 0x7fffffff, v1
	v_and_b32_e32 v0, 0x80, v0
                                        ; implicit-def: $vgpr34
	s_mov_b32 s7, exec_lo
	s_delay_alu instid0(VALU_DEP_2)
	v_cmpx_gt_u64_e32 0x43e00001, v[52:53]
	s_xor_b32 s11, exec_lo, s7
	s_cbranch_execz .LBB6_11747
; %bb.11734:                            ;   in Loop: Header=BB6_11188 Depth=2
	v_mov_b32_e32 v34, 0
	s_mov_b32 s40, exec_lo
	v_cmpx_ne_u32_e32 0, v1
	s_cbranch_execz .LBB6_11746
; %bb.11735:                            ;   in Loop: Header=BB6_11188 Depth=2
	v_bfe_u32 v4, v1, 23, 8
	v_and_b32_e32 v1, 0x7fffff, v1
	s_delay_alu instid0(VALU_DEP_2) | instskip(SKIP_1) | instid1(VALU_DEP_3)
	v_sub_nc_u32_e32 v6, 0x79, v4
	v_cmp_gt_u32_e32 vcc_lo, 0x7a, v4
	v_or_b32_e32 v16, 0x800000, v1
	s_delay_alu instid0(VALU_DEP_3) | instskip(SKIP_1) | instid1(VALU_DEP_3)
	v_cndmask_b32_e32 v6, 0, v6, vcc_lo
	v_cmp_eq_u32_e32 vcc_lo, 0, v4
	v_cndmask_b32_e32 v52, v16, v1, vcc_lo
	s_delay_alu instid0(VALU_DEP_3) | instskip(NEXT) | instid1(VALU_DEP_1)
	v_cndmask_b32_e64 v6, v6, 0x78, vcc_lo
	v_add_nc_u32_e32 v7, 20, v6
	s_delay_alu instid0(VALU_DEP_3) | instskip(NEXT) | instid1(VALU_DEP_2)
	v_lshrrev_b64 v[16:17], v6, v[52:53]
	v_lshlrev_b64_e64 v[8:9], v7, -1
	v_add_nc_u32_e32 v7, 19, v6
	s_delay_alu instid0(VALU_DEP_1) | instskip(NEXT) | instid1(VALU_DEP_3)
	v_lshlrev_b64_e64 v[18:19], v7, 1
	v_bfi_b32 v9, v9, 0, 0
	s_delay_alu instid0(VALU_DEP_4) | instskip(NEXT) | instid1(VALU_DEP_1)
	v_bfi_b32 v8, v8, 0, v52
	v_cmp_eq_u64_e64 s7, v[8:9], v[18:19]
	v_mov_b64_e32 v[18:19], v[16:17]
	s_and_saveexec_b32 s41, s7
; %bb.11736:                            ;   in Loop: Header=BB6_11188 Depth=2
	v_bfe_u32 v52, v16, 20, 1
	s_delay_alu instid0(VALU_DEP_1) | instskip(NEXT) | instid1(VALU_DEP_1)
	v_add_nc_u64_e32 v[8:9], v[16:17], v[52:53]
	v_add_nc_u64_e32 v[18:19], -1, v[8:9]
; %bb.11737:                            ;   in Loop: Header=BB6_11188 Depth=2
	s_or_b32 exec_lo, exec_lo, s41
	v_add_nc_u32_e32 v1, 0xffffff81, v4
	v_lshrrev_b32_e32 v4, 23, v16
	s_mov_b32 s7, exec_lo
	s_delay_alu instid0(VALU_DEP_2) | instskip(NEXT) | instid1(VALU_DEP_1)
	v_cndmask_b32_e64 v1, v1, 0xffffff82, vcc_lo
	v_add3_u32 v4, v6, v1, v4
	v_and_b32_e32 v1, 0xfffff, v18
	s_delay_alu instid0(VALU_DEP_2) | instskip(NEXT) | instid1(VALU_DEP_2)
	v_add_nc_u32_e32 v6, 6, v4
	v_add_nc_u32_e32 v52, v1, v16
                                        ; implicit-def: $vgpr16_vgpr17
                                        ; implicit-def: $vgpr1
	s_delay_alu instid0(VALU_DEP_2)
	v_cmpx_ne_u32_e32 0, v6
	s_xor_b32 s7, exec_lo, s7
; %bb.11738:                            ;   in Loop: Header=BB6_11188 Depth=2
	s_delay_alu instid0(VALU_DEP_2) | instskip(SKIP_2) | instid1(VALU_DEP_2)
	v_cmp_lt_u64_e32 vcc_lo, 0xffffff, v[52:53]
	v_add_nc_u32_e32 v1, 7, v4
	v_cndmask_b32_e64 v4, 0, 1, vcc_lo
	v_cndmask_b32_e32 v1, v6, v1, vcc_lo
	s_delay_alu instid0(VALU_DEP_2)
	v_lshrrev_b64 v[16:17], v4, v[52:53]
; %bb.11739:                            ;   in Loop: Header=BB6_11188 Depth=2
	s_and_not1_saveexec_b32 s7, s7
; %bb.11740:                            ;   in Loop: Header=BB6_11188 Depth=2
	v_mov_b64_e32 v[16:17], v[52:53]
	v_bfe_u32 v1, v52, 23, 1
; %bb.11741:                            ;   in Loop: Header=BB6_11188 Depth=2
	s_or_b32 exec_lo, exec_lo, s7
	s_delay_alu instid0(VALU_DEP_2) | instskip(NEXT) | instid1(VALU_DEP_2)
	v_lshrrev_b64 v[6:7], 20, v[16:17]
	v_cmp_gt_i32_e32 vcc_lo, 16, v1
	v_cmp_ne_u32_e64 s7, 0, v1
                                        ; implicit-def: $vgpr34
	s_delay_alu instid0(VALU_DEP_3) | instskip(NEXT) | instid1(VALU_DEP_1)
	v_dual_cndmask_b32 v17, 0, v7 :: v_dual_cndmask_b32 v16, 7, v6
	v_cmp_ne_u64_e32 vcc_lo, 0, v[16:17]
	s_or_b32 s7, s7, vcc_lo
	s_delay_alu instid0(SALU_CYCLE_1) | instskip(NEXT) | instid1(SALU_CYCLE_1)
	s_and_saveexec_b32 s41, s7
	s_xor_b32 s7, exec_lo, s41
; %bb.11742:                            ;   in Loop: Header=BB6_11188 Depth=2
	v_min_i32_e32 v1, 15, v1
	s_delay_alu instid0(VALU_DEP_1) | instskip(NEXT) | instid1(VALU_DEP_1)
	v_lshl_or_b32 v0, v1, 3, v0
	v_and_or_b32 v34, v16, 7, v0
                                        ; implicit-def: $vgpr0
; %bb.11743:                            ;   in Loop: Header=BB6_11188 Depth=2
	s_and_not1_saveexec_b32 s7, s7
; %bb.11744:                            ;   in Loop: Header=BB6_11188 Depth=2
	v_mov_b32_e32 v34, v0
; %bb.11745:                            ;   in Loop: Header=BB6_11188 Depth=2
	s_or_b32 exec_lo, exec_lo, s7
.LBB6_11746:                            ;   in Loop: Header=BB6_11188 Depth=2
	s_delay_alu instid0(SALU_CYCLE_1)
	s_or_b32 exec_lo, exec_lo, s40
                                        ; implicit-def: $vgpr0
.LBB6_11747:                            ;   in Loop: Header=BB6_11188 Depth=2
	s_and_not1_saveexec_b32 s7, s11
; %bb.11748:                            ;   in Loop: Header=BB6_11188 Depth=2
	v_or_b32_e32 v34, 0x7e, v0
; %bb.11749:                            ;   in Loop: Header=BB6_11188 Depth=2
	s_or_b32 exec_lo, exec_lo, s7
                                        ; implicit-def: $vgpr0
.LBB6_11750:                            ;   in Loop: Header=BB6_11188 Depth=2
	s_and_not1_saveexec_b32 s7, s10
; %bb.11751:                            ;   in Loop: Header=BB6_11188 Depth=2
	v_or_b32_e32 v34, 0x7f, v0
; %bb.11752:                            ;   in Loop: Header=BB6_11188 Depth=2
	s_or_b32 exec_lo, exec_lo, s7
	flat_load_u8 v0, v[10:11] offset:640 th:TH_LOAD_NT
	v_mov_b32_e32 v1, 0
	s_mov_b32 s7, exec_lo
	s_wait_loadcnt_dscnt 0x0
	s_wait_xcnt 0x0
	v_cmpx_ne_u16_e32 0, v0
	s_cbranch_execz .LBB6_11760
; %bb.11753:                            ;   in Loop: Header=BB6_11188 Depth=2
	v_bfrev_b32_e32 v1, 1
	s_mov_b32 s10, exec_lo
	v_cmpx_ne_u16_e32 0x80, v0
	s_cbranch_execz .LBB6_11759
; %bb.11754:                            ;   in Loop: Header=BB6_11188 Depth=2
	v_and_b32_e32 v6, 0xffff, v0
	v_mov_b32_e32 v1, 0x7f800001
	s_mov_b32 s11, exec_lo
	s_delay_alu instid0(VALU_DEP_2) | instskip(NEXT) | instid1(VALU_DEP_1)
	v_and_b32_e32 v4, 0x7f, v6
	v_cmpx_ne_u32_e32 0x7f, v4
	s_cbranch_execz .LBB6_11758
; %bb.11755:                            ;   in Loop: Header=BB6_11188 Depth=2
	v_dual_lshrrev_b32 v1, 3, v4 :: v_dual_bitop2_b32 v52, 7, v6 bitop3:0x40
	s_mov_b32 s40, exec_lo
	s_delay_alu instid0(VALU_DEP_1)
	v_mov_b64_e32 v[16:17], v[52:53]
	v_cmpx_gt_u32_e32 8, v4
; %bb.11756:                            ;   in Loop: Header=BB6_11188 Depth=2
	v_clz_i32_u32_e32 v1, v52
	s_delay_alu instid0(VALU_DEP_1) | instskip(NEXT) | instid1(VALU_DEP_1)
	v_min_u32_e32 v1, 32, v1
	v_subrev_nc_u32_e32 v4, 28, v1
	s_delay_alu instid0(VALU_DEP_1) | instskip(NEXT) | instid1(VALU_DEP_1)
	v_lshlrev_b64_e32 v[6:7], v4, v[52:53]
	v_dual_sub_nc_u32 v1, 29, v1 :: v_dual_bitop2_b32 v16, 7, v6 bitop3:0x40
; %bb.11757:                            ;   in Loop: Header=BB6_11188 Depth=2
	s_or_b32 exec_lo, exec_lo, s40
	v_lshlrev_b32_e32 v0, 24, v0
	s_delay_alu instid0(VALU_DEP_2) | instskip(NEXT) | instid1(VALU_DEP_3)
	v_lshlrev_b32_e32 v4, 20, v16
	v_lshl_add_u32 v1, v1, 23, 0x3c000000
	s_delay_alu instid0(VALU_DEP_3) | instskip(NEXT) | instid1(VALU_DEP_1)
	v_and_b32_e32 v0, 0x80000000, v0
	v_or3_b32 v1, v4, v0, v1
.LBB6_11758:                            ;   in Loop: Header=BB6_11188 Depth=2
	s_or_b32 exec_lo, exec_lo, s11
.LBB6_11759:                            ;   in Loop: Header=BB6_11188 Depth=2
	s_delay_alu instid0(SALU_CYCLE_1)
	s_or_b32 exec_lo, exec_lo, s10
.LBB6_11760:                            ;   in Loop: Header=BB6_11188 Depth=2
	s_delay_alu instid0(SALU_CYCLE_1) | instskip(NEXT) | instid1(VALU_DEP_1)
	s_or_b32 exec_lo, exec_lo, s7
	v_mul_f32_e32 v1, s29, v1
                                        ; implicit-def: $vgpr31
	s_mov_b32 s7, exec_lo
	s_delay_alu instid0(VALU_DEP_1) | instskip(SKIP_1) | instid1(VALU_DEP_2)
	v_and_b32_e32 v52, 0x7f800000, v1
	v_lshrrev_b32_e32 v0, 24, v1
	v_cmpx_ne_u64_e32 0x7f800000, v[52:53]
	s_xor_b32 s10, exec_lo, s7
	s_cbranch_execz .LBB6_11778
; %bb.11761:                            ;   in Loop: Header=BB6_11188 Depth=2
	v_and_b32_e32 v52, 0x7fffffff, v1
	v_and_b32_e32 v0, 0x80, v0
                                        ; implicit-def: $vgpr31
	s_mov_b32 s7, exec_lo
	s_delay_alu instid0(VALU_DEP_2)
	v_cmpx_gt_u64_e32 0x43e00001, v[52:53]
	s_xor_b32 s11, exec_lo, s7
	s_cbranch_execz .LBB6_11775
; %bb.11762:                            ;   in Loop: Header=BB6_11188 Depth=2
	v_mov_b32_e32 v31, 0
	s_mov_b32 s40, exec_lo
	v_cmpx_ne_u32_e32 0, v1
	s_cbranch_execz .LBB6_11774
; %bb.11763:                            ;   in Loop: Header=BB6_11188 Depth=2
	v_bfe_u32 v4, v1, 23, 8
	v_and_b32_e32 v1, 0x7fffff, v1
	s_delay_alu instid0(VALU_DEP_2) | instskip(SKIP_1) | instid1(VALU_DEP_3)
	v_sub_nc_u32_e32 v6, 0x79, v4
	v_cmp_gt_u32_e32 vcc_lo, 0x7a, v4
	v_or_b32_e32 v16, 0x800000, v1
	s_delay_alu instid0(VALU_DEP_3) | instskip(SKIP_1) | instid1(VALU_DEP_3)
	v_cndmask_b32_e32 v6, 0, v6, vcc_lo
	v_cmp_eq_u32_e32 vcc_lo, 0, v4
	v_cndmask_b32_e32 v52, v16, v1, vcc_lo
	s_delay_alu instid0(VALU_DEP_3) | instskip(NEXT) | instid1(VALU_DEP_1)
	v_cndmask_b32_e64 v6, v6, 0x78, vcc_lo
	v_add_nc_u32_e32 v7, 20, v6
	s_delay_alu instid0(VALU_DEP_3) | instskip(NEXT) | instid1(VALU_DEP_2)
	v_lshrrev_b64 v[16:17], v6, v[52:53]
	v_lshlrev_b64_e64 v[8:9], v7, -1
	v_add_nc_u32_e32 v7, 19, v6
	s_delay_alu instid0(VALU_DEP_1) | instskip(NEXT) | instid1(VALU_DEP_3)
	v_lshlrev_b64_e64 v[18:19], v7, 1
	v_bfi_b32 v9, v9, 0, 0
	s_delay_alu instid0(VALU_DEP_4) | instskip(NEXT) | instid1(VALU_DEP_1)
	v_bfi_b32 v8, v8, 0, v52
	v_cmp_eq_u64_e64 s7, v[8:9], v[18:19]
	v_mov_b64_e32 v[18:19], v[16:17]
	s_and_saveexec_b32 s41, s7
; %bb.11764:                            ;   in Loop: Header=BB6_11188 Depth=2
	v_bfe_u32 v52, v16, 20, 1
	s_delay_alu instid0(VALU_DEP_1) | instskip(NEXT) | instid1(VALU_DEP_1)
	v_add_nc_u64_e32 v[8:9], v[16:17], v[52:53]
	v_add_nc_u64_e32 v[18:19], -1, v[8:9]
; %bb.11765:                            ;   in Loop: Header=BB6_11188 Depth=2
	s_or_b32 exec_lo, exec_lo, s41
	v_add_nc_u32_e32 v1, 0xffffff81, v4
	v_lshrrev_b32_e32 v4, 23, v16
	s_mov_b32 s7, exec_lo
	s_delay_alu instid0(VALU_DEP_2) | instskip(NEXT) | instid1(VALU_DEP_1)
	v_cndmask_b32_e64 v1, v1, 0xffffff82, vcc_lo
	v_add3_u32 v4, v6, v1, v4
	v_and_b32_e32 v1, 0xfffff, v18
	s_delay_alu instid0(VALU_DEP_2) | instskip(NEXT) | instid1(VALU_DEP_2)
	v_add_nc_u32_e32 v6, 6, v4
	v_add_nc_u32_e32 v52, v1, v16
                                        ; implicit-def: $vgpr16_vgpr17
                                        ; implicit-def: $vgpr1
	s_delay_alu instid0(VALU_DEP_2)
	v_cmpx_ne_u32_e32 0, v6
	s_xor_b32 s7, exec_lo, s7
; %bb.11766:                            ;   in Loop: Header=BB6_11188 Depth=2
	s_delay_alu instid0(VALU_DEP_2) | instskip(SKIP_2) | instid1(VALU_DEP_2)
	v_cmp_lt_u64_e32 vcc_lo, 0xffffff, v[52:53]
	v_add_nc_u32_e32 v1, 7, v4
	v_cndmask_b32_e64 v4, 0, 1, vcc_lo
	v_cndmask_b32_e32 v1, v6, v1, vcc_lo
	s_delay_alu instid0(VALU_DEP_2)
	v_lshrrev_b64 v[16:17], v4, v[52:53]
; %bb.11767:                            ;   in Loop: Header=BB6_11188 Depth=2
	s_and_not1_saveexec_b32 s7, s7
; %bb.11768:                            ;   in Loop: Header=BB6_11188 Depth=2
	v_mov_b64_e32 v[16:17], v[52:53]
	v_bfe_u32 v1, v52, 23, 1
; %bb.11769:                            ;   in Loop: Header=BB6_11188 Depth=2
	s_or_b32 exec_lo, exec_lo, s7
	s_delay_alu instid0(VALU_DEP_2) | instskip(NEXT) | instid1(VALU_DEP_2)
	v_lshrrev_b64 v[6:7], 20, v[16:17]
	v_cmp_gt_i32_e32 vcc_lo, 16, v1
	v_cmp_ne_u32_e64 s7, 0, v1
                                        ; implicit-def: $vgpr31
	s_delay_alu instid0(VALU_DEP_3) | instskip(NEXT) | instid1(VALU_DEP_1)
	v_dual_cndmask_b32 v17, 0, v7 :: v_dual_cndmask_b32 v16, 7, v6
	v_cmp_ne_u64_e32 vcc_lo, 0, v[16:17]
	s_or_b32 s7, s7, vcc_lo
	s_delay_alu instid0(SALU_CYCLE_1) | instskip(NEXT) | instid1(SALU_CYCLE_1)
	s_and_saveexec_b32 s41, s7
	s_xor_b32 s7, exec_lo, s41
; %bb.11770:                            ;   in Loop: Header=BB6_11188 Depth=2
	v_min_i32_e32 v1, 15, v1
	s_delay_alu instid0(VALU_DEP_1) | instskip(NEXT) | instid1(VALU_DEP_1)
	v_lshl_or_b32 v0, v1, 3, v0
	v_and_or_b32 v31, v16, 7, v0
                                        ; implicit-def: $vgpr0
; %bb.11771:                            ;   in Loop: Header=BB6_11188 Depth=2
	s_and_not1_saveexec_b32 s7, s7
; %bb.11772:                            ;   in Loop: Header=BB6_11188 Depth=2
	v_mov_b32_e32 v31, v0
; %bb.11773:                            ;   in Loop: Header=BB6_11188 Depth=2
	s_or_b32 exec_lo, exec_lo, s7
.LBB6_11774:                            ;   in Loop: Header=BB6_11188 Depth=2
	s_delay_alu instid0(SALU_CYCLE_1)
	s_or_b32 exec_lo, exec_lo, s40
                                        ; implicit-def: $vgpr0
.LBB6_11775:                            ;   in Loop: Header=BB6_11188 Depth=2
	s_and_not1_saveexec_b32 s7, s11
; %bb.11776:                            ;   in Loop: Header=BB6_11188 Depth=2
	v_or_b32_e32 v31, 0x7e, v0
; %bb.11777:                            ;   in Loop: Header=BB6_11188 Depth=2
	s_or_b32 exec_lo, exec_lo, s7
                                        ; implicit-def: $vgpr0
.LBB6_11778:                            ;   in Loop: Header=BB6_11188 Depth=2
	s_and_not1_saveexec_b32 s7, s10
; %bb.11779:                            ;   in Loop: Header=BB6_11188 Depth=2
	v_or_b32_e32 v31, 0x7f, v0
; %bb.11780:                            ;   in Loop: Header=BB6_11188 Depth=2
	s_or_b32 exec_lo, exec_lo, s7
	flat_load_u8 v0, v[10:11] offset:672 th:TH_LOAD_NT
	v_mov_b32_e32 v1, 0
	s_mov_b32 s7, exec_lo
	s_wait_loadcnt_dscnt 0x0
	s_wait_xcnt 0x0
	v_cmpx_ne_u16_e32 0, v0
	s_cbranch_execz .LBB6_11788
; %bb.11781:                            ;   in Loop: Header=BB6_11188 Depth=2
	v_bfrev_b32_e32 v1, 1
	s_mov_b32 s10, exec_lo
	v_cmpx_ne_u16_e32 0x80, v0
	s_cbranch_execz .LBB6_11787
; %bb.11782:                            ;   in Loop: Header=BB6_11188 Depth=2
	v_and_b32_e32 v6, 0xffff, v0
	v_mov_b32_e32 v1, 0x7f800001
	s_mov_b32 s11, exec_lo
	s_delay_alu instid0(VALU_DEP_2) | instskip(NEXT) | instid1(VALU_DEP_1)
	v_and_b32_e32 v4, 0x7f, v6
	v_cmpx_ne_u32_e32 0x7f, v4
	s_cbranch_execz .LBB6_11786
; %bb.11783:                            ;   in Loop: Header=BB6_11188 Depth=2
	v_dual_lshrrev_b32 v1, 3, v4 :: v_dual_bitop2_b32 v52, 7, v6 bitop3:0x40
	s_mov_b32 s40, exec_lo
	s_delay_alu instid0(VALU_DEP_1)
	v_mov_b64_e32 v[16:17], v[52:53]
	v_cmpx_gt_u32_e32 8, v4
; %bb.11784:                            ;   in Loop: Header=BB6_11188 Depth=2
	v_clz_i32_u32_e32 v1, v52
	s_delay_alu instid0(VALU_DEP_1) | instskip(NEXT) | instid1(VALU_DEP_1)
	v_min_u32_e32 v1, 32, v1
	v_subrev_nc_u32_e32 v4, 28, v1
	s_delay_alu instid0(VALU_DEP_1) | instskip(NEXT) | instid1(VALU_DEP_1)
	v_lshlrev_b64_e32 v[6:7], v4, v[52:53]
	v_dual_sub_nc_u32 v1, 29, v1 :: v_dual_bitop2_b32 v16, 7, v6 bitop3:0x40
; %bb.11785:                            ;   in Loop: Header=BB6_11188 Depth=2
	s_or_b32 exec_lo, exec_lo, s40
	v_lshlrev_b32_e32 v0, 24, v0
	s_delay_alu instid0(VALU_DEP_2) | instskip(NEXT) | instid1(VALU_DEP_3)
	v_lshlrev_b32_e32 v4, 20, v16
	v_lshl_add_u32 v1, v1, 23, 0x3c000000
	s_delay_alu instid0(VALU_DEP_3) | instskip(NEXT) | instid1(VALU_DEP_1)
	v_and_b32_e32 v0, 0x80000000, v0
	v_or3_b32 v1, v4, v0, v1
.LBB6_11786:                            ;   in Loop: Header=BB6_11188 Depth=2
	s_or_b32 exec_lo, exec_lo, s11
.LBB6_11787:                            ;   in Loop: Header=BB6_11188 Depth=2
	s_delay_alu instid0(SALU_CYCLE_1)
	s_or_b32 exec_lo, exec_lo, s10
.LBB6_11788:                            ;   in Loop: Header=BB6_11188 Depth=2
	s_delay_alu instid0(SALU_CYCLE_1) | instskip(NEXT) | instid1(VALU_DEP_1)
	s_or_b32 exec_lo, exec_lo, s7
	v_mul_f32_e32 v1, s29, v1
                                        ; implicit-def: $vgpr29
	s_mov_b32 s7, exec_lo
	s_delay_alu instid0(VALU_DEP_1) | instskip(SKIP_1) | instid1(VALU_DEP_2)
	v_and_b32_e32 v52, 0x7f800000, v1
	v_lshrrev_b32_e32 v0, 24, v1
	v_cmpx_ne_u64_e32 0x7f800000, v[52:53]
	s_xor_b32 s10, exec_lo, s7
	s_cbranch_execz .LBB6_11806
; %bb.11789:                            ;   in Loop: Header=BB6_11188 Depth=2
	v_and_b32_e32 v52, 0x7fffffff, v1
	v_and_b32_e32 v0, 0x80, v0
                                        ; implicit-def: $vgpr29
	s_mov_b32 s7, exec_lo
	s_delay_alu instid0(VALU_DEP_2)
	v_cmpx_gt_u64_e32 0x43e00001, v[52:53]
	s_xor_b32 s11, exec_lo, s7
	s_cbranch_execz .LBB6_11803
; %bb.11790:                            ;   in Loop: Header=BB6_11188 Depth=2
	v_mov_b32_e32 v29, 0
	s_mov_b32 s40, exec_lo
	v_cmpx_ne_u32_e32 0, v1
	s_cbranch_execz .LBB6_11802
; %bb.11791:                            ;   in Loop: Header=BB6_11188 Depth=2
	v_bfe_u32 v4, v1, 23, 8
	v_and_b32_e32 v1, 0x7fffff, v1
	s_delay_alu instid0(VALU_DEP_2) | instskip(SKIP_1) | instid1(VALU_DEP_3)
	v_sub_nc_u32_e32 v6, 0x79, v4
	v_cmp_gt_u32_e32 vcc_lo, 0x7a, v4
	v_or_b32_e32 v16, 0x800000, v1
	s_delay_alu instid0(VALU_DEP_3) | instskip(SKIP_1) | instid1(VALU_DEP_3)
	v_cndmask_b32_e32 v6, 0, v6, vcc_lo
	v_cmp_eq_u32_e32 vcc_lo, 0, v4
	v_cndmask_b32_e32 v52, v16, v1, vcc_lo
	s_delay_alu instid0(VALU_DEP_3) | instskip(NEXT) | instid1(VALU_DEP_1)
	v_cndmask_b32_e64 v6, v6, 0x78, vcc_lo
	v_add_nc_u32_e32 v7, 20, v6
	s_delay_alu instid0(VALU_DEP_3) | instskip(NEXT) | instid1(VALU_DEP_2)
	v_lshrrev_b64 v[16:17], v6, v[52:53]
	v_lshlrev_b64_e64 v[8:9], v7, -1
	v_add_nc_u32_e32 v7, 19, v6
	s_delay_alu instid0(VALU_DEP_1) | instskip(NEXT) | instid1(VALU_DEP_3)
	v_lshlrev_b64_e64 v[18:19], v7, 1
	v_bfi_b32 v9, v9, 0, 0
	s_delay_alu instid0(VALU_DEP_4) | instskip(NEXT) | instid1(VALU_DEP_1)
	v_bfi_b32 v8, v8, 0, v52
	v_cmp_eq_u64_e64 s7, v[8:9], v[18:19]
	v_mov_b64_e32 v[18:19], v[16:17]
	s_and_saveexec_b32 s41, s7
; %bb.11792:                            ;   in Loop: Header=BB6_11188 Depth=2
	v_bfe_u32 v52, v16, 20, 1
	s_delay_alu instid0(VALU_DEP_1) | instskip(NEXT) | instid1(VALU_DEP_1)
	v_add_nc_u64_e32 v[8:9], v[16:17], v[52:53]
	v_add_nc_u64_e32 v[18:19], -1, v[8:9]
; %bb.11793:                            ;   in Loop: Header=BB6_11188 Depth=2
	s_or_b32 exec_lo, exec_lo, s41
	v_add_nc_u32_e32 v1, 0xffffff81, v4
	v_lshrrev_b32_e32 v4, 23, v16
	s_mov_b32 s7, exec_lo
	s_delay_alu instid0(VALU_DEP_2) | instskip(NEXT) | instid1(VALU_DEP_1)
	v_cndmask_b32_e64 v1, v1, 0xffffff82, vcc_lo
	v_add3_u32 v4, v6, v1, v4
	v_and_b32_e32 v1, 0xfffff, v18
	s_delay_alu instid0(VALU_DEP_2) | instskip(NEXT) | instid1(VALU_DEP_2)
	v_add_nc_u32_e32 v6, 6, v4
	v_add_nc_u32_e32 v52, v1, v16
                                        ; implicit-def: $vgpr16_vgpr17
                                        ; implicit-def: $vgpr1
	s_delay_alu instid0(VALU_DEP_2)
	v_cmpx_ne_u32_e32 0, v6
	s_xor_b32 s7, exec_lo, s7
; %bb.11794:                            ;   in Loop: Header=BB6_11188 Depth=2
	s_delay_alu instid0(VALU_DEP_2) | instskip(SKIP_2) | instid1(VALU_DEP_2)
	v_cmp_lt_u64_e32 vcc_lo, 0xffffff, v[52:53]
	v_add_nc_u32_e32 v1, 7, v4
	v_cndmask_b32_e64 v4, 0, 1, vcc_lo
	v_cndmask_b32_e32 v1, v6, v1, vcc_lo
	s_delay_alu instid0(VALU_DEP_2)
	v_lshrrev_b64 v[16:17], v4, v[52:53]
; %bb.11795:                            ;   in Loop: Header=BB6_11188 Depth=2
	s_and_not1_saveexec_b32 s7, s7
; %bb.11796:                            ;   in Loop: Header=BB6_11188 Depth=2
	v_mov_b64_e32 v[16:17], v[52:53]
	v_bfe_u32 v1, v52, 23, 1
; %bb.11797:                            ;   in Loop: Header=BB6_11188 Depth=2
	s_or_b32 exec_lo, exec_lo, s7
	s_delay_alu instid0(VALU_DEP_2) | instskip(NEXT) | instid1(VALU_DEP_2)
	v_lshrrev_b64 v[6:7], 20, v[16:17]
	v_cmp_gt_i32_e32 vcc_lo, 16, v1
	v_cmp_ne_u32_e64 s7, 0, v1
                                        ; implicit-def: $vgpr29
	s_delay_alu instid0(VALU_DEP_3) | instskip(NEXT) | instid1(VALU_DEP_1)
	v_dual_cndmask_b32 v17, 0, v7 :: v_dual_cndmask_b32 v16, 7, v6
	v_cmp_ne_u64_e32 vcc_lo, 0, v[16:17]
	s_or_b32 s7, s7, vcc_lo
	s_delay_alu instid0(SALU_CYCLE_1) | instskip(NEXT) | instid1(SALU_CYCLE_1)
	s_and_saveexec_b32 s41, s7
	s_xor_b32 s7, exec_lo, s41
; %bb.11798:                            ;   in Loop: Header=BB6_11188 Depth=2
	v_min_i32_e32 v1, 15, v1
	s_delay_alu instid0(VALU_DEP_1) | instskip(NEXT) | instid1(VALU_DEP_1)
	v_lshl_or_b32 v0, v1, 3, v0
	v_and_or_b32 v29, v16, 7, v0
                                        ; implicit-def: $vgpr0
; %bb.11799:                            ;   in Loop: Header=BB6_11188 Depth=2
	s_and_not1_saveexec_b32 s7, s7
; %bb.11800:                            ;   in Loop: Header=BB6_11188 Depth=2
	v_mov_b32_e32 v29, v0
; %bb.11801:                            ;   in Loop: Header=BB6_11188 Depth=2
	s_or_b32 exec_lo, exec_lo, s7
.LBB6_11802:                            ;   in Loop: Header=BB6_11188 Depth=2
	s_delay_alu instid0(SALU_CYCLE_1)
	s_or_b32 exec_lo, exec_lo, s40
                                        ; implicit-def: $vgpr0
.LBB6_11803:                            ;   in Loop: Header=BB6_11188 Depth=2
	s_and_not1_saveexec_b32 s7, s11
; %bb.11804:                            ;   in Loop: Header=BB6_11188 Depth=2
	v_or_b32_e32 v29, 0x7e, v0
; %bb.11805:                            ;   in Loop: Header=BB6_11188 Depth=2
	s_or_b32 exec_lo, exec_lo, s7
                                        ; implicit-def: $vgpr0
.LBB6_11806:                            ;   in Loop: Header=BB6_11188 Depth=2
	s_and_not1_saveexec_b32 s7, s10
; %bb.11807:                            ;   in Loop: Header=BB6_11188 Depth=2
	v_or_b32_e32 v29, 0x7f, v0
; %bb.11808:                            ;   in Loop: Header=BB6_11188 Depth=2
	s_or_b32 exec_lo, exec_lo, s7
	flat_load_u8 v0, v[10:11] offset:704 th:TH_LOAD_NT
	v_mov_b32_e32 v1, 0
	s_mov_b32 s7, exec_lo
	s_wait_loadcnt_dscnt 0x0
	s_wait_xcnt 0x0
	v_cmpx_ne_u16_e32 0, v0
	s_cbranch_execz .LBB6_11816
; %bb.11809:                            ;   in Loop: Header=BB6_11188 Depth=2
	v_bfrev_b32_e32 v1, 1
	s_mov_b32 s10, exec_lo
	v_cmpx_ne_u16_e32 0x80, v0
	s_cbranch_execz .LBB6_11815
; %bb.11810:                            ;   in Loop: Header=BB6_11188 Depth=2
	v_and_b32_e32 v6, 0xffff, v0
	v_mov_b32_e32 v1, 0x7f800001
	s_mov_b32 s11, exec_lo
	s_delay_alu instid0(VALU_DEP_2) | instskip(NEXT) | instid1(VALU_DEP_1)
	v_and_b32_e32 v4, 0x7f, v6
	v_cmpx_ne_u32_e32 0x7f, v4
	s_cbranch_execz .LBB6_11814
; %bb.11811:                            ;   in Loop: Header=BB6_11188 Depth=2
	v_dual_lshrrev_b32 v1, 3, v4 :: v_dual_bitop2_b32 v52, 7, v6 bitop3:0x40
	s_mov_b32 s40, exec_lo
	s_delay_alu instid0(VALU_DEP_1)
	v_mov_b64_e32 v[16:17], v[52:53]
	v_cmpx_gt_u32_e32 8, v4
; %bb.11812:                            ;   in Loop: Header=BB6_11188 Depth=2
	v_clz_i32_u32_e32 v1, v52
	s_delay_alu instid0(VALU_DEP_1) | instskip(NEXT) | instid1(VALU_DEP_1)
	v_min_u32_e32 v1, 32, v1
	v_subrev_nc_u32_e32 v4, 28, v1
	s_delay_alu instid0(VALU_DEP_1) | instskip(NEXT) | instid1(VALU_DEP_1)
	v_lshlrev_b64_e32 v[6:7], v4, v[52:53]
	v_dual_sub_nc_u32 v1, 29, v1 :: v_dual_bitop2_b32 v16, 7, v6 bitop3:0x40
; %bb.11813:                            ;   in Loop: Header=BB6_11188 Depth=2
	s_or_b32 exec_lo, exec_lo, s40
	v_lshlrev_b32_e32 v0, 24, v0
	s_delay_alu instid0(VALU_DEP_2) | instskip(NEXT) | instid1(VALU_DEP_3)
	v_lshlrev_b32_e32 v4, 20, v16
	v_lshl_add_u32 v1, v1, 23, 0x3c000000
	s_delay_alu instid0(VALU_DEP_3) | instskip(NEXT) | instid1(VALU_DEP_1)
	v_and_b32_e32 v0, 0x80000000, v0
	v_or3_b32 v1, v4, v0, v1
.LBB6_11814:                            ;   in Loop: Header=BB6_11188 Depth=2
	s_or_b32 exec_lo, exec_lo, s11
.LBB6_11815:                            ;   in Loop: Header=BB6_11188 Depth=2
	s_delay_alu instid0(SALU_CYCLE_1)
	s_or_b32 exec_lo, exec_lo, s10
.LBB6_11816:                            ;   in Loop: Header=BB6_11188 Depth=2
	s_delay_alu instid0(SALU_CYCLE_1) | instskip(NEXT) | instid1(VALU_DEP_1)
	s_or_b32 exec_lo, exec_lo, s7
	v_mul_f32_e32 v1, s29, v1
                                        ; implicit-def: $vgpr28
	s_mov_b32 s7, exec_lo
	s_delay_alu instid0(VALU_DEP_1) | instskip(SKIP_1) | instid1(VALU_DEP_2)
	v_and_b32_e32 v52, 0x7f800000, v1
	v_lshrrev_b32_e32 v0, 24, v1
	v_cmpx_ne_u64_e32 0x7f800000, v[52:53]
	s_xor_b32 s10, exec_lo, s7
	s_cbranch_execz .LBB6_11834
; %bb.11817:                            ;   in Loop: Header=BB6_11188 Depth=2
	v_and_b32_e32 v52, 0x7fffffff, v1
	v_and_b32_e32 v0, 0x80, v0
                                        ; implicit-def: $vgpr28
	s_mov_b32 s7, exec_lo
	s_delay_alu instid0(VALU_DEP_2)
	v_cmpx_gt_u64_e32 0x43e00001, v[52:53]
	s_xor_b32 s11, exec_lo, s7
	s_cbranch_execz .LBB6_11831
; %bb.11818:                            ;   in Loop: Header=BB6_11188 Depth=2
	v_mov_b32_e32 v28, 0
	s_mov_b32 s40, exec_lo
	v_cmpx_ne_u32_e32 0, v1
	s_cbranch_execz .LBB6_11830
; %bb.11819:                            ;   in Loop: Header=BB6_11188 Depth=2
	v_bfe_u32 v4, v1, 23, 8
	v_and_b32_e32 v1, 0x7fffff, v1
	s_delay_alu instid0(VALU_DEP_2) | instskip(SKIP_1) | instid1(VALU_DEP_3)
	v_sub_nc_u32_e32 v6, 0x79, v4
	v_cmp_gt_u32_e32 vcc_lo, 0x7a, v4
	v_or_b32_e32 v16, 0x800000, v1
	s_delay_alu instid0(VALU_DEP_3) | instskip(SKIP_1) | instid1(VALU_DEP_3)
	v_cndmask_b32_e32 v6, 0, v6, vcc_lo
	v_cmp_eq_u32_e32 vcc_lo, 0, v4
	v_cndmask_b32_e32 v52, v16, v1, vcc_lo
	s_delay_alu instid0(VALU_DEP_3) | instskip(NEXT) | instid1(VALU_DEP_1)
	v_cndmask_b32_e64 v6, v6, 0x78, vcc_lo
	v_add_nc_u32_e32 v7, 20, v6
	s_delay_alu instid0(VALU_DEP_3) | instskip(NEXT) | instid1(VALU_DEP_2)
	v_lshrrev_b64 v[16:17], v6, v[52:53]
	v_lshlrev_b64_e64 v[8:9], v7, -1
	v_add_nc_u32_e32 v7, 19, v6
	s_delay_alu instid0(VALU_DEP_1) | instskip(NEXT) | instid1(VALU_DEP_3)
	v_lshlrev_b64_e64 v[18:19], v7, 1
	v_bfi_b32 v9, v9, 0, 0
	s_delay_alu instid0(VALU_DEP_4) | instskip(NEXT) | instid1(VALU_DEP_1)
	v_bfi_b32 v8, v8, 0, v52
	v_cmp_eq_u64_e64 s7, v[8:9], v[18:19]
	v_mov_b64_e32 v[18:19], v[16:17]
	s_and_saveexec_b32 s41, s7
; %bb.11820:                            ;   in Loop: Header=BB6_11188 Depth=2
	v_bfe_u32 v52, v16, 20, 1
	s_delay_alu instid0(VALU_DEP_1) | instskip(NEXT) | instid1(VALU_DEP_1)
	v_add_nc_u64_e32 v[8:9], v[16:17], v[52:53]
	v_add_nc_u64_e32 v[18:19], -1, v[8:9]
; %bb.11821:                            ;   in Loop: Header=BB6_11188 Depth=2
	s_or_b32 exec_lo, exec_lo, s41
	v_add_nc_u32_e32 v1, 0xffffff81, v4
	v_lshrrev_b32_e32 v4, 23, v16
	s_mov_b32 s7, exec_lo
	s_delay_alu instid0(VALU_DEP_2) | instskip(NEXT) | instid1(VALU_DEP_1)
	v_cndmask_b32_e64 v1, v1, 0xffffff82, vcc_lo
	v_add3_u32 v4, v6, v1, v4
	v_and_b32_e32 v1, 0xfffff, v18
	s_delay_alu instid0(VALU_DEP_2) | instskip(NEXT) | instid1(VALU_DEP_2)
	v_add_nc_u32_e32 v6, 6, v4
	v_add_nc_u32_e32 v52, v1, v16
                                        ; implicit-def: $vgpr16_vgpr17
                                        ; implicit-def: $vgpr1
	s_delay_alu instid0(VALU_DEP_2)
	v_cmpx_ne_u32_e32 0, v6
	s_xor_b32 s7, exec_lo, s7
; %bb.11822:                            ;   in Loop: Header=BB6_11188 Depth=2
	s_delay_alu instid0(VALU_DEP_2) | instskip(SKIP_2) | instid1(VALU_DEP_2)
	v_cmp_lt_u64_e32 vcc_lo, 0xffffff, v[52:53]
	v_add_nc_u32_e32 v1, 7, v4
	v_cndmask_b32_e64 v4, 0, 1, vcc_lo
	v_cndmask_b32_e32 v1, v6, v1, vcc_lo
	s_delay_alu instid0(VALU_DEP_2)
	v_lshrrev_b64 v[16:17], v4, v[52:53]
; %bb.11823:                            ;   in Loop: Header=BB6_11188 Depth=2
	s_and_not1_saveexec_b32 s7, s7
; %bb.11824:                            ;   in Loop: Header=BB6_11188 Depth=2
	v_mov_b64_e32 v[16:17], v[52:53]
	v_bfe_u32 v1, v52, 23, 1
; %bb.11825:                            ;   in Loop: Header=BB6_11188 Depth=2
	s_or_b32 exec_lo, exec_lo, s7
	s_delay_alu instid0(VALU_DEP_2) | instskip(NEXT) | instid1(VALU_DEP_2)
	v_lshrrev_b64 v[6:7], 20, v[16:17]
	v_cmp_gt_i32_e32 vcc_lo, 16, v1
	v_cmp_ne_u32_e64 s7, 0, v1
                                        ; implicit-def: $vgpr28
	s_delay_alu instid0(VALU_DEP_3) | instskip(NEXT) | instid1(VALU_DEP_1)
	v_dual_cndmask_b32 v17, 0, v7 :: v_dual_cndmask_b32 v16, 7, v6
	v_cmp_ne_u64_e32 vcc_lo, 0, v[16:17]
	s_or_b32 s7, s7, vcc_lo
	s_delay_alu instid0(SALU_CYCLE_1) | instskip(NEXT) | instid1(SALU_CYCLE_1)
	s_and_saveexec_b32 s41, s7
	s_xor_b32 s7, exec_lo, s41
; %bb.11826:                            ;   in Loop: Header=BB6_11188 Depth=2
	v_min_i32_e32 v1, 15, v1
	s_delay_alu instid0(VALU_DEP_1) | instskip(NEXT) | instid1(VALU_DEP_1)
	v_lshl_or_b32 v0, v1, 3, v0
	v_and_or_b32 v28, v16, 7, v0
                                        ; implicit-def: $vgpr0
; %bb.11827:                            ;   in Loop: Header=BB6_11188 Depth=2
	s_and_not1_saveexec_b32 s7, s7
; %bb.11828:                            ;   in Loop: Header=BB6_11188 Depth=2
	v_mov_b32_e32 v28, v0
; %bb.11829:                            ;   in Loop: Header=BB6_11188 Depth=2
	s_or_b32 exec_lo, exec_lo, s7
.LBB6_11830:                            ;   in Loop: Header=BB6_11188 Depth=2
	s_delay_alu instid0(SALU_CYCLE_1)
	s_or_b32 exec_lo, exec_lo, s40
                                        ; implicit-def: $vgpr0
.LBB6_11831:                            ;   in Loop: Header=BB6_11188 Depth=2
	s_and_not1_saveexec_b32 s7, s11
; %bb.11832:                            ;   in Loop: Header=BB6_11188 Depth=2
	v_or_b32_e32 v28, 0x7e, v0
; %bb.11833:                            ;   in Loop: Header=BB6_11188 Depth=2
	s_or_b32 exec_lo, exec_lo, s7
                                        ; implicit-def: $vgpr0
.LBB6_11834:                            ;   in Loop: Header=BB6_11188 Depth=2
	s_and_not1_saveexec_b32 s7, s10
; %bb.11835:                            ;   in Loop: Header=BB6_11188 Depth=2
	v_or_b32_e32 v28, 0x7f, v0
; %bb.11836:                            ;   in Loop: Header=BB6_11188 Depth=2
	s_or_b32 exec_lo, exec_lo, s7
	flat_load_u8 v0, v[10:11] offset:736 th:TH_LOAD_NT
	v_mov_b32_e32 v1, 0
	s_mov_b32 s7, exec_lo
	s_wait_loadcnt_dscnt 0x0
	s_wait_xcnt 0x0
	v_cmpx_ne_u16_e32 0, v0
	s_cbranch_execz .LBB6_11844
; %bb.11837:                            ;   in Loop: Header=BB6_11188 Depth=2
	v_bfrev_b32_e32 v1, 1
	s_mov_b32 s10, exec_lo
	v_cmpx_ne_u16_e32 0x80, v0
	s_cbranch_execz .LBB6_11843
; %bb.11838:                            ;   in Loop: Header=BB6_11188 Depth=2
	v_and_b32_e32 v6, 0xffff, v0
	v_mov_b32_e32 v1, 0x7f800001
	s_mov_b32 s11, exec_lo
	s_delay_alu instid0(VALU_DEP_2) | instskip(NEXT) | instid1(VALU_DEP_1)
	v_and_b32_e32 v4, 0x7f, v6
	v_cmpx_ne_u32_e32 0x7f, v4
	s_cbranch_execz .LBB6_11842
; %bb.11839:                            ;   in Loop: Header=BB6_11188 Depth=2
	v_dual_lshrrev_b32 v1, 3, v4 :: v_dual_bitop2_b32 v52, 7, v6 bitop3:0x40
	s_mov_b32 s40, exec_lo
	s_delay_alu instid0(VALU_DEP_1)
	v_mov_b64_e32 v[16:17], v[52:53]
	v_cmpx_gt_u32_e32 8, v4
; %bb.11840:                            ;   in Loop: Header=BB6_11188 Depth=2
	v_clz_i32_u32_e32 v1, v52
	s_delay_alu instid0(VALU_DEP_1) | instskip(NEXT) | instid1(VALU_DEP_1)
	v_min_u32_e32 v1, 32, v1
	v_subrev_nc_u32_e32 v4, 28, v1
	s_delay_alu instid0(VALU_DEP_1) | instskip(NEXT) | instid1(VALU_DEP_1)
	v_lshlrev_b64_e32 v[6:7], v4, v[52:53]
	v_dual_sub_nc_u32 v1, 29, v1 :: v_dual_bitop2_b32 v16, 7, v6 bitop3:0x40
; %bb.11841:                            ;   in Loop: Header=BB6_11188 Depth=2
	s_or_b32 exec_lo, exec_lo, s40
	v_lshlrev_b32_e32 v0, 24, v0
	s_delay_alu instid0(VALU_DEP_2) | instskip(NEXT) | instid1(VALU_DEP_3)
	v_lshlrev_b32_e32 v4, 20, v16
	v_lshl_add_u32 v1, v1, 23, 0x3c000000
	s_delay_alu instid0(VALU_DEP_3) | instskip(NEXT) | instid1(VALU_DEP_1)
	v_and_b32_e32 v0, 0x80000000, v0
	v_or3_b32 v1, v4, v0, v1
.LBB6_11842:                            ;   in Loop: Header=BB6_11188 Depth=2
	s_or_b32 exec_lo, exec_lo, s11
.LBB6_11843:                            ;   in Loop: Header=BB6_11188 Depth=2
	s_delay_alu instid0(SALU_CYCLE_1)
	s_or_b32 exec_lo, exec_lo, s10
.LBB6_11844:                            ;   in Loop: Header=BB6_11188 Depth=2
	s_delay_alu instid0(SALU_CYCLE_1) | instskip(NEXT) | instid1(VALU_DEP_1)
	s_or_b32 exec_lo, exec_lo, s7
	v_mul_f32_e32 v1, s29, v1
                                        ; implicit-def: $vgpr27
	s_mov_b32 s7, exec_lo
	s_delay_alu instid0(VALU_DEP_1) | instskip(SKIP_1) | instid1(VALU_DEP_2)
	v_and_b32_e32 v52, 0x7f800000, v1
	v_lshrrev_b32_e32 v0, 24, v1
	v_cmpx_ne_u64_e32 0x7f800000, v[52:53]
	s_xor_b32 s10, exec_lo, s7
	s_cbranch_execz .LBB6_11862
; %bb.11845:                            ;   in Loop: Header=BB6_11188 Depth=2
	v_and_b32_e32 v52, 0x7fffffff, v1
	v_and_b32_e32 v0, 0x80, v0
                                        ; implicit-def: $vgpr27
	s_mov_b32 s7, exec_lo
	s_delay_alu instid0(VALU_DEP_2)
	v_cmpx_gt_u64_e32 0x43e00001, v[52:53]
	s_xor_b32 s11, exec_lo, s7
	s_cbranch_execz .LBB6_11859
; %bb.11846:                            ;   in Loop: Header=BB6_11188 Depth=2
	v_mov_b32_e32 v27, 0
	s_mov_b32 s40, exec_lo
	v_cmpx_ne_u32_e32 0, v1
	s_cbranch_execz .LBB6_11858
; %bb.11847:                            ;   in Loop: Header=BB6_11188 Depth=2
	v_bfe_u32 v4, v1, 23, 8
	v_and_b32_e32 v1, 0x7fffff, v1
	s_delay_alu instid0(VALU_DEP_2) | instskip(SKIP_1) | instid1(VALU_DEP_3)
	v_sub_nc_u32_e32 v6, 0x79, v4
	v_cmp_gt_u32_e32 vcc_lo, 0x7a, v4
	v_or_b32_e32 v16, 0x800000, v1
	s_delay_alu instid0(VALU_DEP_3) | instskip(SKIP_1) | instid1(VALU_DEP_3)
	v_cndmask_b32_e32 v6, 0, v6, vcc_lo
	v_cmp_eq_u32_e32 vcc_lo, 0, v4
	v_cndmask_b32_e32 v52, v16, v1, vcc_lo
	s_delay_alu instid0(VALU_DEP_3) | instskip(NEXT) | instid1(VALU_DEP_1)
	v_cndmask_b32_e64 v6, v6, 0x78, vcc_lo
	v_add_nc_u32_e32 v7, 20, v6
	s_delay_alu instid0(VALU_DEP_3) | instskip(NEXT) | instid1(VALU_DEP_2)
	v_lshrrev_b64 v[16:17], v6, v[52:53]
	v_lshlrev_b64_e64 v[8:9], v7, -1
	v_add_nc_u32_e32 v7, 19, v6
	s_delay_alu instid0(VALU_DEP_1) | instskip(NEXT) | instid1(VALU_DEP_3)
	v_lshlrev_b64_e64 v[18:19], v7, 1
	v_bfi_b32 v9, v9, 0, 0
	s_delay_alu instid0(VALU_DEP_4) | instskip(NEXT) | instid1(VALU_DEP_1)
	v_bfi_b32 v8, v8, 0, v52
	v_cmp_eq_u64_e64 s7, v[8:9], v[18:19]
	v_mov_b64_e32 v[18:19], v[16:17]
	s_and_saveexec_b32 s41, s7
; %bb.11848:                            ;   in Loop: Header=BB6_11188 Depth=2
	v_bfe_u32 v52, v16, 20, 1
	s_delay_alu instid0(VALU_DEP_1) | instskip(NEXT) | instid1(VALU_DEP_1)
	v_add_nc_u64_e32 v[8:9], v[16:17], v[52:53]
	v_add_nc_u64_e32 v[18:19], -1, v[8:9]
; %bb.11849:                            ;   in Loop: Header=BB6_11188 Depth=2
	s_or_b32 exec_lo, exec_lo, s41
	v_add_nc_u32_e32 v1, 0xffffff81, v4
	v_lshrrev_b32_e32 v4, 23, v16
	s_mov_b32 s7, exec_lo
	s_delay_alu instid0(VALU_DEP_2) | instskip(NEXT) | instid1(VALU_DEP_1)
	v_cndmask_b32_e64 v1, v1, 0xffffff82, vcc_lo
	v_add3_u32 v4, v6, v1, v4
	v_and_b32_e32 v1, 0xfffff, v18
	s_delay_alu instid0(VALU_DEP_2) | instskip(NEXT) | instid1(VALU_DEP_2)
	v_add_nc_u32_e32 v6, 6, v4
	v_add_nc_u32_e32 v52, v1, v16
                                        ; implicit-def: $vgpr16_vgpr17
                                        ; implicit-def: $vgpr1
	s_delay_alu instid0(VALU_DEP_2)
	v_cmpx_ne_u32_e32 0, v6
	s_xor_b32 s7, exec_lo, s7
; %bb.11850:                            ;   in Loop: Header=BB6_11188 Depth=2
	s_delay_alu instid0(VALU_DEP_2) | instskip(SKIP_2) | instid1(VALU_DEP_2)
	v_cmp_lt_u64_e32 vcc_lo, 0xffffff, v[52:53]
	v_add_nc_u32_e32 v1, 7, v4
	v_cndmask_b32_e64 v4, 0, 1, vcc_lo
	v_cndmask_b32_e32 v1, v6, v1, vcc_lo
	s_delay_alu instid0(VALU_DEP_2)
	v_lshrrev_b64 v[16:17], v4, v[52:53]
; %bb.11851:                            ;   in Loop: Header=BB6_11188 Depth=2
	s_and_not1_saveexec_b32 s7, s7
; %bb.11852:                            ;   in Loop: Header=BB6_11188 Depth=2
	v_mov_b64_e32 v[16:17], v[52:53]
	v_bfe_u32 v1, v52, 23, 1
; %bb.11853:                            ;   in Loop: Header=BB6_11188 Depth=2
	s_or_b32 exec_lo, exec_lo, s7
	s_delay_alu instid0(VALU_DEP_2) | instskip(NEXT) | instid1(VALU_DEP_2)
	v_lshrrev_b64 v[6:7], 20, v[16:17]
	v_cmp_gt_i32_e32 vcc_lo, 16, v1
	v_cmp_ne_u32_e64 s7, 0, v1
                                        ; implicit-def: $vgpr27
	s_delay_alu instid0(VALU_DEP_3) | instskip(NEXT) | instid1(VALU_DEP_1)
	v_dual_cndmask_b32 v17, 0, v7 :: v_dual_cndmask_b32 v16, 7, v6
	v_cmp_ne_u64_e32 vcc_lo, 0, v[16:17]
	s_or_b32 s7, s7, vcc_lo
	s_delay_alu instid0(SALU_CYCLE_1) | instskip(NEXT) | instid1(SALU_CYCLE_1)
	s_and_saveexec_b32 s41, s7
	s_xor_b32 s7, exec_lo, s41
; %bb.11854:                            ;   in Loop: Header=BB6_11188 Depth=2
	v_min_i32_e32 v1, 15, v1
	s_delay_alu instid0(VALU_DEP_1) | instskip(NEXT) | instid1(VALU_DEP_1)
	v_lshl_or_b32 v0, v1, 3, v0
	v_and_or_b32 v27, v16, 7, v0
                                        ; implicit-def: $vgpr0
; %bb.11855:                            ;   in Loop: Header=BB6_11188 Depth=2
	s_and_not1_saveexec_b32 s7, s7
; %bb.11856:                            ;   in Loop: Header=BB6_11188 Depth=2
	v_mov_b32_e32 v27, v0
; %bb.11857:                            ;   in Loop: Header=BB6_11188 Depth=2
	s_or_b32 exec_lo, exec_lo, s7
.LBB6_11858:                            ;   in Loop: Header=BB6_11188 Depth=2
	s_delay_alu instid0(SALU_CYCLE_1)
	s_or_b32 exec_lo, exec_lo, s40
                                        ; implicit-def: $vgpr0
.LBB6_11859:                            ;   in Loop: Header=BB6_11188 Depth=2
	s_and_not1_saveexec_b32 s7, s11
; %bb.11860:                            ;   in Loop: Header=BB6_11188 Depth=2
	v_or_b32_e32 v27, 0x7e, v0
; %bb.11861:                            ;   in Loop: Header=BB6_11188 Depth=2
	s_or_b32 exec_lo, exec_lo, s7
                                        ; implicit-def: $vgpr0
.LBB6_11862:                            ;   in Loop: Header=BB6_11188 Depth=2
	s_and_not1_saveexec_b32 s7, s10
; %bb.11863:                            ;   in Loop: Header=BB6_11188 Depth=2
	v_or_b32_e32 v27, 0x7f, v0
; %bb.11864:                            ;   in Loop: Header=BB6_11188 Depth=2
	s_or_b32 exec_lo, exec_lo, s7
	flat_load_u8 v0, v[10:11] offset:768 th:TH_LOAD_NT
	v_mov_b32_e32 v1, 0
	s_mov_b32 s7, exec_lo
	s_wait_loadcnt_dscnt 0x0
	s_wait_xcnt 0x0
	v_cmpx_ne_u16_e32 0, v0
	s_cbranch_execz .LBB6_11872
; %bb.11865:                            ;   in Loop: Header=BB6_11188 Depth=2
	v_bfrev_b32_e32 v1, 1
	s_mov_b32 s10, exec_lo
	v_cmpx_ne_u16_e32 0x80, v0
	s_cbranch_execz .LBB6_11871
; %bb.11866:                            ;   in Loop: Header=BB6_11188 Depth=2
	v_and_b32_e32 v6, 0xffff, v0
	v_mov_b32_e32 v1, 0x7f800001
	s_mov_b32 s11, exec_lo
	s_delay_alu instid0(VALU_DEP_2) | instskip(NEXT) | instid1(VALU_DEP_1)
	v_and_b32_e32 v4, 0x7f, v6
	v_cmpx_ne_u32_e32 0x7f, v4
	s_cbranch_execz .LBB6_11870
; %bb.11867:                            ;   in Loop: Header=BB6_11188 Depth=2
	v_dual_lshrrev_b32 v1, 3, v4 :: v_dual_bitop2_b32 v52, 7, v6 bitop3:0x40
	s_mov_b32 s40, exec_lo
	s_delay_alu instid0(VALU_DEP_1)
	v_mov_b64_e32 v[16:17], v[52:53]
	v_cmpx_gt_u32_e32 8, v4
; %bb.11868:                            ;   in Loop: Header=BB6_11188 Depth=2
	v_clz_i32_u32_e32 v1, v52
	s_delay_alu instid0(VALU_DEP_1) | instskip(NEXT) | instid1(VALU_DEP_1)
	v_min_u32_e32 v1, 32, v1
	v_subrev_nc_u32_e32 v4, 28, v1
	s_delay_alu instid0(VALU_DEP_1) | instskip(NEXT) | instid1(VALU_DEP_1)
	v_lshlrev_b64_e32 v[6:7], v4, v[52:53]
	v_dual_sub_nc_u32 v1, 29, v1 :: v_dual_bitop2_b32 v16, 7, v6 bitop3:0x40
; %bb.11869:                            ;   in Loop: Header=BB6_11188 Depth=2
	s_or_b32 exec_lo, exec_lo, s40
	v_lshlrev_b32_e32 v0, 24, v0
	s_delay_alu instid0(VALU_DEP_2) | instskip(NEXT) | instid1(VALU_DEP_3)
	v_lshlrev_b32_e32 v4, 20, v16
	v_lshl_add_u32 v1, v1, 23, 0x3c000000
	s_delay_alu instid0(VALU_DEP_3) | instskip(NEXT) | instid1(VALU_DEP_1)
	v_and_b32_e32 v0, 0x80000000, v0
	v_or3_b32 v1, v4, v0, v1
.LBB6_11870:                            ;   in Loop: Header=BB6_11188 Depth=2
	s_or_b32 exec_lo, exec_lo, s11
.LBB6_11871:                            ;   in Loop: Header=BB6_11188 Depth=2
	s_delay_alu instid0(SALU_CYCLE_1)
	s_or_b32 exec_lo, exec_lo, s10
.LBB6_11872:                            ;   in Loop: Header=BB6_11188 Depth=2
	s_delay_alu instid0(SALU_CYCLE_1) | instskip(NEXT) | instid1(VALU_DEP_1)
	s_or_b32 exec_lo, exec_lo, s7
	v_mul_f32_e32 v1, s29, v1
                                        ; implicit-def: $vgpr25
	s_mov_b32 s7, exec_lo
	s_delay_alu instid0(VALU_DEP_1) | instskip(SKIP_1) | instid1(VALU_DEP_2)
	v_and_b32_e32 v52, 0x7f800000, v1
	v_lshrrev_b32_e32 v0, 24, v1
	v_cmpx_ne_u64_e32 0x7f800000, v[52:53]
	s_xor_b32 s10, exec_lo, s7
	s_cbranch_execz .LBB6_11890
; %bb.11873:                            ;   in Loop: Header=BB6_11188 Depth=2
	v_and_b32_e32 v52, 0x7fffffff, v1
	v_and_b32_e32 v0, 0x80, v0
                                        ; implicit-def: $vgpr25
	s_mov_b32 s7, exec_lo
	s_delay_alu instid0(VALU_DEP_2)
	v_cmpx_gt_u64_e32 0x43e00001, v[52:53]
	s_xor_b32 s11, exec_lo, s7
	s_cbranch_execz .LBB6_11887
; %bb.11874:                            ;   in Loop: Header=BB6_11188 Depth=2
	v_mov_b32_e32 v25, 0
	s_mov_b32 s40, exec_lo
	v_cmpx_ne_u32_e32 0, v1
	s_cbranch_execz .LBB6_11886
; %bb.11875:                            ;   in Loop: Header=BB6_11188 Depth=2
	v_bfe_u32 v4, v1, 23, 8
	v_and_b32_e32 v1, 0x7fffff, v1
	s_delay_alu instid0(VALU_DEP_2) | instskip(SKIP_1) | instid1(VALU_DEP_3)
	v_sub_nc_u32_e32 v6, 0x79, v4
	v_cmp_gt_u32_e32 vcc_lo, 0x7a, v4
	v_or_b32_e32 v16, 0x800000, v1
	s_delay_alu instid0(VALU_DEP_3) | instskip(SKIP_1) | instid1(VALU_DEP_3)
	v_cndmask_b32_e32 v6, 0, v6, vcc_lo
	v_cmp_eq_u32_e32 vcc_lo, 0, v4
	v_cndmask_b32_e32 v52, v16, v1, vcc_lo
	s_delay_alu instid0(VALU_DEP_3) | instskip(NEXT) | instid1(VALU_DEP_1)
	v_cndmask_b32_e64 v6, v6, 0x78, vcc_lo
	v_add_nc_u32_e32 v7, 20, v6
	s_delay_alu instid0(VALU_DEP_3) | instskip(NEXT) | instid1(VALU_DEP_2)
	v_lshrrev_b64 v[16:17], v6, v[52:53]
	v_lshlrev_b64_e64 v[8:9], v7, -1
	v_add_nc_u32_e32 v7, 19, v6
	s_delay_alu instid0(VALU_DEP_1) | instskip(NEXT) | instid1(VALU_DEP_3)
	v_lshlrev_b64_e64 v[18:19], v7, 1
	v_bfi_b32 v9, v9, 0, 0
	s_delay_alu instid0(VALU_DEP_4) | instskip(NEXT) | instid1(VALU_DEP_1)
	v_bfi_b32 v8, v8, 0, v52
	v_cmp_eq_u64_e64 s7, v[8:9], v[18:19]
	v_mov_b64_e32 v[18:19], v[16:17]
	s_and_saveexec_b32 s41, s7
; %bb.11876:                            ;   in Loop: Header=BB6_11188 Depth=2
	v_bfe_u32 v52, v16, 20, 1
	s_delay_alu instid0(VALU_DEP_1) | instskip(NEXT) | instid1(VALU_DEP_1)
	v_add_nc_u64_e32 v[8:9], v[16:17], v[52:53]
	v_add_nc_u64_e32 v[18:19], -1, v[8:9]
; %bb.11877:                            ;   in Loop: Header=BB6_11188 Depth=2
	s_or_b32 exec_lo, exec_lo, s41
	v_add_nc_u32_e32 v1, 0xffffff81, v4
	v_lshrrev_b32_e32 v4, 23, v16
	s_mov_b32 s7, exec_lo
	s_delay_alu instid0(VALU_DEP_2) | instskip(NEXT) | instid1(VALU_DEP_1)
	v_cndmask_b32_e64 v1, v1, 0xffffff82, vcc_lo
	v_add3_u32 v4, v6, v1, v4
	v_and_b32_e32 v1, 0xfffff, v18
	s_delay_alu instid0(VALU_DEP_2) | instskip(NEXT) | instid1(VALU_DEP_2)
	v_add_nc_u32_e32 v6, 6, v4
	v_add_nc_u32_e32 v52, v1, v16
                                        ; implicit-def: $vgpr16_vgpr17
                                        ; implicit-def: $vgpr1
	s_delay_alu instid0(VALU_DEP_2)
	v_cmpx_ne_u32_e32 0, v6
	s_xor_b32 s7, exec_lo, s7
; %bb.11878:                            ;   in Loop: Header=BB6_11188 Depth=2
	s_delay_alu instid0(VALU_DEP_2) | instskip(SKIP_2) | instid1(VALU_DEP_2)
	v_cmp_lt_u64_e32 vcc_lo, 0xffffff, v[52:53]
	v_add_nc_u32_e32 v1, 7, v4
	v_cndmask_b32_e64 v4, 0, 1, vcc_lo
	v_cndmask_b32_e32 v1, v6, v1, vcc_lo
	s_delay_alu instid0(VALU_DEP_2)
	v_lshrrev_b64 v[16:17], v4, v[52:53]
; %bb.11879:                            ;   in Loop: Header=BB6_11188 Depth=2
	s_and_not1_saveexec_b32 s7, s7
; %bb.11880:                            ;   in Loop: Header=BB6_11188 Depth=2
	v_mov_b64_e32 v[16:17], v[52:53]
	v_bfe_u32 v1, v52, 23, 1
; %bb.11881:                            ;   in Loop: Header=BB6_11188 Depth=2
	s_or_b32 exec_lo, exec_lo, s7
	s_delay_alu instid0(VALU_DEP_2) | instskip(NEXT) | instid1(VALU_DEP_2)
	v_lshrrev_b64 v[6:7], 20, v[16:17]
	v_cmp_gt_i32_e32 vcc_lo, 16, v1
	v_cmp_ne_u32_e64 s7, 0, v1
                                        ; implicit-def: $vgpr25
	s_delay_alu instid0(VALU_DEP_3) | instskip(NEXT) | instid1(VALU_DEP_1)
	v_dual_cndmask_b32 v17, 0, v7 :: v_dual_cndmask_b32 v16, 7, v6
	v_cmp_ne_u64_e32 vcc_lo, 0, v[16:17]
	s_or_b32 s7, s7, vcc_lo
	s_delay_alu instid0(SALU_CYCLE_1) | instskip(NEXT) | instid1(SALU_CYCLE_1)
	s_and_saveexec_b32 s41, s7
	s_xor_b32 s7, exec_lo, s41
; %bb.11882:                            ;   in Loop: Header=BB6_11188 Depth=2
	v_min_i32_e32 v1, 15, v1
	s_delay_alu instid0(VALU_DEP_1) | instskip(NEXT) | instid1(VALU_DEP_1)
	v_lshl_or_b32 v0, v1, 3, v0
	v_and_or_b32 v25, v16, 7, v0
                                        ; implicit-def: $vgpr0
; %bb.11883:                            ;   in Loop: Header=BB6_11188 Depth=2
	s_and_not1_saveexec_b32 s7, s7
; %bb.11884:                            ;   in Loop: Header=BB6_11188 Depth=2
	v_mov_b32_e32 v25, v0
; %bb.11885:                            ;   in Loop: Header=BB6_11188 Depth=2
	s_or_b32 exec_lo, exec_lo, s7
.LBB6_11886:                            ;   in Loop: Header=BB6_11188 Depth=2
	s_delay_alu instid0(SALU_CYCLE_1)
	s_or_b32 exec_lo, exec_lo, s40
                                        ; implicit-def: $vgpr0
.LBB6_11887:                            ;   in Loop: Header=BB6_11188 Depth=2
	s_and_not1_saveexec_b32 s7, s11
; %bb.11888:                            ;   in Loop: Header=BB6_11188 Depth=2
	v_or_b32_e32 v25, 0x7e, v0
; %bb.11889:                            ;   in Loop: Header=BB6_11188 Depth=2
	s_or_b32 exec_lo, exec_lo, s7
                                        ; implicit-def: $vgpr0
.LBB6_11890:                            ;   in Loop: Header=BB6_11188 Depth=2
	s_and_not1_saveexec_b32 s7, s10
; %bb.11891:                            ;   in Loop: Header=BB6_11188 Depth=2
	v_or_b32_e32 v25, 0x7f, v0
; %bb.11892:                            ;   in Loop: Header=BB6_11188 Depth=2
	s_or_b32 exec_lo, exec_lo, s7
	flat_load_u8 v0, v[10:11] offset:800 th:TH_LOAD_NT
	v_mov_b32_e32 v1, 0
	s_mov_b32 s7, exec_lo
	s_wait_loadcnt_dscnt 0x0
	s_wait_xcnt 0x0
	v_cmpx_ne_u16_e32 0, v0
	s_cbranch_execz .LBB6_11900
; %bb.11893:                            ;   in Loop: Header=BB6_11188 Depth=2
	v_bfrev_b32_e32 v1, 1
	s_mov_b32 s10, exec_lo
	v_cmpx_ne_u16_e32 0x80, v0
	s_cbranch_execz .LBB6_11899
; %bb.11894:                            ;   in Loop: Header=BB6_11188 Depth=2
	v_and_b32_e32 v6, 0xffff, v0
	v_mov_b32_e32 v1, 0x7f800001
	s_mov_b32 s11, exec_lo
	s_delay_alu instid0(VALU_DEP_2) | instskip(NEXT) | instid1(VALU_DEP_1)
	v_and_b32_e32 v4, 0x7f, v6
	v_cmpx_ne_u32_e32 0x7f, v4
	s_cbranch_execz .LBB6_11898
; %bb.11895:                            ;   in Loop: Header=BB6_11188 Depth=2
	v_dual_lshrrev_b32 v1, 3, v4 :: v_dual_bitop2_b32 v52, 7, v6 bitop3:0x40
	s_mov_b32 s40, exec_lo
	s_delay_alu instid0(VALU_DEP_1)
	v_mov_b64_e32 v[16:17], v[52:53]
	v_cmpx_gt_u32_e32 8, v4
; %bb.11896:                            ;   in Loop: Header=BB6_11188 Depth=2
	v_clz_i32_u32_e32 v1, v52
	s_delay_alu instid0(VALU_DEP_1) | instskip(NEXT) | instid1(VALU_DEP_1)
	v_min_u32_e32 v1, 32, v1
	v_subrev_nc_u32_e32 v4, 28, v1
	s_delay_alu instid0(VALU_DEP_1) | instskip(NEXT) | instid1(VALU_DEP_1)
	v_lshlrev_b64_e32 v[6:7], v4, v[52:53]
	v_dual_sub_nc_u32 v1, 29, v1 :: v_dual_bitop2_b32 v16, 7, v6 bitop3:0x40
; %bb.11897:                            ;   in Loop: Header=BB6_11188 Depth=2
	s_or_b32 exec_lo, exec_lo, s40
	v_lshlrev_b32_e32 v0, 24, v0
	s_delay_alu instid0(VALU_DEP_2) | instskip(NEXT) | instid1(VALU_DEP_3)
	v_lshlrev_b32_e32 v4, 20, v16
	v_lshl_add_u32 v1, v1, 23, 0x3c000000
	s_delay_alu instid0(VALU_DEP_3) | instskip(NEXT) | instid1(VALU_DEP_1)
	v_and_b32_e32 v0, 0x80000000, v0
	v_or3_b32 v1, v4, v0, v1
.LBB6_11898:                            ;   in Loop: Header=BB6_11188 Depth=2
	s_or_b32 exec_lo, exec_lo, s11
.LBB6_11899:                            ;   in Loop: Header=BB6_11188 Depth=2
	s_delay_alu instid0(SALU_CYCLE_1)
	s_or_b32 exec_lo, exec_lo, s10
.LBB6_11900:                            ;   in Loop: Header=BB6_11188 Depth=2
	s_delay_alu instid0(SALU_CYCLE_1) | instskip(NEXT) | instid1(VALU_DEP_1)
	s_or_b32 exec_lo, exec_lo, s7
	v_mul_f32_e32 v1, s29, v1
                                        ; implicit-def: $vgpr24
	s_mov_b32 s7, exec_lo
	s_delay_alu instid0(VALU_DEP_1) | instskip(SKIP_1) | instid1(VALU_DEP_2)
	v_and_b32_e32 v52, 0x7f800000, v1
	v_lshrrev_b32_e32 v0, 24, v1
	v_cmpx_ne_u64_e32 0x7f800000, v[52:53]
	s_xor_b32 s10, exec_lo, s7
	s_cbranch_execz .LBB6_11918
; %bb.11901:                            ;   in Loop: Header=BB6_11188 Depth=2
	v_and_b32_e32 v52, 0x7fffffff, v1
	v_and_b32_e32 v0, 0x80, v0
                                        ; implicit-def: $vgpr24
	s_mov_b32 s7, exec_lo
	s_delay_alu instid0(VALU_DEP_2)
	v_cmpx_gt_u64_e32 0x43e00001, v[52:53]
	s_xor_b32 s11, exec_lo, s7
	s_cbranch_execz .LBB6_11915
; %bb.11902:                            ;   in Loop: Header=BB6_11188 Depth=2
	v_mov_b32_e32 v24, 0
	s_mov_b32 s40, exec_lo
	v_cmpx_ne_u32_e32 0, v1
	s_cbranch_execz .LBB6_11914
; %bb.11903:                            ;   in Loop: Header=BB6_11188 Depth=2
	v_bfe_u32 v4, v1, 23, 8
	v_and_b32_e32 v1, 0x7fffff, v1
	s_delay_alu instid0(VALU_DEP_2) | instskip(SKIP_1) | instid1(VALU_DEP_3)
	v_sub_nc_u32_e32 v6, 0x79, v4
	v_cmp_gt_u32_e32 vcc_lo, 0x7a, v4
	v_or_b32_e32 v16, 0x800000, v1
	s_delay_alu instid0(VALU_DEP_3) | instskip(SKIP_1) | instid1(VALU_DEP_3)
	v_cndmask_b32_e32 v6, 0, v6, vcc_lo
	v_cmp_eq_u32_e32 vcc_lo, 0, v4
	v_cndmask_b32_e32 v52, v16, v1, vcc_lo
	s_delay_alu instid0(VALU_DEP_3) | instskip(NEXT) | instid1(VALU_DEP_1)
	v_cndmask_b32_e64 v6, v6, 0x78, vcc_lo
	v_add_nc_u32_e32 v7, 20, v6
	s_delay_alu instid0(VALU_DEP_3) | instskip(NEXT) | instid1(VALU_DEP_2)
	v_lshrrev_b64 v[16:17], v6, v[52:53]
	v_lshlrev_b64_e64 v[8:9], v7, -1
	v_add_nc_u32_e32 v7, 19, v6
	s_delay_alu instid0(VALU_DEP_1) | instskip(NEXT) | instid1(VALU_DEP_3)
	v_lshlrev_b64_e64 v[18:19], v7, 1
	v_bfi_b32 v9, v9, 0, 0
	s_delay_alu instid0(VALU_DEP_4) | instskip(NEXT) | instid1(VALU_DEP_1)
	v_bfi_b32 v8, v8, 0, v52
	v_cmp_eq_u64_e64 s7, v[8:9], v[18:19]
	v_mov_b64_e32 v[18:19], v[16:17]
	s_and_saveexec_b32 s41, s7
; %bb.11904:                            ;   in Loop: Header=BB6_11188 Depth=2
	v_bfe_u32 v52, v16, 20, 1
	s_delay_alu instid0(VALU_DEP_1) | instskip(NEXT) | instid1(VALU_DEP_1)
	v_add_nc_u64_e32 v[8:9], v[16:17], v[52:53]
	v_add_nc_u64_e32 v[18:19], -1, v[8:9]
; %bb.11905:                            ;   in Loop: Header=BB6_11188 Depth=2
	s_or_b32 exec_lo, exec_lo, s41
	v_add_nc_u32_e32 v1, 0xffffff81, v4
	v_lshrrev_b32_e32 v4, 23, v16
	s_mov_b32 s7, exec_lo
	s_delay_alu instid0(VALU_DEP_2) | instskip(NEXT) | instid1(VALU_DEP_1)
	v_cndmask_b32_e64 v1, v1, 0xffffff82, vcc_lo
	v_add3_u32 v4, v6, v1, v4
	v_and_b32_e32 v1, 0xfffff, v18
	s_delay_alu instid0(VALU_DEP_2) | instskip(NEXT) | instid1(VALU_DEP_2)
	v_add_nc_u32_e32 v6, 6, v4
	v_add_nc_u32_e32 v52, v1, v16
                                        ; implicit-def: $vgpr16_vgpr17
                                        ; implicit-def: $vgpr1
	s_delay_alu instid0(VALU_DEP_2)
	v_cmpx_ne_u32_e32 0, v6
	s_xor_b32 s7, exec_lo, s7
; %bb.11906:                            ;   in Loop: Header=BB6_11188 Depth=2
	s_delay_alu instid0(VALU_DEP_2) | instskip(SKIP_2) | instid1(VALU_DEP_2)
	v_cmp_lt_u64_e32 vcc_lo, 0xffffff, v[52:53]
	v_add_nc_u32_e32 v1, 7, v4
	v_cndmask_b32_e64 v4, 0, 1, vcc_lo
	v_cndmask_b32_e32 v1, v6, v1, vcc_lo
	s_delay_alu instid0(VALU_DEP_2)
	v_lshrrev_b64 v[16:17], v4, v[52:53]
; %bb.11907:                            ;   in Loop: Header=BB6_11188 Depth=2
	s_and_not1_saveexec_b32 s7, s7
; %bb.11908:                            ;   in Loop: Header=BB6_11188 Depth=2
	v_mov_b64_e32 v[16:17], v[52:53]
	v_bfe_u32 v1, v52, 23, 1
; %bb.11909:                            ;   in Loop: Header=BB6_11188 Depth=2
	s_or_b32 exec_lo, exec_lo, s7
	s_delay_alu instid0(VALU_DEP_2) | instskip(NEXT) | instid1(VALU_DEP_2)
	v_lshrrev_b64 v[6:7], 20, v[16:17]
	v_cmp_gt_i32_e32 vcc_lo, 16, v1
	v_cmp_ne_u32_e64 s7, 0, v1
                                        ; implicit-def: $vgpr24
	s_delay_alu instid0(VALU_DEP_3) | instskip(NEXT) | instid1(VALU_DEP_1)
	v_dual_cndmask_b32 v17, 0, v7 :: v_dual_cndmask_b32 v16, 7, v6
	v_cmp_ne_u64_e32 vcc_lo, 0, v[16:17]
	s_or_b32 s7, s7, vcc_lo
	s_delay_alu instid0(SALU_CYCLE_1) | instskip(NEXT) | instid1(SALU_CYCLE_1)
	s_and_saveexec_b32 s41, s7
	s_xor_b32 s7, exec_lo, s41
; %bb.11910:                            ;   in Loop: Header=BB6_11188 Depth=2
	v_min_i32_e32 v1, 15, v1
	s_delay_alu instid0(VALU_DEP_1) | instskip(NEXT) | instid1(VALU_DEP_1)
	v_lshl_or_b32 v0, v1, 3, v0
	v_and_or_b32 v24, v16, 7, v0
                                        ; implicit-def: $vgpr0
; %bb.11911:                            ;   in Loop: Header=BB6_11188 Depth=2
	s_and_not1_saveexec_b32 s7, s7
; %bb.11912:                            ;   in Loop: Header=BB6_11188 Depth=2
	v_mov_b32_e32 v24, v0
; %bb.11913:                            ;   in Loop: Header=BB6_11188 Depth=2
	s_or_b32 exec_lo, exec_lo, s7
.LBB6_11914:                            ;   in Loop: Header=BB6_11188 Depth=2
	s_delay_alu instid0(SALU_CYCLE_1)
	s_or_b32 exec_lo, exec_lo, s40
                                        ; implicit-def: $vgpr0
.LBB6_11915:                            ;   in Loop: Header=BB6_11188 Depth=2
	s_and_not1_saveexec_b32 s7, s11
; %bb.11916:                            ;   in Loop: Header=BB6_11188 Depth=2
	v_or_b32_e32 v24, 0x7e, v0
; %bb.11917:                            ;   in Loop: Header=BB6_11188 Depth=2
	s_or_b32 exec_lo, exec_lo, s7
                                        ; implicit-def: $vgpr0
.LBB6_11918:                            ;   in Loop: Header=BB6_11188 Depth=2
	s_and_not1_saveexec_b32 s7, s10
; %bb.11919:                            ;   in Loop: Header=BB6_11188 Depth=2
	v_or_b32_e32 v24, 0x7f, v0
; %bb.11920:                            ;   in Loop: Header=BB6_11188 Depth=2
	s_or_b32 exec_lo, exec_lo, s7
	flat_load_u8 v0, v[10:11] offset:832 th:TH_LOAD_NT
	v_mov_b32_e32 v1, 0
	s_mov_b32 s7, exec_lo
	s_wait_loadcnt_dscnt 0x0
	s_wait_xcnt 0x0
	v_cmpx_ne_u16_e32 0, v0
	s_cbranch_execz .LBB6_11928
; %bb.11921:                            ;   in Loop: Header=BB6_11188 Depth=2
	v_bfrev_b32_e32 v1, 1
	s_mov_b32 s10, exec_lo
	v_cmpx_ne_u16_e32 0x80, v0
	s_cbranch_execz .LBB6_11927
; %bb.11922:                            ;   in Loop: Header=BB6_11188 Depth=2
	v_and_b32_e32 v6, 0xffff, v0
	v_mov_b32_e32 v1, 0x7f800001
	s_mov_b32 s11, exec_lo
	s_delay_alu instid0(VALU_DEP_2) | instskip(NEXT) | instid1(VALU_DEP_1)
	v_and_b32_e32 v4, 0x7f, v6
	v_cmpx_ne_u32_e32 0x7f, v4
	s_cbranch_execz .LBB6_11926
; %bb.11923:                            ;   in Loop: Header=BB6_11188 Depth=2
	v_dual_lshrrev_b32 v1, 3, v4 :: v_dual_bitop2_b32 v52, 7, v6 bitop3:0x40
	s_mov_b32 s40, exec_lo
	s_delay_alu instid0(VALU_DEP_1)
	v_mov_b64_e32 v[16:17], v[52:53]
	v_cmpx_gt_u32_e32 8, v4
; %bb.11924:                            ;   in Loop: Header=BB6_11188 Depth=2
	v_clz_i32_u32_e32 v1, v52
	s_delay_alu instid0(VALU_DEP_1) | instskip(NEXT) | instid1(VALU_DEP_1)
	v_min_u32_e32 v1, 32, v1
	v_subrev_nc_u32_e32 v4, 28, v1
	s_delay_alu instid0(VALU_DEP_1) | instskip(NEXT) | instid1(VALU_DEP_1)
	v_lshlrev_b64_e32 v[6:7], v4, v[52:53]
	v_dual_sub_nc_u32 v1, 29, v1 :: v_dual_bitop2_b32 v16, 7, v6 bitop3:0x40
; %bb.11925:                            ;   in Loop: Header=BB6_11188 Depth=2
	s_or_b32 exec_lo, exec_lo, s40
	v_lshlrev_b32_e32 v0, 24, v0
	s_delay_alu instid0(VALU_DEP_2) | instskip(NEXT) | instid1(VALU_DEP_3)
	v_lshlrev_b32_e32 v4, 20, v16
	v_lshl_add_u32 v1, v1, 23, 0x3c000000
	s_delay_alu instid0(VALU_DEP_3) | instskip(NEXT) | instid1(VALU_DEP_1)
	v_and_b32_e32 v0, 0x80000000, v0
	v_or3_b32 v1, v4, v0, v1
.LBB6_11926:                            ;   in Loop: Header=BB6_11188 Depth=2
	s_or_b32 exec_lo, exec_lo, s11
.LBB6_11927:                            ;   in Loop: Header=BB6_11188 Depth=2
	s_delay_alu instid0(SALU_CYCLE_1)
	s_or_b32 exec_lo, exec_lo, s10
.LBB6_11928:                            ;   in Loop: Header=BB6_11188 Depth=2
	s_delay_alu instid0(SALU_CYCLE_1) | instskip(NEXT) | instid1(VALU_DEP_1)
	s_or_b32 exec_lo, exec_lo, s7
	v_mul_f32_e32 v1, s29, v1
                                        ; implicit-def: $vgpr9
	s_mov_b32 s7, exec_lo
	s_delay_alu instid0(VALU_DEP_1) | instskip(SKIP_1) | instid1(VALU_DEP_2)
	v_and_b32_e32 v52, 0x7f800000, v1
	v_lshrrev_b32_e32 v0, 24, v1
	v_cmpx_ne_u64_e32 0x7f800000, v[52:53]
	s_xor_b32 s10, exec_lo, s7
	s_cbranch_execz .LBB6_11946
; %bb.11929:                            ;   in Loop: Header=BB6_11188 Depth=2
	v_and_b32_e32 v52, 0x7fffffff, v1
	v_and_b32_e32 v0, 0x80, v0
                                        ; implicit-def: $vgpr9
	s_mov_b32 s7, exec_lo
	s_delay_alu instid0(VALU_DEP_2)
	v_cmpx_gt_u64_e32 0x43e00001, v[52:53]
	s_xor_b32 s11, exec_lo, s7
	s_cbranch_execz .LBB6_11943
; %bb.11930:                            ;   in Loop: Header=BB6_11188 Depth=2
	v_mov_b32_e32 v9, 0
	s_mov_b32 s40, exec_lo
	v_cmpx_ne_u32_e32 0, v1
	s_cbranch_execz .LBB6_11942
; %bb.11931:                            ;   in Loop: Header=BB6_11188 Depth=2
	v_bfe_u32 v4, v1, 23, 8
	v_and_b32_e32 v1, 0x7fffff, v1
	s_delay_alu instid0(VALU_DEP_2) | instskip(SKIP_1) | instid1(VALU_DEP_3)
	v_sub_nc_u32_e32 v6, 0x79, v4
	v_cmp_gt_u32_e32 vcc_lo, 0x7a, v4
	v_or_b32_e32 v16, 0x800000, v1
	s_delay_alu instid0(VALU_DEP_3) | instskip(SKIP_1) | instid1(VALU_DEP_3)
	v_cndmask_b32_e32 v6, 0, v6, vcc_lo
	v_cmp_eq_u32_e32 vcc_lo, 0, v4
	v_cndmask_b32_e32 v52, v16, v1, vcc_lo
	s_delay_alu instid0(VALU_DEP_3) | instskip(NEXT) | instid1(VALU_DEP_1)
	v_cndmask_b32_e64 v6, v6, 0x78, vcc_lo
	v_add_nc_u32_e32 v7, 20, v6
	s_delay_alu instid0(VALU_DEP_3) | instskip(NEXT) | instid1(VALU_DEP_2)
	v_lshrrev_b64 v[16:17], v6, v[52:53]
	v_lshlrev_b64_e64 v[8:9], v7, -1
	v_add_nc_u32_e32 v7, 19, v6
	s_delay_alu instid0(VALU_DEP_1) | instskip(NEXT) | instid1(VALU_DEP_3)
	v_lshlrev_b64_e64 v[18:19], v7, 1
	v_bfi_b32 v9, v9, 0, 0
	s_delay_alu instid0(VALU_DEP_4) | instskip(NEXT) | instid1(VALU_DEP_1)
	v_bfi_b32 v8, v8, 0, v52
	v_cmp_eq_u64_e64 s7, v[8:9], v[18:19]
	v_mov_b64_e32 v[18:19], v[16:17]
	s_and_saveexec_b32 s41, s7
; %bb.11932:                            ;   in Loop: Header=BB6_11188 Depth=2
	v_bfe_u32 v52, v16, 20, 1
	s_delay_alu instid0(VALU_DEP_1) | instskip(NEXT) | instid1(VALU_DEP_1)
	v_add_nc_u64_e32 v[8:9], v[16:17], v[52:53]
	v_add_nc_u64_e32 v[18:19], -1, v[8:9]
; %bb.11933:                            ;   in Loop: Header=BB6_11188 Depth=2
	s_or_b32 exec_lo, exec_lo, s41
	v_add_nc_u32_e32 v1, 0xffffff81, v4
	v_lshrrev_b32_e32 v4, 23, v16
	s_mov_b32 s7, exec_lo
	s_delay_alu instid0(VALU_DEP_2) | instskip(NEXT) | instid1(VALU_DEP_1)
	v_cndmask_b32_e64 v1, v1, 0xffffff82, vcc_lo
	v_add3_u32 v4, v6, v1, v4
	v_and_b32_e32 v1, 0xfffff, v18
	s_delay_alu instid0(VALU_DEP_2) | instskip(NEXT) | instid1(VALU_DEP_2)
	v_add_nc_u32_e32 v6, 6, v4
	v_add_nc_u32_e32 v52, v1, v16
                                        ; implicit-def: $vgpr16_vgpr17
                                        ; implicit-def: $vgpr1
	s_delay_alu instid0(VALU_DEP_2)
	v_cmpx_ne_u32_e32 0, v6
	s_xor_b32 s7, exec_lo, s7
; %bb.11934:                            ;   in Loop: Header=BB6_11188 Depth=2
	s_delay_alu instid0(VALU_DEP_2) | instskip(SKIP_2) | instid1(VALU_DEP_2)
	v_cmp_lt_u64_e32 vcc_lo, 0xffffff, v[52:53]
	v_add_nc_u32_e32 v1, 7, v4
	v_cndmask_b32_e64 v4, 0, 1, vcc_lo
	v_cndmask_b32_e32 v1, v6, v1, vcc_lo
	s_delay_alu instid0(VALU_DEP_2)
	v_lshrrev_b64 v[16:17], v4, v[52:53]
; %bb.11935:                            ;   in Loop: Header=BB6_11188 Depth=2
	s_and_not1_saveexec_b32 s7, s7
; %bb.11936:                            ;   in Loop: Header=BB6_11188 Depth=2
	v_mov_b64_e32 v[16:17], v[52:53]
	v_bfe_u32 v1, v52, 23, 1
; %bb.11937:                            ;   in Loop: Header=BB6_11188 Depth=2
	s_or_b32 exec_lo, exec_lo, s7
	s_delay_alu instid0(VALU_DEP_2) | instskip(NEXT) | instid1(VALU_DEP_2)
	v_lshrrev_b64 v[6:7], 20, v[16:17]
	v_cmp_gt_i32_e32 vcc_lo, 16, v1
	v_cmp_ne_u32_e64 s7, 0, v1
                                        ; implicit-def: $vgpr9
	s_delay_alu instid0(VALU_DEP_3) | instskip(NEXT) | instid1(VALU_DEP_1)
	v_dual_cndmask_b32 v17, 0, v7 :: v_dual_cndmask_b32 v16, 7, v6
	v_cmp_ne_u64_e32 vcc_lo, 0, v[16:17]
	s_or_b32 s7, s7, vcc_lo
	s_delay_alu instid0(SALU_CYCLE_1) | instskip(NEXT) | instid1(SALU_CYCLE_1)
	s_and_saveexec_b32 s41, s7
	s_xor_b32 s7, exec_lo, s41
; %bb.11938:                            ;   in Loop: Header=BB6_11188 Depth=2
	v_min_i32_e32 v1, 15, v1
	s_delay_alu instid0(VALU_DEP_1) | instskip(NEXT) | instid1(VALU_DEP_1)
	v_lshl_or_b32 v0, v1, 3, v0
	v_and_or_b32 v9, v16, 7, v0
                                        ; implicit-def: $vgpr0
; %bb.11939:                            ;   in Loop: Header=BB6_11188 Depth=2
	s_and_not1_saveexec_b32 s7, s7
; %bb.11940:                            ;   in Loop: Header=BB6_11188 Depth=2
	v_mov_b32_e32 v9, v0
; %bb.11941:                            ;   in Loop: Header=BB6_11188 Depth=2
	s_or_b32 exec_lo, exec_lo, s7
.LBB6_11942:                            ;   in Loop: Header=BB6_11188 Depth=2
	s_delay_alu instid0(SALU_CYCLE_1)
	s_or_b32 exec_lo, exec_lo, s40
                                        ; implicit-def: $vgpr0
.LBB6_11943:                            ;   in Loop: Header=BB6_11188 Depth=2
	s_and_not1_saveexec_b32 s7, s11
; %bb.11944:                            ;   in Loop: Header=BB6_11188 Depth=2
	v_or_b32_e32 v9, 0x7e, v0
; %bb.11945:                            ;   in Loop: Header=BB6_11188 Depth=2
	s_or_b32 exec_lo, exec_lo, s7
                                        ; implicit-def: $vgpr0
.LBB6_11946:                            ;   in Loop: Header=BB6_11188 Depth=2
	s_and_not1_saveexec_b32 s7, s10
; %bb.11947:                            ;   in Loop: Header=BB6_11188 Depth=2
	v_or_b32_e32 v9, 0x7f, v0
; %bb.11948:                            ;   in Loop: Header=BB6_11188 Depth=2
	s_or_b32 exec_lo, exec_lo, s7
	flat_load_u8 v0, v[10:11] offset:864 th:TH_LOAD_NT
	v_mov_b32_e32 v1, 0
	s_mov_b32 s7, exec_lo
	s_wait_loadcnt_dscnt 0x0
	s_wait_xcnt 0x0
	v_cmpx_ne_u16_e32 0, v0
	s_cbranch_execz .LBB6_11956
; %bb.11949:                            ;   in Loop: Header=BB6_11188 Depth=2
	v_bfrev_b32_e32 v1, 1
	s_mov_b32 s10, exec_lo
	v_cmpx_ne_u16_e32 0x80, v0
	s_cbranch_execz .LBB6_11955
; %bb.11950:                            ;   in Loop: Header=BB6_11188 Depth=2
	v_and_b32_e32 v6, 0xffff, v0
	v_mov_b32_e32 v1, 0x7f800001
	s_mov_b32 s11, exec_lo
	s_delay_alu instid0(VALU_DEP_2) | instskip(NEXT) | instid1(VALU_DEP_1)
	v_and_b32_e32 v4, 0x7f, v6
	v_cmpx_ne_u32_e32 0x7f, v4
	s_cbranch_execz .LBB6_11954
; %bb.11951:                            ;   in Loop: Header=BB6_11188 Depth=2
	v_dual_lshrrev_b32 v1, 3, v4 :: v_dual_bitop2_b32 v52, 7, v6 bitop3:0x40
	s_mov_b32 s40, exec_lo
	s_delay_alu instid0(VALU_DEP_1)
	v_mov_b64_e32 v[16:17], v[52:53]
	v_cmpx_gt_u32_e32 8, v4
; %bb.11952:                            ;   in Loop: Header=BB6_11188 Depth=2
	v_clz_i32_u32_e32 v1, v52
	s_delay_alu instid0(VALU_DEP_1) | instskip(NEXT) | instid1(VALU_DEP_1)
	v_min_u32_e32 v1, 32, v1
	v_subrev_nc_u32_e32 v4, 28, v1
	s_delay_alu instid0(VALU_DEP_1) | instskip(NEXT) | instid1(VALU_DEP_1)
	v_lshlrev_b64_e32 v[6:7], v4, v[52:53]
	v_dual_sub_nc_u32 v1, 29, v1 :: v_dual_bitop2_b32 v16, 7, v6 bitop3:0x40
; %bb.11953:                            ;   in Loop: Header=BB6_11188 Depth=2
	s_or_b32 exec_lo, exec_lo, s40
	v_lshlrev_b32_e32 v0, 24, v0
	s_delay_alu instid0(VALU_DEP_2) | instskip(NEXT) | instid1(VALU_DEP_3)
	v_lshlrev_b32_e32 v4, 20, v16
	v_lshl_add_u32 v1, v1, 23, 0x3c000000
	s_delay_alu instid0(VALU_DEP_3) | instskip(NEXT) | instid1(VALU_DEP_1)
	v_and_b32_e32 v0, 0x80000000, v0
	v_or3_b32 v1, v4, v0, v1
.LBB6_11954:                            ;   in Loop: Header=BB6_11188 Depth=2
	s_or_b32 exec_lo, exec_lo, s11
.LBB6_11955:                            ;   in Loop: Header=BB6_11188 Depth=2
	s_delay_alu instid0(SALU_CYCLE_1)
	s_or_b32 exec_lo, exec_lo, s10
.LBB6_11956:                            ;   in Loop: Header=BB6_11188 Depth=2
	s_delay_alu instid0(SALU_CYCLE_1) | instskip(NEXT) | instid1(VALU_DEP_1)
	s_or_b32 exec_lo, exec_lo, s7
	v_mul_f32_e32 v1, s29, v1
                                        ; implicit-def: $vgpr8
	s_mov_b32 s7, exec_lo
	s_delay_alu instid0(VALU_DEP_1) | instskip(SKIP_1) | instid1(VALU_DEP_2)
	v_and_b32_e32 v52, 0x7f800000, v1
	v_lshrrev_b32_e32 v0, 24, v1
	v_cmpx_ne_u64_e32 0x7f800000, v[52:53]
	s_xor_b32 s10, exec_lo, s7
	s_cbranch_execz .LBB6_11974
; %bb.11957:                            ;   in Loop: Header=BB6_11188 Depth=2
	v_and_b32_e32 v52, 0x7fffffff, v1
	v_and_b32_e32 v0, 0x80, v0
                                        ; implicit-def: $vgpr8
	s_mov_b32 s7, exec_lo
	s_delay_alu instid0(VALU_DEP_2)
	v_cmpx_gt_u64_e32 0x43e00001, v[52:53]
	s_xor_b32 s11, exec_lo, s7
	s_cbranch_execz .LBB6_11971
; %bb.11958:                            ;   in Loop: Header=BB6_11188 Depth=2
	v_mov_b32_e32 v8, 0
	s_mov_b32 s40, exec_lo
	v_cmpx_ne_u32_e32 0, v1
	s_cbranch_execz .LBB6_11970
; %bb.11959:                            ;   in Loop: Header=BB6_11188 Depth=2
	v_bfe_u32 v4, v1, 23, 8
	v_and_b32_e32 v1, 0x7fffff, v1
	s_delay_alu instid0(VALU_DEP_2) | instskip(SKIP_1) | instid1(VALU_DEP_3)
	v_sub_nc_u32_e32 v6, 0x79, v4
	v_cmp_gt_u32_e32 vcc_lo, 0x7a, v4
	v_or_b32_e32 v8, 0x800000, v1
	s_delay_alu instid0(VALU_DEP_3) | instskip(SKIP_1) | instid1(VALU_DEP_3)
	v_cndmask_b32_e32 v6, 0, v6, vcc_lo
	v_cmp_eq_u32_e32 vcc_lo, 0, v4
	v_cndmask_b32_e32 v52, v8, v1, vcc_lo
	s_delay_alu instid0(VALU_DEP_3) | instskip(NEXT) | instid1(VALU_DEP_1)
	v_cndmask_b32_e64 v6, v6, 0x78, vcc_lo
	v_add_nc_u32_e32 v7, 20, v6
	s_delay_alu instid0(VALU_DEP_1) | instskip(SKIP_1) | instid1(VALU_DEP_1)
	v_lshlrev_b64_e64 v[16:17], v7, -1
	v_add_nc_u32_e32 v7, 19, v6
	v_lshlrev_b64_e64 v[18:19], v7, 1
	s_delay_alu instid0(VALU_DEP_3) | instskip(NEXT) | instid1(VALU_DEP_4)
	v_bfi_b32 v115, v17, 0, 0
	v_bfi_b32 v114, v16, 0, v52
	v_lshrrev_b64 v[16:17], v6, v[52:53]
	s_delay_alu instid0(VALU_DEP_2) | instskip(NEXT) | instid1(VALU_DEP_2)
	v_cmp_eq_u64_e64 s7, v[114:115], v[18:19]
	v_mov_b64_e32 v[18:19], v[16:17]
	s_and_saveexec_b32 s41, s7
; %bb.11960:                            ;   in Loop: Header=BB6_11188 Depth=2
	v_bfe_u32 v52, v16, 20, 1
	s_delay_alu instid0(VALU_DEP_1) | instskip(NEXT) | instid1(VALU_DEP_1)
	v_add_nc_u64_e32 v[18:19], v[16:17], v[52:53]
	v_add_nc_u64_e32 v[18:19], -1, v[18:19]
; %bb.11961:                            ;   in Loop: Header=BB6_11188 Depth=2
	s_or_b32 exec_lo, exec_lo, s41
	v_add_nc_u32_e32 v1, 0xffffff81, v4
	v_lshrrev_b32_e32 v4, 23, v16
	s_mov_b32 s7, exec_lo
	s_delay_alu instid0(VALU_DEP_2) | instskip(NEXT) | instid1(VALU_DEP_1)
	v_cndmask_b32_e64 v1, v1, 0xffffff82, vcc_lo
	v_add3_u32 v4, v6, v1, v4
	v_and_b32_e32 v1, 0xfffff, v18
	s_delay_alu instid0(VALU_DEP_2) | instskip(NEXT) | instid1(VALU_DEP_2)
	v_add_nc_u32_e32 v6, 6, v4
	v_add_nc_u32_e32 v52, v1, v16
                                        ; implicit-def: $vgpr16_vgpr17
                                        ; implicit-def: $vgpr1
	s_delay_alu instid0(VALU_DEP_2)
	v_cmpx_ne_u32_e32 0, v6
	s_xor_b32 s7, exec_lo, s7
; %bb.11962:                            ;   in Loop: Header=BB6_11188 Depth=2
	s_delay_alu instid0(VALU_DEP_2) | instskip(SKIP_2) | instid1(VALU_DEP_2)
	v_cmp_lt_u64_e32 vcc_lo, 0xffffff, v[52:53]
	v_add_nc_u32_e32 v1, 7, v4
	v_cndmask_b32_e64 v4, 0, 1, vcc_lo
	v_cndmask_b32_e32 v1, v6, v1, vcc_lo
	s_delay_alu instid0(VALU_DEP_2)
	v_lshrrev_b64 v[16:17], v4, v[52:53]
; %bb.11963:                            ;   in Loop: Header=BB6_11188 Depth=2
	s_and_not1_saveexec_b32 s7, s7
; %bb.11964:                            ;   in Loop: Header=BB6_11188 Depth=2
	v_mov_b64_e32 v[16:17], v[52:53]
	v_bfe_u32 v1, v52, 23, 1
; %bb.11965:                            ;   in Loop: Header=BB6_11188 Depth=2
	s_or_b32 exec_lo, exec_lo, s7
	s_delay_alu instid0(VALU_DEP_2) | instskip(NEXT) | instid1(VALU_DEP_2)
	v_lshrrev_b64 v[6:7], 20, v[16:17]
	v_cmp_gt_i32_e32 vcc_lo, 16, v1
	v_cmp_ne_u32_e64 s7, 0, v1
                                        ; implicit-def: $vgpr8
	s_delay_alu instid0(VALU_DEP_3) | instskip(NEXT) | instid1(VALU_DEP_1)
	v_dual_cndmask_b32 v17, 0, v7 :: v_dual_cndmask_b32 v16, 7, v6
	v_cmp_ne_u64_e32 vcc_lo, 0, v[16:17]
	s_or_b32 s7, s7, vcc_lo
	s_delay_alu instid0(SALU_CYCLE_1) | instskip(NEXT) | instid1(SALU_CYCLE_1)
	s_and_saveexec_b32 s41, s7
	s_xor_b32 s7, exec_lo, s41
; %bb.11966:                            ;   in Loop: Header=BB6_11188 Depth=2
	v_min_i32_e32 v1, 15, v1
	s_delay_alu instid0(VALU_DEP_1) | instskip(NEXT) | instid1(VALU_DEP_1)
	v_lshl_or_b32 v0, v1, 3, v0
	v_and_or_b32 v8, v16, 7, v0
                                        ; implicit-def: $vgpr0
; %bb.11967:                            ;   in Loop: Header=BB6_11188 Depth=2
	s_and_not1_saveexec_b32 s7, s7
; %bb.11968:                            ;   in Loop: Header=BB6_11188 Depth=2
	v_mov_b32_e32 v8, v0
; %bb.11969:                            ;   in Loop: Header=BB6_11188 Depth=2
	s_or_b32 exec_lo, exec_lo, s7
.LBB6_11970:                            ;   in Loop: Header=BB6_11188 Depth=2
	s_delay_alu instid0(SALU_CYCLE_1)
	s_or_b32 exec_lo, exec_lo, s40
                                        ; implicit-def: $vgpr0
.LBB6_11971:                            ;   in Loop: Header=BB6_11188 Depth=2
	s_and_not1_saveexec_b32 s7, s11
; %bb.11972:                            ;   in Loop: Header=BB6_11188 Depth=2
	v_or_b32_e32 v8, 0x7e, v0
; %bb.11973:                            ;   in Loop: Header=BB6_11188 Depth=2
	s_or_b32 exec_lo, exec_lo, s7
                                        ; implicit-def: $vgpr0
.LBB6_11974:                            ;   in Loop: Header=BB6_11188 Depth=2
	s_and_not1_saveexec_b32 s7, s10
; %bb.11975:                            ;   in Loop: Header=BB6_11188 Depth=2
	v_or_b32_e32 v8, 0x7f, v0
; %bb.11976:                            ;   in Loop: Header=BB6_11188 Depth=2
	s_or_b32 exec_lo, exec_lo, s7
	flat_load_u8 v0, v[10:11] offset:896 th:TH_LOAD_NT
	v_mov_b32_e32 v1, 0
	s_mov_b32 s7, exec_lo
	s_wait_loadcnt_dscnt 0x0
	s_wait_xcnt 0x0
	v_cmpx_ne_u16_e32 0, v0
	s_cbranch_execz .LBB6_11984
; %bb.11977:                            ;   in Loop: Header=BB6_11188 Depth=2
	v_bfrev_b32_e32 v1, 1
	s_mov_b32 s10, exec_lo
	v_cmpx_ne_u16_e32 0x80, v0
	s_cbranch_execz .LBB6_11983
; %bb.11978:                            ;   in Loop: Header=BB6_11188 Depth=2
	v_and_b32_e32 v6, 0xffff, v0
	v_mov_b32_e32 v1, 0x7f800001
	s_mov_b32 s11, exec_lo
	s_delay_alu instid0(VALU_DEP_2) | instskip(NEXT) | instid1(VALU_DEP_1)
	v_and_b32_e32 v4, 0x7f, v6
	v_cmpx_ne_u32_e32 0x7f, v4
	s_cbranch_execz .LBB6_11982
; %bb.11979:                            ;   in Loop: Header=BB6_11188 Depth=2
	v_dual_lshrrev_b32 v1, 3, v4 :: v_dual_bitop2_b32 v52, 7, v6 bitop3:0x40
	s_mov_b32 s40, exec_lo
	s_delay_alu instid0(VALU_DEP_1)
	v_mov_b64_e32 v[16:17], v[52:53]
	v_cmpx_gt_u32_e32 8, v4
; %bb.11980:                            ;   in Loop: Header=BB6_11188 Depth=2
	v_clz_i32_u32_e32 v1, v52
	s_delay_alu instid0(VALU_DEP_1) | instskip(NEXT) | instid1(VALU_DEP_1)
	v_min_u32_e32 v1, 32, v1
	v_subrev_nc_u32_e32 v4, 28, v1
	s_delay_alu instid0(VALU_DEP_1) | instskip(NEXT) | instid1(VALU_DEP_1)
	v_lshlrev_b64_e32 v[6:7], v4, v[52:53]
	v_dual_sub_nc_u32 v1, 29, v1 :: v_dual_bitop2_b32 v16, 7, v6 bitop3:0x40
; %bb.11981:                            ;   in Loop: Header=BB6_11188 Depth=2
	s_or_b32 exec_lo, exec_lo, s40
	v_lshlrev_b32_e32 v0, 24, v0
	s_delay_alu instid0(VALU_DEP_2) | instskip(NEXT) | instid1(VALU_DEP_3)
	v_lshlrev_b32_e32 v4, 20, v16
	v_lshl_add_u32 v1, v1, 23, 0x3c000000
	s_delay_alu instid0(VALU_DEP_3) | instskip(NEXT) | instid1(VALU_DEP_1)
	v_and_b32_e32 v0, 0x80000000, v0
	v_or3_b32 v1, v4, v0, v1
.LBB6_11982:                            ;   in Loop: Header=BB6_11188 Depth=2
	s_or_b32 exec_lo, exec_lo, s11
.LBB6_11983:                            ;   in Loop: Header=BB6_11188 Depth=2
	s_delay_alu instid0(SALU_CYCLE_1)
	s_or_b32 exec_lo, exec_lo, s10
.LBB6_11984:                            ;   in Loop: Header=BB6_11188 Depth=2
	s_delay_alu instid0(SALU_CYCLE_1) | instskip(NEXT) | instid1(VALU_DEP_1)
	s_or_b32 exec_lo, exec_lo, s7
	v_mul_f32_e32 v1, s29, v1
                                        ; implicit-def: $vgpr7
	s_mov_b32 s7, exec_lo
	s_delay_alu instid0(VALU_DEP_1) | instskip(SKIP_1) | instid1(VALU_DEP_2)
	v_and_b32_e32 v52, 0x7f800000, v1
	v_lshrrev_b32_e32 v0, 24, v1
	v_cmpx_ne_u64_e32 0x7f800000, v[52:53]
	s_xor_b32 s10, exec_lo, s7
	s_cbranch_execz .LBB6_12002
; %bb.11985:                            ;   in Loop: Header=BB6_11188 Depth=2
	v_and_b32_e32 v52, 0x7fffffff, v1
	v_and_b32_e32 v0, 0x80, v0
                                        ; implicit-def: $vgpr7
	s_mov_b32 s7, exec_lo
	s_delay_alu instid0(VALU_DEP_2)
	v_cmpx_gt_u64_e32 0x43e00001, v[52:53]
	s_xor_b32 s11, exec_lo, s7
	s_cbranch_execz .LBB6_11999
; %bb.11986:                            ;   in Loop: Header=BB6_11188 Depth=2
	v_mov_b32_e32 v7, 0
	s_mov_b32 s40, exec_lo
	v_cmpx_ne_u32_e32 0, v1
	s_cbranch_execz .LBB6_11998
; %bb.11987:                            ;   in Loop: Header=BB6_11188 Depth=2
	v_bfe_u32 v4, v1, 23, 8
	v_and_b32_e32 v1, 0x7fffff, v1
	s_delay_alu instid0(VALU_DEP_2) | instskip(SKIP_1) | instid1(VALU_DEP_3)
	v_sub_nc_u32_e32 v6, 0x79, v4
	v_cmp_gt_u32_e32 vcc_lo, 0x7a, v4
	v_or_b32_e32 v18, 0x800000, v1
	s_delay_alu instid0(VALU_DEP_3) | instskip(SKIP_1) | instid1(VALU_DEP_3)
	v_cndmask_b32_e32 v6, 0, v6, vcc_lo
	v_cmp_eq_u32_e32 vcc_lo, 0, v4
	v_cndmask_b32_e32 v52, v18, v1, vcc_lo
	s_delay_alu instid0(VALU_DEP_3) | instskip(NEXT) | instid1(VALU_DEP_1)
	v_cndmask_b32_e64 v6, v6, 0x78, vcc_lo
	v_add_nc_u32_e32 v7, 20, v6
	s_delay_alu instid0(VALU_DEP_1) | instskip(SKIP_1) | instid1(VALU_DEP_1)
	v_lshlrev_b64_e64 v[16:17], v7, -1
	v_add_nc_u32_e32 v7, 19, v6
	v_lshlrev_b64_e64 v[18:19], v7, 1
	s_delay_alu instid0(VALU_DEP_3) | instskip(NEXT) | instid1(VALU_DEP_4)
	v_bfi_b32 v115, v17, 0, 0
	v_bfi_b32 v114, v16, 0, v52
	v_lshrrev_b64 v[16:17], v6, v[52:53]
	s_delay_alu instid0(VALU_DEP_2) | instskip(NEXT) | instid1(VALU_DEP_2)
	v_cmp_eq_u64_e64 s7, v[114:115], v[18:19]
	v_mov_b64_e32 v[18:19], v[16:17]
	s_and_saveexec_b32 s41, s7
; %bb.11988:                            ;   in Loop: Header=BB6_11188 Depth=2
	v_bfe_u32 v52, v16, 20, 1
	s_delay_alu instid0(VALU_DEP_1) | instskip(NEXT) | instid1(VALU_DEP_1)
	v_add_nc_u64_e32 v[18:19], v[16:17], v[52:53]
	v_add_nc_u64_e32 v[18:19], -1, v[18:19]
; %bb.11989:                            ;   in Loop: Header=BB6_11188 Depth=2
	s_or_b32 exec_lo, exec_lo, s41
	v_add_nc_u32_e32 v1, 0xffffff81, v4
	v_lshrrev_b32_e32 v4, 23, v16
	s_mov_b32 s7, exec_lo
	s_delay_alu instid0(VALU_DEP_2) | instskip(NEXT) | instid1(VALU_DEP_1)
	v_cndmask_b32_e64 v1, v1, 0xffffff82, vcc_lo
	v_add3_u32 v4, v6, v1, v4
	v_and_b32_e32 v1, 0xfffff, v18
	s_delay_alu instid0(VALU_DEP_2) | instskip(NEXT) | instid1(VALU_DEP_2)
	v_add_nc_u32_e32 v6, 6, v4
	v_add_nc_u32_e32 v52, v1, v16
                                        ; implicit-def: $vgpr16_vgpr17
                                        ; implicit-def: $vgpr1
	s_delay_alu instid0(VALU_DEP_2)
	v_cmpx_ne_u32_e32 0, v6
	s_xor_b32 s7, exec_lo, s7
; %bb.11990:                            ;   in Loop: Header=BB6_11188 Depth=2
	s_delay_alu instid0(VALU_DEP_2) | instskip(SKIP_2) | instid1(VALU_DEP_2)
	v_cmp_lt_u64_e32 vcc_lo, 0xffffff, v[52:53]
	v_add_nc_u32_e32 v1, 7, v4
	v_cndmask_b32_e64 v4, 0, 1, vcc_lo
	v_cndmask_b32_e32 v1, v6, v1, vcc_lo
	s_delay_alu instid0(VALU_DEP_2)
	v_lshrrev_b64 v[16:17], v4, v[52:53]
; %bb.11991:                            ;   in Loop: Header=BB6_11188 Depth=2
	s_and_not1_saveexec_b32 s7, s7
; %bb.11992:                            ;   in Loop: Header=BB6_11188 Depth=2
	v_mov_b64_e32 v[16:17], v[52:53]
	v_bfe_u32 v1, v52, 23, 1
; %bb.11993:                            ;   in Loop: Header=BB6_11188 Depth=2
	s_or_b32 exec_lo, exec_lo, s7
	s_delay_alu instid0(VALU_DEP_2) | instskip(NEXT) | instid1(VALU_DEP_2)
	v_lshrrev_b64 v[6:7], 20, v[16:17]
	v_cmp_gt_i32_e32 vcc_lo, 16, v1
	v_cmp_ne_u32_e64 s7, 0, v1
	s_delay_alu instid0(VALU_DEP_3) | instskip(NEXT) | instid1(VALU_DEP_1)
	v_dual_cndmask_b32 v17, 0, v7 :: v_dual_cndmask_b32 v16, 7, v6
                                        ; implicit-def: $vgpr7
	v_cmp_ne_u64_e32 vcc_lo, 0, v[16:17]
	s_or_b32 s7, s7, vcc_lo
	s_delay_alu instid0(SALU_CYCLE_1) | instskip(NEXT) | instid1(SALU_CYCLE_1)
	s_and_saveexec_b32 s41, s7
	s_xor_b32 s7, exec_lo, s41
; %bb.11994:                            ;   in Loop: Header=BB6_11188 Depth=2
	v_min_i32_e32 v1, 15, v1
	s_delay_alu instid0(VALU_DEP_1) | instskip(NEXT) | instid1(VALU_DEP_1)
	v_lshl_or_b32 v0, v1, 3, v0
	v_and_or_b32 v7, v16, 7, v0
                                        ; implicit-def: $vgpr0
; %bb.11995:                            ;   in Loop: Header=BB6_11188 Depth=2
	s_and_not1_saveexec_b32 s7, s7
; %bb.11996:                            ;   in Loop: Header=BB6_11188 Depth=2
	v_mov_b32_e32 v7, v0
; %bb.11997:                            ;   in Loop: Header=BB6_11188 Depth=2
	s_or_b32 exec_lo, exec_lo, s7
.LBB6_11998:                            ;   in Loop: Header=BB6_11188 Depth=2
	s_delay_alu instid0(SALU_CYCLE_1)
	s_or_b32 exec_lo, exec_lo, s40
                                        ; implicit-def: $vgpr0
.LBB6_11999:                            ;   in Loop: Header=BB6_11188 Depth=2
	s_and_not1_saveexec_b32 s7, s11
; %bb.12000:                            ;   in Loop: Header=BB6_11188 Depth=2
	v_or_b32_e32 v7, 0x7e, v0
; %bb.12001:                            ;   in Loop: Header=BB6_11188 Depth=2
	s_or_b32 exec_lo, exec_lo, s7
                                        ; implicit-def: $vgpr0
.LBB6_12002:                            ;   in Loop: Header=BB6_11188 Depth=2
	s_and_not1_saveexec_b32 s7, s10
; %bb.12003:                            ;   in Loop: Header=BB6_11188 Depth=2
	v_or_b32_e32 v7, 0x7f, v0
; %bb.12004:                            ;   in Loop: Header=BB6_11188 Depth=2
	s_or_b32 exec_lo, exec_lo, s7
	flat_load_u8 v0, v[10:11] offset:928 th:TH_LOAD_NT
	v_mov_b32_e32 v1, 0
	s_mov_b32 s7, exec_lo
	s_wait_loadcnt_dscnt 0x0
	s_wait_xcnt 0x0
	v_cmpx_ne_u16_e32 0, v0
	s_cbranch_execz .LBB6_12012
; %bb.12005:                            ;   in Loop: Header=BB6_11188 Depth=2
	v_bfrev_b32_e32 v1, 1
	s_mov_b32 s10, exec_lo
	v_cmpx_ne_u16_e32 0x80, v0
	s_cbranch_execz .LBB6_12011
; %bb.12006:                            ;   in Loop: Header=BB6_11188 Depth=2
	v_and_b32_e32 v6, 0xffff, v0
	v_mov_b32_e32 v1, 0x7f800001
	s_mov_b32 s11, exec_lo
	s_delay_alu instid0(VALU_DEP_2) | instskip(NEXT) | instid1(VALU_DEP_1)
	v_and_b32_e32 v4, 0x7f, v6
	v_cmpx_ne_u32_e32 0x7f, v4
	s_cbranch_execz .LBB6_12010
; %bb.12007:                            ;   in Loop: Header=BB6_11188 Depth=2
	v_dual_lshrrev_b32 v1, 3, v4 :: v_dual_bitop2_b32 v52, 7, v6 bitop3:0x40
	s_mov_b32 s40, exec_lo
	s_delay_alu instid0(VALU_DEP_1)
	v_mov_b64_e32 v[16:17], v[52:53]
	v_cmpx_gt_u32_e32 8, v4
; %bb.12008:                            ;   in Loop: Header=BB6_11188 Depth=2
	v_clz_i32_u32_e32 v1, v52
	s_delay_alu instid0(VALU_DEP_1) | instskip(NEXT) | instid1(VALU_DEP_1)
	v_min_u32_e32 v1, 32, v1
	v_subrev_nc_u32_e32 v4, 28, v1
	s_delay_alu instid0(VALU_DEP_1) | instskip(NEXT) | instid1(VALU_DEP_1)
	v_lshlrev_b64_e32 v[16:17], v4, v[52:53]
	v_dual_sub_nc_u32 v1, 29, v1 :: v_dual_bitop2_b32 v16, 7, v16 bitop3:0x40
; %bb.12009:                            ;   in Loop: Header=BB6_11188 Depth=2
	s_or_b32 exec_lo, exec_lo, s40
	v_lshlrev_b32_e32 v0, 24, v0
	s_delay_alu instid0(VALU_DEP_2) | instskip(NEXT) | instid1(VALU_DEP_3)
	v_lshlrev_b32_e32 v4, 20, v16
	v_lshl_add_u32 v1, v1, 23, 0x3c000000
	s_delay_alu instid0(VALU_DEP_3) | instskip(NEXT) | instid1(VALU_DEP_1)
	v_and_b32_e32 v0, 0x80000000, v0
	v_or3_b32 v1, v4, v0, v1
.LBB6_12010:                            ;   in Loop: Header=BB6_11188 Depth=2
	s_or_b32 exec_lo, exec_lo, s11
.LBB6_12011:                            ;   in Loop: Header=BB6_11188 Depth=2
	s_delay_alu instid0(SALU_CYCLE_1)
	s_or_b32 exec_lo, exec_lo, s10
.LBB6_12012:                            ;   in Loop: Header=BB6_11188 Depth=2
	s_delay_alu instid0(SALU_CYCLE_1) | instskip(NEXT) | instid1(VALU_DEP_1)
	s_or_b32 exec_lo, exec_lo, s7
	v_mul_f32_e32 v1, s29, v1
                                        ; implicit-def: $vgpr6
	s_mov_b32 s7, exec_lo
	s_delay_alu instid0(VALU_DEP_1) | instskip(SKIP_1) | instid1(VALU_DEP_2)
	v_and_b32_e32 v52, 0x7f800000, v1
	v_lshrrev_b32_e32 v0, 24, v1
	v_cmpx_ne_u64_e32 0x7f800000, v[52:53]
	s_xor_b32 s10, exec_lo, s7
	s_cbranch_execz .LBB6_12030
; %bb.12013:                            ;   in Loop: Header=BB6_11188 Depth=2
	v_and_b32_e32 v52, 0x7fffffff, v1
	v_and_b32_e32 v0, 0x80, v0
                                        ; implicit-def: $vgpr6
	s_mov_b32 s7, exec_lo
	s_delay_alu instid0(VALU_DEP_2)
	v_cmpx_gt_u64_e32 0x43e00001, v[52:53]
	s_xor_b32 s11, exec_lo, s7
	s_cbranch_execz .LBB6_12027
; %bb.12014:                            ;   in Loop: Header=BB6_11188 Depth=2
	v_mov_b32_e32 v6, 0
	s_mov_b32 s40, exec_lo
	v_cmpx_ne_u32_e32 0, v1
	s_cbranch_execz .LBB6_12026
; %bb.12015:                            ;   in Loop: Header=BB6_11188 Depth=2
	v_bfe_u32 v4, v1, 23, 8
	v_and_b32_e32 v1, 0x7fffff, v1
	s_delay_alu instid0(VALU_DEP_2) | instskip(SKIP_1) | instid1(VALU_DEP_3)
	v_sub_nc_u32_e32 v6, 0x79, v4
	v_cmp_gt_u32_e32 vcc_lo, 0x7a, v4
	v_or_b32_e32 v18, 0x800000, v1
	s_delay_alu instid0(VALU_DEP_3) | instskip(SKIP_1) | instid1(VALU_DEP_3)
	v_cndmask_b32_e32 v6, 0, v6, vcc_lo
	v_cmp_eq_u32_e32 vcc_lo, 0, v4
	v_cndmask_b32_e32 v52, v18, v1, vcc_lo
	s_delay_alu instid0(VALU_DEP_3) | instskip(NEXT) | instid1(VALU_DEP_1)
	v_cndmask_b32_e64 v6, v6, 0x78, vcc_lo
	v_dual_add_nc_u32 v16, 20, v6 :: v_dual_add_nc_u32 v19, 19, v6
	s_delay_alu instid0(VALU_DEP_1) | instskip(NEXT) | instid1(VALU_DEP_2)
	v_lshlrev_b64_e64 v[16:17], v16, -1
	v_lshlrev_b64_e64 v[18:19], v19, 1
	s_delay_alu instid0(VALU_DEP_2) | instskip(NEXT) | instid1(VALU_DEP_3)
	v_bfi_b32 v115, v17, 0, 0
	v_bfi_b32 v114, v16, 0, v52
	v_lshrrev_b64 v[16:17], v6, v[52:53]
	s_delay_alu instid0(VALU_DEP_2) | instskip(NEXT) | instid1(VALU_DEP_2)
	v_cmp_eq_u64_e64 s7, v[114:115], v[18:19]
	v_mov_b64_e32 v[18:19], v[16:17]
	s_and_saveexec_b32 s41, s7
; %bb.12016:                            ;   in Loop: Header=BB6_11188 Depth=2
	v_bfe_u32 v52, v16, 20, 1
	s_delay_alu instid0(VALU_DEP_1) | instskip(NEXT) | instid1(VALU_DEP_1)
	v_add_nc_u64_e32 v[18:19], v[16:17], v[52:53]
	v_add_nc_u64_e32 v[18:19], -1, v[18:19]
; %bb.12017:                            ;   in Loop: Header=BB6_11188 Depth=2
	s_or_b32 exec_lo, exec_lo, s41
	v_add_nc_u32_e32 v1, 0xffffff81, v4
	v_lshrrev_b32_e32 v4, 23, v16
	s_mov_b32 s7, exec_lo
	s_delay_alu instid0(VALU_DEP_2) | instskip(NEXT) | instid1(VALU_DEP_1)
	v_cndmask_b32_e64 v1, v1, 0xffffff82, vcc_lo
	v_add3_u32 v4, v6, v1, v4
	v_and_b32_e32 v1, 0xfffff, v18
	s_delay_alu instid0(VALU_DEP_2) | instskip(NEXT) | instid1(VALU_DEP_2)
	v_add_nc_u32_e32 v6, 6, v4
	v_add_nc_u32_e32 v52, v1, v16
                                        ; implicit-def: $vgpr16_vgpr17
                                        ; implicit-def: $vgpr1
	s_delay_alu instid0(VALU_DEP_2)
	v_cmpx_ne_u32_e32 0, v6
	s_xor_b32 s7, exec_lo, s7
; %bb.12018:                            ;   in Loop: Header=BB6_11188 Depth=2
	s_delay_alu instid0(VALU_DEP_2) | instskip(SKIP_2) | instid1(VALU_DEP_2)
	v_cmp_lt_u64_e32 vcc_lo, 0xffffff, v[52:53]
	v_add_nc_u32_e32 v1, 7, v4
	v_cndmask_b32_e64 v4, 0, 1, vcc_lo
	v_cndmask_b32_e32 v1, v6, v1, vcc_lo
	s_delay_alu instid0(VALU_DEP_2)
	v_lshrrev_b64 v[16:17], v4, v[52:53]
; %bb.12019:                            ;   in Loop: Header=BB6_11188 Depth=2
	s_and_not1_saveexec_b32 s7, s7
; %bb.12020:                            ;   in Loop: Header=BB6_11188 Depth=2
	v_mov_b64_e32 v[16:17], v[52:53]
	v_bfe_u32 v1, v52, 23, 1
; %bb.12021:                            ;   in Loop: Header=BB6_11188 Depth=2
	s_or_b32 exec_lo, exec_lo, s7
	s_delay_alu instid0(VALU_DEP_2) | instskip(NEXT) | instid1(VALU_DEP_2)
	v_lshrrev_b64 v[16:17], 20, v[16:17]
	v_cmp_gt_i32_e32 vcc_lo, 16, v1
	v_cmp_ne_u32_e64 s7, 0, v1
                                        ; implicit-def: $vgpr6
	s_delay_alu instid0(VALU_DEP_3) | instskip(NEXT) | instid1(VALU_DEP_1)
	v_dual_cndmask_b32 v17, 0, v17 :: v_dual_cndmask_b32 v16, 7, v16
	v_cmp_ne_u64_e32 vcc_lo, 0, v[16:17]
	s_or_b32 s7, s7, vcc_lo
	s_delay_alu instid0(SALU_CYCLE_1) | instskip(NEXT) | instid1(SALU_CYCLE_1)
	s_and_saveexec_b32 s41, s7
	s_xor_b32 s7, exec_lo, s41
; %bb.12022:                            ;   in Loop: Header=BB6_11188 Depth=2
	v_min_i32_e32 v1, 15, v1
	s_delay_alu instid0(VALU_DEP_1) | instskip(NEXT) | instid1(VALU_DEP_1)
	v_lshl_or_b32 v0, v1, 3, v0
	v_and_or_b32 v6, v16, 7, v0
                                        ; implicit-def: $vgpr0
; %bb.12023:                            ;   in Loop: Header=BB6_11188 Depth=2
	s_and_not1_saveexec_b32 s7, s7
; %bb.12024:                            ;   in Loop: Header=BB6_11188 Depth=2
	v_mov_b32_e32 v6, v0
; %bb.12025:                            ;   in Loop: Header=BB6_11188 Depth=2
	s_or_b32 exec_lo, exec_lo, s7
.LBB6_12026:                            ;   in Loop: Header=BB6_11188 Depth=2
	s_delay_alu instid0(SALU_CYCLE_1)
	s_or_b32 exec_lo, exec_lo, s40
                                        ; implicit-def: $vgpr0
.LBB6_12027:                            ;   in Loop: Header=BB6_11188 Depth=2
	s_and_not1_saveexec_b32 s7, s11
; %bb.12028:                            ;   in Loop: Header=BB6_11188 Depth=2
	v_or_b32_e32 v6, 0x7e, v0
; %bb.12029:                            ;   in Loop: Header=BB6_11188 Depth=2
	s_or_b32 exec_lo, exec_lo, s7
                                        ; implicit-def: $vgpr0
.LBB6_12030:                            ;   in Loop: Header=BB6_11188 Depth=2
	s_and_not1_saveexec_b32 s7, s10
; %bb.12031:                            ;   in Loop: Header=BB6_11188 Depth=2
	v_or_b32_e32 v6, 0x7f, v0
; %bb.12032:                            ;   in Loop: Header=BB6_11188 Depth=2
	s_or_b32 exec_lo, exec_lo, s7
	flat_load_u8 v0, v[10:11] offset:960 th:TH_LOAD_NT
	v_mov_b32_e32 v1, 0
	s_mov_b32 s7, exec_lo
	s_wait_loadcnt_dscnt 0x0
	s_wait_xcnt 0x0
	v_cmpx_ne_u16_e32 0, v0
	s_cbranch_execz .LBB6_12040
; %bb.12033:                            ;   in Loop: Header=BB6_11188 Depth=2
	v_bfrev_b32_e32 v1, 1
	s_mov_b32 s10, exec_lo
	v_cmpx_ne_u16_e32 0x80, v0
	s_cbranch_execz .LBB6_12039
; %bb.12034:                            ;   in Loop: Header=BB6_11188 Depth=2
	v_and_b32_e32 v16, 0xffff, v0
	v_mov_b32_e32 v1, 0x7f800001
	s_mov_b32 s11, exec_lo
	s_delay_alu instid0(VALU_DEP_2) | instskip(NEXT) | instid1(VALU_DEP_1)
	v_and_b32_e32 v4, 0x7f, v16
	v_cmpx_ne_u32_e32 0x7f, v4
	s_cbranch_execz .LBB6_12038
; %bb.12035:                            ;   in Loop: Header=BB6_11188 Depth=2
	v_and_b32_e32 v52, 7, v16
	v_lshrrev_b32_e32 v1, 3, v4
	s_mov_b32 s40, exec_lo
	s_delay_alu instid0(VALU_DEP_2)
	v_mov_b64_e32 v[16:17], v[52:53]
	v_cmpx_gt_u32_e32 8, v4
; %bb.12036:                            ;   in Loop: Header=BB6_11188 Depth=2
	v_clz_i32_u32_e32 v1, v52
	s_delay_alu instid0(VALU_DEP_1) | instskip(NEXT) | instid1(VALU_DEP_1)
	v_min_u32_e32 v1, 32, v1
	v_subrev_nc_u32_e32 v4, 28, v1
	s_delay_alu instid0(VALU_DEP_1) | instskip(NEXT) | instid1(VALU_DEP_1)
	v_lshlrev_b64_e32 v[16:17], v4, v[52:53]
	v_dual_sub_nc_u32 v1, 29, v1 :: v_dual_bitop2_b32 v16, 7, v16 bitop3:0x40
; %bb.12037:                            ;   in Loop: Header=BB6_11188 Depth=2
	s_or_b32 exec_lo, exec_lo, s40
	v_lshlrev_b32_e32 v0, 24, v0
	s_delay_alu instid0(VALU_DEP_2) | instskip(NEXT) | instid1(VALU_DEP_3)
	v_lshlrev_b32_e32 v4, 20, v16
	v_lshl_add_u32 v1, v1, 23, 0x3c000000
	s_delay_alu instid0(VALU_DEP_3) | instskip(NEXT) | instid1(VALU_DEP_1)
	v_and_b32_e32 v0, 0x80000000, v0
	v_or3_b32 v1, v4, v0, v1
.LBB6_12038:                            ;   in Loop: Header=BB6_11188 Depth=2
	s_or_b32 exec_lo, exec_lo, s11
.LBB6_12039:                            ;   in Loop: Header=BB6_11188 Depth=2
	s_delay_alu instid0(SALU_CYCLE_1)
	s_or_b32 exec_lo, exec_lo, s10
.LBB6_12040:                            ;   in Loop: Header=BB6_11188 Depth=2
	s_delay_alu instid0(SALU_CYCLE_1) | instskip(NEXT) | instid1(VALU_DEP_1)
	s_or_b32 exec_lo, exec_lo, s7
	v_mul_f32_e32 v1, s29, v1
                                        ; implicit-def: $vgpr4
	s_mov_b32 s7, exec_lo
	s_delay_alu instid0(VALU_DEP_1) | instskip(SKIP_1) | instid1(VALU_DEP_2)
	v_and_b32_e32 v52, 0x7f800000, v1
	v_lshrrev_b32_e32 v0, 24, v1
	v_cmpx_ne_u64_e32 0x7f800000, v[52:53]
	s_xor_b32 s10, exec_lo, s7
	s_cbranch_execz .LBB6_12058
; %bb.12041:                            ;   in Loop: Header=BB6_11188 Depth=2
	v_and_b32_e32 v52, 0x7fffffff, v1
	v_and_b32_e32 v0, 0x80, v0
                                        ; implicit-def: $vgpr4
	s_mov_b32 s7, exec_lo
	s_delay_alu instid0(VALU_DEP_2)
	v_cmpx_gt_u64_e32 0x43e00001, v[52:53]
	s_xor_b32 s11, exec_lo, s7
	s_cbranch_execz .LBB6_12055
; %bb.12042:                            ;   in Loop: Header=BB6_11188 Depth=2
	v_mov_b32_e32 v4, 0
	s_mov_b32 s40, exec_lo
	v_cmpx_ne_u32_e32 0, v1
	s_cbranch_execz .LBB6_12054
; %bb.12043:                            ;   in Loop: Header=BB6_11188 Depth=2
	v_bfe_u32 v4, v1, 23, 8
	v_and_b32_e32 v1, 0x7fffff, v1
	s_delay_alu instid0(VALU_DEP_2) | instskip(SKIP_1) | instid1(VALU_DEP_3)
	v_sub_nc_u32_e32 v16, 0x79, v4
	v_cmp_gt_u32_e32 vcc_lo, 0x7a, v4
	v_or_b32_e32 v18, 0x800000, v1
	s_delay_alu instid0(VALU_DEP_3) | instskip(SKIP_1) | instid1(VALU_DEP_2)
	v_cndmask_b32_e32 v16, 0, v16, vcc_lo
	v_cmp_eq_u32_e32 vcc_lo, 0, v4
	v_cndmask_b32_e64 v23, v16, 0x78, vcc_lo
	s_delay_alu instid0(VALU_DEP_1) | instskip(SKIP_1) | instid1(VALU_DEP_2)
	v_dual_cndmask_b32 v52, v18, v1, vcc_lo :: v_dual_add_nc_u32 v16, 20, v23
	v_add_nc_u32_e32 v19, 19, v23
	v_lshlrev_b64_e64 v[16:17], v16, -1
	s_delay_alu instid0(VALU_DEP_2) | instskip(NEXT) | instid1(VALU_DEP_2)
	v_lshlrev_b64_e64 v[18:19], v19, 1
	v_bfi_b32 v115, v17, 0, 0
	s_delay_alu instid0(VALU_DEP_3) | instskip(SKIP_1) | instid1(VALU_DEP_2)
	v_bfi_b32 v114, v16, 0, v52
	v_lshrrev_b64 v[16:17], v23, v[52:53]
	v_cmp_eq_u64_e64 s7, v[114:115], v[18:19]
	s_delay_alu instid0(VALU_DEP_2)
	v_mov_b64_e32 v[18:19], v[16:17]
	s_and_saveexec_b32 s41, s7
; %bb.12044:                            ;   in Loop: Header=BB6_11188 Depth=2
	v_bfe_u32 v52, v16, 20, 1
	s_delay_alu instid0(VALU_DEP_1) | instskip(NEXT) | instid1(VALU_DEP_1)
	v_add_nc_u64_e32 v[18:19], v[16:17], v[52:53]
	v_add_nc_u64_e32 v[18:19], -1, v[18:19]
; %bb.12045:                            ;   in Loop: Header=BB6_11188 Depth=2
	s_or_b32 exec_lo, exec_lo, s41
	v_add_nc_u32_e32 v1, 0xffffff81, v4
	v_lshrrev_b32_e32 v4, 23, v16
	s_mov_b32 s7, exec_lo
	s_delay_alu instid0(VALU_DEP_2) | instskip(NEXT) | instid1(VALU_DEP_1)
	v_cndmask_b32_e64 v1, v1, 0xffffff82, vcc_lo
	v_add3_u32 v4, v23, v1, v4
	v_and_b32_e32 v1, 0xfffff, v18
	s_delay_alu instid0(VALU_DEP_2) | instskip(NEXT) | instid1(VALU_DEP_2)
	v_add_nc_u32_e32 v18, 6, v4
	v_add_nc_u32_e32 v52, v1, v16
                                        ; implicit-def: $vgpr16_vgpr17
                                        ; implicit-def: $vgpr1
	s_delay_alu instid0(VALU_DEP_2)
	v_cmpx_ne_u32_e32 0, v18
	s_xor_b32 s7, exec_lo, s7
; %bb.12046:                            ;   in Loop: Header=BB6_11188 Depth=2
	s_delay_alu instid0(VALU_DEP_2) | instskip(SKIP_2) | instid1(VALU_DEP_2)
	v_cmp_lt_u64_e32 vcc_lo, 0xffffff, v[52:53]
	v_add_nc_u32_e32 v1, 7, v4
	v_cndmask_b32_e64 v4, 0, 1, vcc_lo
	v_cndmask_b32_e32 v1, v18, v1, vcc_lo
	s_delay_alu instid0(VALU_DEP_2)
	v_lshrrev_b64 v[16:17], v4, v[52:53]
; %bb.12047:                            ;   in Loop: Header=BB6_11188 Depth=2
	s_and_not1_saveexec_b32 s7, s7
; %bb.12048:                            ;   in Loop: Header=BB6_11188 Depth=2
	v_mov_b64_e32 v[16:17], v[52:53]
	v_bfe_u32 v1, v52, 23, 1
; %bb.12049:                            ;   in Loop: Header=BB6_11188 Depth=2
	s_or_b32 exec_lo, exec_lo, s7
	s_delay_alu instid0(VALU_DEP_2) | instskip(NEXT) | instid1(VALU_DEP_2)
	v_lshrrev_b64 v[16:17], 20, v[16:17]
	v_cmp_gt_i32_e32 vcc_lo, 16, v1
	v_cmp_ne_u32_e64 s7, 0, v1
                                        ; implicit-def: $vgpr4
	s_delay_alu instid0(VALU_DEP_3) | instskip(NEXT) | instid1(VALU_DEP_1)
	v_dual_cndmask_b32 v17, 0, v17 :: v_dual_cndmask_b32 v16, 7, v16
	v_cmp_ne_u64_e32 vcc_lo, 0, v[16:17]
	s_or_b32 s7, s7, vcc_lo
	s_delay_alu instid0(SALU_CYCLE_1) | instskip(NEXT) | instid1(SALU_CYCLE_1)
	s_and_saveexec_b32 s41, s7
	s_xor_b32 s7, exec_lo, s41
; %bb.12050:                            ;   in Loop: Header=BB6_11188 Depth=2
	v_min_i32_e32 v1, 15, v1
	s_delay_alu instid0(VALU_DEP_1) | instskip(NEXT) | instid1(VALU_DEP_1)
	v_lshl_or_b32 v0, v1, 3, v0
	v_and_or_b32 v4, v16, 7, v0
                                        ; implicit-def: $vgpr0
; %bb.12051:                            ;   in Loop: Header=BB6_11188 Depth=2
	s_and_not1_saveexec_b32 s7, s7
; %bb.12052:                            ;   in Loop: Header=BB6_11188 Depth=2
	v_mov_b32_e32 v4, v0
; %bb.12053:                            ;   in Loop: Header=BB6_11188 Depth=2
	s_or_b32 exec_lo, exec_lo, s7
.LBB6_12054:                            ;   in Loop: Header=BB6_11188 Depth=2
	s_delay_alu instid0(SALU_CYCLE_1)
	s_or_b32 exec_lo, exec_lo, s40
                                        ; implicit-def: $vgpr0
.LBB6_12055:                            ;   in Loop: Header=BB6_11188 Depth=2
	s_and_not1_saveexec_b32 s7, s11
; %bb.12056:                            ;   in Loop: Header=BB6_11188 Depth=2
	v_or_b32_e32 v4, 0x7e, v0
; %bb.12057:                            ;   in Loop: Header=BB6_11188 Depth=2
	s_or_b32 exec_lo, exec_lo, s7
                                        ; implicit-def: $vgpr0
.LBB6_12058:                            ;   in Loop: Header=BB6_11188 Depth=2
	s_and_not1_saveexec_b32 s7, s10
; %bb.12059:                            ;   in Loop: Header=BB6_11188 Depth=2
	v_or_b32_e32 v4, 0x7f, v0
; %bb.12060:                            ;   in Loop: Header=BB6_11188 Depth=2
	s_or_b32 exec_lo, exec_lo, s7
	flat_load_u8 v0, v[10:11] offset:992 th:TH_LOAD_NT
	v_mov_b32_e32 v1, 0
	s_mov_b32 s7, exec_lo
	s_wait_loadcnt_dscnt 0x0
	s_wait_xcnt 0x0
	v_cmpx_ne_u16_e32 0, v0
	s_cbranch_execz .LBB6_12068
; %bb.12061:                            ;   in Loop: Header=BB6_11188 Depth=2
	v_bfrev_b32_e32 v1, 1
	s_mov_b32 s10, exec_lo
	v_cmpx_ne_u16_e32 0x80, v0
	s_cbranch_execz .LBB6_12067
; %bb.12062:                            ;   in Loop: Header=BB6_11188 Depth=2
	v_and_b32_e32 v17, 0xffff, v0
	v_mov_b32_e32 v1, 0x7f800001
	s_mov_b32 s11, exec_lo
	s_delay_alu instid0(VALU_DEP_2) | instskip(NEXT) | instid1(VALU_DEP_1)
	v_and_b32_e32 v16, 0x7f, v17
	v_cmpx_ne_u32_e32 0x7f, v16
	s_cbranch_execz .LBB6_12066
; %bb.12063:                            ;   in Loop: Header=BB6_11188 Depth=2
	v_dual_lshrrev_b32 v1, 3, v16 :: v_dual_bitop2_b32 v52, 7, v17 bitop3:0x40
	v_cmp_gt_u32_e32 vcc_lo, 8, v16
	s_delay_alu instid0(VALU_DEP_2)
	v_mov_b64_e32 v[16:17], v[52:53]
	s_and_saveexec_b32 s40, vcc_lo
; %bb.12064:                            ;   in Loop: Header=BB6_11188 Depth=2
	v_clz_i32_u32_e32 v1, v52
	s_delay_alu instid0(VALU_DEP_1) | instskip(NEXT) | instid1(VALU_DEP_1)
	v_min_u32_e32 v1, 32, v1
	v_subrev_nc_u32_e32 v16, 28, v1
	s_delay_alu instid0(VALU_DEP_1) | instskip(NEXT) | instid1(VALU_DEP_1)
	v_lshlrev_b64_e32 v[16:17], v16, v[52:53]
	v_dual_sub_nc_u32 v1, 29, v1 :: v_dual_bitop2_b32 v16, 7, v16 bitop3:0x40
; %bb.12065:                            ;   in Loop: Header=BB6_11188 Depth=2
	s_or_b32 exec_lo, exec_lo, s40
	v_lshlrev_b32_e32 v0, 24, v0
	s_delay_alu instid0(VALU_DEP_2) | instskip(NEXT) | instid1(VALU_DEP_3)
	v_lshlrev_b32_e32 v16, 20, v16
	v_lshl_add_u32 v1, v1, 23, 0x3c000000
	s_delay_alu instid0(VALU_DEP_3) | instskip(NEXT) | instid1(VALU_DEP_1)
	v_and_b32_e32 v0, 0x80000000, v0
	v_or3_b32 v1, v16, v0, v1
.LBB6_12066:                            ;   in Loop: Header=BB6_11188 Depth=2
	s_or_b32 exec_lo, exec_lo, s11
.LBB6_12067:                            ;   in Loop: Header=BB6_11188 Depth=2
	s_delay_alu instid0(SALU_CYCLE_1)
	s_or_b32 exec_lo, exec_lo, s10
.LBB6_12068:                            ;   in Loop: Header=BB6_11188 Depth=2
	s_delay_alu instid0(SALU_CYCLE_1) | instskip(NEXT) | instid1(VALU_DEP_1)
	s_or_b32 exec_lo, exec_lo, s7
	v_mul_f32_e32 v16, s29, v1
                                        ; implicit-def: $vgpr0
	s_mov_b32 s7, exec_lo
	s_delay_alu instid0(VALU_DEP_1) | instskip(SKIP_1) | instid1(VALU_DEP_2)
	v_and_b32_e32 v52, 0x7f800000, v16
	v_lshrrev_b32_e32 v1, 24, v16
	v_cmpx_ne_u64_e32 0x7f800000, v[52:53]
	s_xor_b32 s10, exec_lo, s7
	s_cbranch_execz .LBB6_12086
; %bb.12069:                            ;   in Loop: Header=BB6_11188 Depth=2
	v_and_b32_e32 v52, 0x7fffffff, v16
	v_and_b32_e32 v1, 0x80, v1
                                        ; implicit-def: $vgpr0
	s_mov_b32 s7, exec_lo
	s_delay_alu instid0(VALU_DEP_2)
	v_cmpx_gt_u64_e32 0x43e00001, v[52:53]
	s_xor_b32 s11, exec_lo, s7
	s_cbranch_execz .LBB6_12083
; %bb.12070:                            ;   in Loop: Header=BB6_11188 Depth=2
	v_mov_b32_e32 v0, 0
	s_mov_b32 s29, exec_lo
	v_cmpx_ne_u32_e32 0, v16
	s_cbranch_execz .LBB6_12082
; %bb.12071:                            ;   in Loop: Header=BB6_11188 Depth=2
	v_bfe_u32 v0, v16, 23, 8
	v_and_b32_e32 v18, 0x7fffff, v16
	s_delay_alu instid0(VALU_DEP_2) | instskip(NEXT) | instid1(VALU_DEP_2)
	v_cmp_gt_u32_e32 vcc_lo, 0x7a, v0
	v_or_b32_e32 v19, 0x800000, v18
	v_sub_nc_u32_e32 v17, 0x79, v0
	s_delay_alu instid0(VALU_DEP_1) | instskip(SKIP_1) | instid1(VALU_DEP_2)
	v_cndmask_b32_e32 v17, 0, v17, vcc_lo
	v_cmp_eq_u32_e32 vcc_lo, 0, v0
	v_cndmask_b32_e64 v23, v17, 0x78, vcc_lo
	s_delay_alu instid0(VALU_DEP_1) | instskip(SKIP_1) | instid1(VALU_DEP_2)
	v_dual_cndmask_b32 v52, v19, v18, vcc_lo :: v_dual_add_nc_u32 v16, 20, v23
	v_add_nc_u32_e32 v30, 19, v23
	v_lshlrev_b64_e64 v[16:17], v16, -1
	s_delay_alu instid0(VALU_DEP_2) | instskip(NEXT) | instid1(VALU_DEP_2)
	v_lshlrev_b64_e64 v[18:19], v30, 1
	v_bfi_b32 v115, v17, 0, 0
	s_delay_alu instid0(VALU_DEP_3) | instskip(SKIP_1) | instid1(VALU_DEP_2)
	v_bfi_b32 v114, v16, 0, v52
	v_lshrrev_b64 v[16:17], v23, v[52:53]
	v_cmp_eq_u64_e64 s7, v[114:115], v[18:19]
	s_delay_alu instid0(VALU_DEP_2)
	v_mov_b64_e32 v[18:19], v[16:17]
	s_and_saveexec_b32 s40, s7
; %bb.12072:                            ;   in Loop: Header=BB6_11188 Depth=2
	v_bfe_u32 v52, v16, 20, 1
	s_delay_alu instid0(VALU_DEP_1) | instskip(NEXT) | instid1(VALU_DEP_1)
	v_add_nc_u64_e32 v[18:19], v[16:17], v[52:53]
	v_add_nc_u64_e32 v[18:19], -1, v[18:19]
; %bb.12073:                            ;   in Loop: Header=BB6_11188 Depth=2
	s_or_b32 exec_lo, exec_lo, s40
	v_add_nc_u32_e32 v0, 0xffffff81, v0
	v_lshrrev_b32_e32 v17, 23, v16
	s_mov_b32 s7, exec_lo
	s_delay_alu instid0(VALU_DEP_2) | instskip(NEXT) | instid1(VALU_DEP_1)
	v_cndmask_b32_e64 v0, v0, 0xffffff82, vcc_lo
	v_add3_u32 v0, v23, v0, v17
	v_and_b32_e32 v17, 0xfffff, v18
                                        ; implicit-def: $vgpr18
	s_delay_alu instid0(VALU_DEP_2) | instskip(NEXT) | instid1(VALU_DEP_2)
	v_add_nc_u32_e32 v19, 6, v0
	v_add_nc_u32_e32 v52, v17, v16
                                        ; implicit-def: $vgpr16_vgpr17
	s_delay_alu instid0(VALU_DEP_2)
	v_cmpx_ne_u32_e32 0, v19
	s_xor_b32 s7, exec_lo, s7
; %bb.12074:                            ;   in Loop: Header=BB6_11188 Depth=2
	s_delay_alu instid0(VALU_DEP_2) | instskip(SKIP_1) | instid1(VALU_DEP_1)
	v_cmp_lt_u64_e32 vcc_lo, 0xffffff, v[52:53]
	v_add_nc_u32_e32 v0, 7, v0
	v_cndmask_b32_e32 v18, v19, v0, vcc_lo
	v_cndmask_b32_e64 v0, 0, 1, vcc_lo
	s_delay_alu instid0(VALU_DEP_1)
	v_lshrrev_b64 v[16:17], v0, v[52:53]
; %bb.12075:                            ;   in Loop: Header=BB6_11188 Depth=2
	s_and_not1_saveexec_b32 s7, s7
; %bb.12076:                            ;   in Loop: Header=BB6_11188 Depth=2
	v_mov_b64_e32 v[16:17], v[52:53]
	v_bfe_u32 v18, v52, 23, 1
; %bb.12077:                            ;   in Loop: Header=BB6_11188 Depth=2
	s_or_b32 exec_lo, exec_lo, s7
	s_delay_alu instid0(VALU_DEP_2) | instskip(NEXT) | instid1(VALU_DEP_2)
	v_lshrrev_b64 v[16:17], 20, v[16:17]
	v_cmp_gt_i32_e32 vcc_lo, 16, v18
	v_cmp_ne_u32_e64 s7, 0, v18
                                        ; implicit-def: $vgpr0
	s_delay_alu instid0(VALU_DEP_3) | instskip(NEXT) | instid1(VALU_DEP_1)
	v_dual_cndmask_b32 v17, 0, v17 :: v_dual_cndmask_b32 v16, 7, v16
	v_cmp_ne_u64_e32 vcc_lo, 0, v[16:17]
	s_or_b32 s7, s7, vcc_lo
	s_delay_alu instid0(SALU_CYCLE_1) | instskip(NEXT) | instid1(SALU_CYCLE_1)
	s_and_saveexec_b32 s40, s7
	s_xor_b32 s7, exec_lo, s40
; %bb.12078:                            ;   in Loop: Header=BB6_11188 Depth=2
	v_min_i32_e32 v0, 15, v18
	s_delay_alu instid0(VALU_DEP_1) | instskip(NEXT) | instid1(VALU_DEP_1)
	v_lshl_or_b32 v0, v0, 3, v1
                                        ; implicit-def: $vgpr1
	v_and_or_b32 v0, v16, 7, v0
; %bb.12079:                            ;   in Loop: Header=BB6_11188 Depth=2
	s_and_not1_saveexec_b32 s7, s7
; %bb.12080:                            ;   in Loop: Header=BB6_11188 Depth=2
	v_mov_b32_e32 v0, v1
; %bb.12081:                            ;   in Loop: Header=BB6_11188 Depth=2
	s_or_b32 exec_lo, exec_lo, s7
.LBB6_12082:                            ;   in Loop: Header=BB6_11188 Depth=2
	s_delay_alu instid0(SALU_CYCLE_1)
	s_or_b32 exec_lo, exec_lo, s29
                                        ; implicit-def: $vgpr1
.LBB6_12083:                            ;   in Loop: Header=BB6_11188 Depth=2
	s_and_not1_saveexec_b32 s7, s11
; %bb.12084:                            ;   in Loop: Header=BB6_11188 Depth=2
	v_or_b32_e32 v0, 0x7e, v1
; %bb.12085:                            ;   in Loop: Header=BB6_11188 Depth=2
	s_or_b32 exec_lo, exec_lo, s7
                                        ; implicit-def: $vgpr1
.LBB6_12086:                            ;   in Loop: Header=BB6_11188 Depth=2
	s_and_not1_saveexec_b32 s7, s10
; %bb.12087:                            ;   in Loop: Header=BB6_11188 Depth=2
	v_or_b32_e32 v0, 0x7f, v1
; %bb.12088:                            ;   in Loop: Header=BB6_11188 Depth=2
	s_or_b32 exec_lo, exec_lo, s7
	s_clause 0x1f
	flat_load_u8 v18, v[12:13] th:TH_LOAD_NT
	flat_load_u8 v75, v[12:13] offset:32 th:TH_LOAD_NT
	flat_load_u8 v74, v[12:13] offset:64 th:TH_LOAD_NT
	;; [unrolled: 1-line block ×31, first 2 shown]
	v_and_b32_e32 v16, 0xff, v5
	v_dual_mov_b32 v19, 0 :: v_dual_mov_b32 v76, 0
	s_mov_b32 s7, exec_lo
	s_wait_xcnt 0x0
	s_delay_alu instid0(VALU_DEP_2)
	v_cmpx_ne_u16_e32 0, v16
	s_cbranch_execz .LBB6_12096
; %bb.12089:                            ;   in Loop: Header=BB6_11188 Depth=2
	v_bfrev_b32_e32 v76, 1
	s_mov_b32 s10, exec_lo
	v_cmpx_ne_u16_e32 0x80, v16
	s_cbranch_execz .LBB6_12095
; %bb.12090:                            ;   in Loop: Header=BB6_11188 Depth=2
	v_and_b32_e32 v17, 0x7f, v5
	v_mov_b32_e32 v76, 0x7f800001
	s_mov_b32 s11, exec_lo
	s_delay_alu instid0(VALU_DEP_2)
	v_cmpx_ne_u32_e32 0x7f, v17
	s_cbranch_execz .LBB6_12094
; %bb.12091:                            ;   in Loop: Header=BB6_11188 Depth=2
	v_dual_lshrrev_b32 v76, 3, v17 :: v_dual_bitop2_b32 v52, 7, v16 bitop3:0x40
	v_cmp_gt_u32_e32 vcc_lo, 8, v17
	s_delay_alu instid0(VALU_DEP_2)
	v_mov_b64_e32 v[16:17], v[52:53]
	s_and_saveexec_b32 s29, vcc_lo
; %bb.12092:                            ;   in Loop: Header=BB6_11188 Depth=2
	v_clz_i32_u32_e32 v16, v52
	s_delay_alu instid0(VALU_DEP_1) | instskip(NEXT) | instid1(VALU_DEP_1)
	v_min_u32_e32 v76, 32, v16
	v_subrev_nc_u32_e32 v16, 28, v76
	v_sub_nc_u32_e32 v76, 29, v76
	s_delay_alu instid0(VALU_DEP_2) | instskip(NEXT) | instid1(VALU_DEP_1)
	v_lshlrev_b64_e32 v[16:17], v16, v[52:53]
	v_and_b32_e32 v16, 7, v16
; %bb.12093:                            ;   in Loop: Header=BB6_11188 Depth=2
	s_or_b32 exec_lo, exec_lo, s29
	s_delay_alu instid0(VALU_DEP_1) | instskip(SKIP_1) | instid1(VALU_DEP_2)
	v_dual_lshlrev_b32 v5, 24, v5 :: v_dual_lshlrev_b32 v16, 20, v16
	v_lshl_add_u32 v17, v76, 23, 0x3c000000
	v_and_b32_e32 v5, 0x80000000, v5
	s_delay_alu instid0(VALU_DEP_1)
	v_or3_b32 v76, v16, v5, v17
.LBB6_12094:                            ;   in Loop: Header=BB6_11188 Depth=2
	s_or_b32 exec_lo, exec_lo, s11
.LBB6_12095:                            ;   in Loop: Header=BB6_11188 Depth=2
	s_delay_alu instid0(SALU_CYCLE_1)
	s_or_b32 exec_lo, exec_lo, s10
.LBB6_12096:                            ;   in Loop: Header=BB6_11188 Depth=2
	s_delay_alu instid0(SALU_CYCLE_1) | instskip(SKIP_3) | instid1(VALU_DEP_1)
	s_or_b32 exec_lo, exec_lo, s7
	s_wait_loadcnt_dscnt 0x1f1f
	v_and_b32_e32 v5, 0xff, v18
	s_mov_b32 s7, exec_lo
	v_cmpx_ne_u16_e32 0, v5
	s_cbranch_execz .LBB6_12104
; %bb.12097:                            ;   in Loop: Header=BB6_11188 Depth=2
	v_bfrev_b32_e32 v19, 1
	s_mov_b32 s10, exec_lo
	v_cmpx_ne_u16_e32 0x80, v5
	s_cbranch_execz .LBB6_12103
; %bb.12098:                            ;   in Loop: Header=BB6_11188 Depth=2
	v_and_b32_e32 v16, 0x7f, v18
	v_mov_b32_e32 v19, 0x7f800001
	s_mov_b32 s11, exec_lo
	s_delay_alu instid0(VALU_DEP_2)
	v_cmpx_ne_u32_e32 0x7f, v16
	s_cbranch_execz .LBB6_12102
; %bb.12099:                            ;   in Loop: Header=BB6_11188 Depth=2
	v_dual_lshrrev_b32 v5, 3, v16 :: v_dual_bitop2_b32 v52, 7, v5 bitop3:0x40
	v_cmp_gt_u32_e32 vcc_lo, 8, v16
	s_delay_alu instid0(VALU_DEP_2)
	v_mov_b64_e32 v[16:17], v[52:53]
	s_and_saveexec_b32 s29, vcc_lo
; %bb.12100:                            ;   in Loop: Header=BB6_11188 Depth=2
	v_clz_i32_u32_e32 v5, v52
	s_delay_alu instid0(VALU_DEP_1) | instskip(NEXT) | instid1(VALU_DEP_1)
	v_min_u32_e32 v5, 32, v5
	v_subrev_nc_u32_e32 v16, 28, v5
	s_delay_alu instid0(VALU_DEP_1) | instskip(NEXT) | instid1(VALU_DEP_1)
	v_lshlrev_b64_e32 v[16:17], v16, v[52:53]
	v_dual_sub_nc_u32 v5, 29, v5 :: v_dual_bitop2_b32 v16, 7, v16 bitop3:0x40
; %bb.12101:                            ;   in Loop: Header=BB6_11188 Depth=2
	s_or_b32 exec_lo, exec_lo, s29
	s_delay_alu instid0(VALU_DEP_1) | instskip(NEXT) | instid1(VALU_DEP_2)
	v_dual_lshlrev_b32 v17, 24, v18 :: v_dual_lshlrev_b32 v16, 20, v16
	v_lshl_add_u32 v5, v5, 23, 0x3c000000
	s_delay_alu instid0(VALU_DEP_2) | instskip(NEXT) | instid1(VALU_DEP_1)
	v_and_b32_e32 v17, 0x80000000, v17
	v_or3_b32 v19, v16, v17, v5
.LBB6_12102:                            ;   in Loop: Header=BB6_11188 Depth=2
	s_or_b32 exec_lo, exec_lo, s11
.LBB6_12103:                            ;   in Loop: Header=BB6_11188 Depth=2
	s_delay_alu instid0(SALU_CYCLE_1)
	s_or_b32 exec_lo, exec_lo, s10
.LBB6_12104:                            ;   in Loop: Header=BB6_11188 Depth=2
	s_delay_alu instid0(SALU_CYCLE_1) | instskip(NEXT) | instid1(VALU_DEP_1)
	s_or_b32 exec_lo, exec_lo, s7
	v_add_f32_e32 v16, v76, v19
                                        ; implicit-def: $vgpr5
	s_mov_b32 s7, exec_lo
	s_delay_alu instid0(VALU_DEP_1) | instskip(SKIP_1) | instid1(VALU_DEP_2)
	v_and_b32_e32 v52, 0x7f800000, v16
	v_lshrrev_b32_e32 v17, 24, v16
	v_cmpx_ne_u64_e32 0x7f800000, v[52:53]
	s_xor_b32 s10, exec_lo, s7
	s_cbranch_execz .LBB6_12122
; %bb.12105:                            ;   in Loop: Header=BB6_11188 Depth=2
	v_and_b32_e32 v52, 0x7fffffff, v16
	v_and_b32_e32 v76, 0x80, v17
                                        ; implicit-def: $vgpr5
	s_mov_b32 s7, exec_lo
	s_delay_alu instid0(VALU_DEP_2)
	v_cmpx_gt_u64_e32 0x43e00001, v[52:53]
	s_xor_b32 s11, exec_lo, s7
	s_cbranch_execz .LBB6_12119
; %bb.12106:                            ;   in Loop: Header=BB6_11188 Depth=2
	v_mov_b32_e32 v5, 0
	s_mov_b32 s29, exec_lo
	v_cmpx_ne_u32_e32 0, v16
	s_cbranch_execz .LBB6_12118
; %bb.12107:                            ;   in Loop: Header=BB6_11188 Depth=2
	v_bfe_u32 v5, v16, 23, 8
	v_and_b32_e32 v17, 0x7fffff, v16
	s_delay_alu instid0(VALU_DEP_2) | instskip(SKIP_2) | instid1(VALU_DEP_4)
	v_cmp_gt_u32_e64 s7, 0x7a, v5
	v_sub_nc_u32_e32 v16, 0x79, v5
	v_cmp_eq_u32_e32 vcc_lo, 0, v5
	v_or_b32_e32 v18, 0x800000, v17
	s_delay_alu instid0(VALU_DEP_1) | instskip(NEXT) | instid1(VALU_DEP_1)
	v_dual_cndmask_b32 v16, 0, v16, s7 :: v_dual_cndmask_b32 v52, v18, v17, vcc_lo
	v_cndmask_b32_e64 v77, v16, 0x78, vcc_lo
	s_delay_alu instid0(VALU_DEP_1) | instskip(NEXT) | instid1(VALU_DEP_1)
	v_dual_add_nc_u32 v16, 20, v77 :: v_dual_add_nc_u32 v18, 19, v77
	v_lshlrev_b64_e64 v[16:17], v16, -1
	s_delay_alu instid0(VALU_DEP_2) | instskip(NEXT) | instid1(VALU_DEP_2)
	v_lshlrev_b64_e64 v[18:19], v18, 1
	v_bfi_b32 v17, v17, 0, 0
	s_delay_alu instid0(VALU_DEP_3) | instskip(NEXT) | instid1(VALU_DEP_1)
	v_bfi_b32 v16, v16, 0, v52
	v_cmp_eq_u64_e64 s7, v[16:17], v[18:19]
	v_lshrrev_b64 v[16:17], v77, v[52:53]
	s_delay_alu instid0(VALU_DEP_1)
	v_mov_b64_e32 v[18:19], v[16:17]
	s_and_saveexec_b32 s40, s7
; %bb.12108:                            ;   in Loop: Header=BB6_11188 Depth=2
	v_bfe_u32 v52, v16, 20, 1
	s_delay_alu instid0(VALU_DEP_1) | instskip(NEXT) | instid1(VALU_DEP_1)
	v_add_nc_u64_e32 v[18:19], v[16:17], v[52:53]
	v_add_nc_u64_e32 v[18:19], -1, v[18:19]
; %bb.12109:                            ;   in Loop: Header=BB6_11188 Depth=2
	s_or_b32 exec_lo, exec_lo, s40
	v_add_nc_u32_e32 v5, 0xffffff81, v5
	v_lshrrev_b32_e32 v17, 23, v16
	s_mov_b32 s7, exec_lo
	s_delay_alu instid0(VALU_DEP_2) | instskip(NEXT) | instid1(VALU_DEP_1)
	v_cndmask_b32_e64 v5, v5, 0xffffff82, vcc_lo
	v_add3_u32 v19, v77, v5, v17
	v_and_b32_e32 v17, 0xfffff, v18
                                        ; implicit-def: $vgpr18
	s_delay_alu instid0(VALU_DEP_1) | instskip(NEXT) | instid1(VALU_DEP_1)
	v_dual_add_nc_u32 v5, 6, v19 :: v_dual_add_nc_u32 v52, v17, v16
                                        ; implicit-def: $vgpr16_vgpr17
	v_cmpx_ne_u32_e32 0, v5
	s_xor_b32 s7, exec_lo, s7
; %bb.12110:                            ;   in Loop: Header=BB6_11188 Depth=2
	s_delay_alu instid0(VALU_DEP_2) | instskip(SKIP_1) | instid1(VALU_DEP_1)
	v_cmp_lt_u64_e32 vcc_lo, 0xffffff, v[52:53]
	v_add_nc_u32_e32 v16, 7, v19
	v_cndmask_b32_e32 v18, v5, v16, vcc_lo
	v_cndmask_b32_e64 v5, 0, 1, vcc_lo
	s_delay_alu instid0(VALU_DEP_1)
	v_lshrrev_b64 v[16:17], v5, v[52:53]
; %bb.12111:                            ;   in Loop: Header=BB6_11188 Depth=2
	s_and_not1_saveexec_b32 s7, s7
; %bb.12112:                            ;   in Loop: Header=BB6_11188 Depth=2
	v_mov_b64_e32 v[16:17], v[52:53]
	v_bfe_u32 v18, v52, 23, 1
; %bb.12113:                            ;   in Loop: Header=BB6_11188 Depth=2
	s_or_b32 exec_lo, exec_lo, s7
	s_delay_alu instid0(VALU_DEP_2) | instskip(NEXT) | instid1(VALU_DEP_2)
	v_lshrrev_b64 v[16:17], 20, v[16:17]
	v_cmp_gt_i32_e32 vcc_lo, 16, v18
	v_cmp_ne_u32_e64 s7, 0, v18
                                        ; implicit-def: $vgpr5
	s_delay_alu instid0(VALU_DEP_3) | instskip(NEXT) | instid1(VALU_DEP_1)
	v_dual_cndmask_b32 v17, 0, v17 :: v_dual_cndmask_b32 v16, 7, v16
	v_cmp_ne_u64_e32 vcc_lo, 0, v[16:17]
	s_or_b32 s7, s7, vcc_lo
	s_delay_alu instid0(SALU_CYCLE_1) | instskip(NEXT) | instid1(SALU_CYCLE_1)
	s_and_saveexec_b32 s40, s7
	s_xor_b32 s7, exec_lo, s40
; %bb.12114:                            ;   in Loop: Header=BB6_11188 Depth=2
	v_min_i32_e32 v5, 15, v18
	s_delay_alu instid0(VALU_DEP_1) | instskip(NEXT) | instid1(VALU_DEP_1)
	v_lshl_or_b32 v5, v5, 3, v76
                                        ; implicit-def: $vgpr76
	v_and_or_b32 v5, v16, 7, v5
; %bb.12115:                            ;   in Loop: Header=BB6_11188 Depth=2
	s_and_not1_saveexec_b32 s7, s7
; %bb.12116:                            ;   in Loop: Header=BB6_11188 Depth=2
	v_mov_b32_e32 v5, v76
; %bb.12117:                            ;   in Loop: Header=BB6_11188 Depth=2
	s_or_b32 exec_lo, exec_lo, s7
.LBB6_12118:                            ;   in Loop: Header=BB6_11188 Depth=2
	s_delay_alu instid0(SALU_CYCLE_1)
	s_or_b32 exec_lo, exec_lo, s29
                                        ; implicit-def: $vgpr76
.LBB6_12119:                            ;   in Loop: Header=BB6_11188 Depth=2
	s_and_not1_saveexec_b32 s7, s11
; %bb.12120:                            ;   in Loop: Header=BB6_11188 Depth=2
	v_or_b32_e32 v5, 0x7e, v76
; %bb.12121:                            ;   in Loop: Header=BB6_11188 Depth=2
	s_or_b32 exec_lo, exec_lo, s7
                                        ; implicit-def: $vgpr17
.LBB6_12122:                            ;   in Loop: Header=BB6_11188 Depth=2
	s_and_not1_saveexec_b32 s7, s10
; %bb.12123:                            ;   in Loop: Header=BB6_11188 Depth=2
	v_or_b32_e32 v5, 0x7f, v17
; %bb.12124:                            ;   in Loop: Header=BB6_11188 Depth=2
	s_or_b32 exec_lo, exec_lo, s7
	v_and_b32_e32 v16, 0xff, v26
	v_dual_mov_b32 v18, 0 :: v_dual_mov_b32 v19, 0
	s_mov_b32 s7, exec_lo
	s_delay_alu instid0(VALU_DEP_2)
	v_cmpx_ne_u16_e32 0, v16
	s_cbranch_execz .LBB6_12132
; %bb.12125:                            ;   in Loop: Header=BB6_11188 Depth=2
	v_bfrev_b32_e32 v19, 1
	s_mov_b32 s10, exec_lo
	v_cmpx_ne_u16_e32 0x80, v16
	s_cbranch_execz .LBB6_12131
; %bb.12126:                            ;   in Loop: Header=BB6_11188 Depth=2
	v_and_b32_e32 v17, 0x7f, v26
	v_mov_b32_e32 v19, 0x7f800001
	s_mov_b32 s11, exec_lo
	s_delay_alu instid0(VALU_DEP_2)
	v_cmpx_ne_u32_e32 0x7f, v17
	s_cbranch_execz .LBB6_12130
; %bb.12127:                            ;   in Loop: Header=BB6_11188 Depth=2
	v_dual_lshrrev_b32 v19, 3, v17 :: v_dual_bitop2_b32 v52, 7, v16 bitop3:0x40
	v_cmp_gt_u32_e32 vcc_lo, 8, v17
	s_delay_alu instid0(VALU_DEP_2)
	v_mov_b64_e32 v[16:17], v[52:53]
	s_and_saveexec_b32 s29, vcc_lo
; %bb.12128:                            ;   in Loop: Header=BB6_11188 Depth=2
	v_clz_i32_u32_e32 v16, v52
	s_delay_alu instid0(VALU_DEP_1) | instskip(NEXT) | instid1(VALU_DEP_1)
	v_min_u32_e32 v19, 32, v16
	v_subrev_nc_u32_e32 v16, 28, v19
	s_delay_alu instid0(VALU_DEP_1) | instskip(NEXT) | instid1(VALU_DEP_1)
	v_lshlrev_b64_e32 v[16:17], v16, v[52:53]
	v_dual_sub_nc_u32 v19, 29, v19 :: v_dual_bitop2_b32 v16, 7, v16 bitop3:0x40
; %bb.12129:                            ;   in Loop: Header=BB6_11188 Depth=2
	s_or_b32 exec_lo, exec_lo, s29
	s_delay_alu instid0(VALU_DEP_1) | instskip(NEXT) | instid1(VALU_DEP_2)
	v_dual_lshlrev_b32 v17, 24, v26 :: v_dual_lshlrev_b32 v16, 20, v16
	v_lshl_add_u32 v19, v19, 23, 0x3c000000
	s_delay_alu instid0(VALU_DEP_2) | instskip(NEXT) | instid1(VALU_DEP_1)
	v_and_b32_e32 v17, 0x80000000, v17
	v_or3_b32 v19, v16, v17, v19
.LBB6_12130:                            ;   in Loop: Header=BB6_11188 Depth=2
	s_or_b32 exec_lo, exec_lo, s11
.LBB6_12131:                            ;   in Loop: Header=BB6_11188 Depth=2
	s_delay_alu instid0(SALU_CYCLE_1)
	s_or_b32 exec_lo, exec_lo, s10
.LBB6_12132:                            ;   in Loop: Header=BB6_11188 Depth=2
	s_delay_alu instid0(SALU_CYCLE_1) | instskip(SKIP_3) | instid1(VALU_DEP_1)
	s_or_b32 exec_lo, exec_lo, s7
	s_wait_loadcnt_dscnt 0x1e1e
	v_and_b32_e32 v16, 0xff, v75
	s_mov_b32 s7, exec_lo
	v_cmpx_ne_u16_e32 0, v16
	s_cbranch_execz .LBB6_12140
; %bb.12133:                            ;   in Loop: Header=BB6_11188 Depth=2
	v_bfrev_b32_e32 v18, 1
	s_mov_b32 s10, exec_lo
	v_cmpx_ne_u16_e32 0x80, v16
	s_cbranch_execz .LBB6_12139
; %bb.12134:                            ;   in Loop: Header=BB6_11188 Depth=2
	v_and_b32_e32 v17, 0x7f, v75
	v_mov_b32_e32 v18, 0x7f800001
	s_mov_b32 s11, exec_lo
	s_delay_alu instid0(VALU_DEP_2)
	v_cmpx_ne_u32_e32 0x7f, v17
	s_cbranch_execz .LBB6_12138
; %bb.12135:                            ;   in Loop: Header=BB6_11188 Depth=2
	v_dual_lshrrev_b32 v18, 3, v17 :: v_dual_bitop2_b32 v52, 7, v16 bitop3:0x40
	v_cmp_gt_u32_e32 vcc_lo, 8, v17
	s_delay_alu instid0(VALU_DEP_2)
	v_mov_b64_e32 v[16:17], v[52:53]
	s_and_saveexec_b32 s29, vcc_lo
; %bb.12136:                            ;   in Loop: Header=BB6_11188 Depth=2
	v_clz_i32_u32_e32 v16, v52
	s_delay_alu instid0(VALU_DEP_1) | instskip(NEXT) | instid1(VALU_DEP_1)
	v_min_u32_e32 v18, 32, v16
	v_subrev_nc_u32_e32 v16, 28, v18
	s_delay_alu instid0(VALU_DEP_1) | instskip(NEXT) | instid1(VALU_DEP_1)
	v_lshlrev_b64_e32 v[16:17], v16, v[52:53]
	v_dual_sub_nc_u32 v18, 29, v18 :: v_dual_bitop2_b32 v16, 7, v16 bitop3:0x40
; %bb.12137:                            ;   in Loop: Header=BB6_11188 Depth=2
	s_or_b32 exec_lo, exec_lo, s29
	s_delay_alu instid0(VALU_DEP_1) | instskip(NEXT) | instid1(VALU_DEP_2)
	v_dual_lshlrev_b32 v17, 24, v75 :: v_dual_lshlrev_b32 v16, 20, v16
	v_lshl_add_u32 v18, v18, 23, 0x3c000000
	s_delay_alu instid0(VALU_DEP_2) | instskip(NEXT) | instid1(VALU_DEP_1)
	v_and_b32_e32 v17, 0x80000000, v17
	v_or3_b32 v18, v16, v17, v18
.LBB6_12138:                            ;   in Loop: Header=BB6_11188 Depth=2
	s_or_b32 exec_lo, exec_lo, s11
.LBB6_12139:                            ;   in Loop: Header=BB6_11188 Depth=2
	s_delay_alu instid0(SALU_CYCLE_1)
	s_or_b32 exec_lo, exec_lo, s10
.LBB6_12140:                            ;   in Loop: Header=BB6_11188 Depth=2
	s_delay_alu instid0(SALU_CYCLE_1) | instskip(NEXT) | instid1(VALU_DEP_1)
	s_or_b32 exec_lo, exec_lo, s7
	v_add_f32_e32 v16, v19, v18
                                        ; implicit-def: $vgpr26
	s_mov_b32 s7, exec_lo
	s_delay_alu instid0(VALU_DEP_1) | instskip(SKIP_1) | instid1(VALU_DEP_2)
	v_and_b32_e32 v52, 0x7f800000, v16
	v_lshrrev_b32_e32 v17, 24, v16
	v_cmpx_ne_u64_e32 0x7f800000, v[52:53]
	s_xor_b32 s10, exec_lo, s7
	s_cbranch_execz .LBB6_12158
; %bb.12141:                            ;   in Loop: Header=BB6_11188 Depth=2
	v_and_b32_e32 v52, 0x7fffffff, v16
	v_and_b32_e32 v75, 0x80, v17
                                        ; implicit-def: $vgpr26
	s_mov_b32 s7, exec_lo
	s_delay_alu instid0(VALU_DEP_2)
	v_cmpx_gt_u64_e32 0x43e00001, v[52:53]
	s_xor_b32 s11, exec_lo, s7
	s_cbranch_execz .LBB6_12155
; %bb.12142:                            ;   in Loop: Header=BB6_11188 Depth=2
	v_mov_b32_e32 v26, 0
	s_mov_b32 s29, exec_lo
	v_cmpx_ne_u32_e32 0, v16
	s_cbranch_execz .LBB6_12154
; %bb.12143:                            ;   in Loop: Header=BB6_11188 Depth=2
	v_bfe_u32 v26, v16, 23, 8
	v_and_b32_e32 v17, 0x7fffff, v16
	s_delay_alu instid0(VALU_DEP_2) | instskip(SKIP_2) | instid1(VALU_DEP_4)
	v_cmp_gt_u32_e64 s7, 0x7a, v26
	v_sub_nc_u32_e32 v16, 0x79, v26
	v_cmp_eq_u32_e32 vcc_lo, 0, v26
	v_or_b32_e32 v18, 0x800000, v17
	s_delay_alu instid0(VALU_DEP_1) | instskip(NEXT) | instid1(VALU_DEP_1)
	v_dual_cndmask_b32 v16, 0, v16, s7 :: v_dual_cndmask_b32 v52, v18, v17, vcc_lo
	v_cndmask_b32_e64 v76, v16, 0x78, vcc_lo
	s_delay_alu instid0(VALU_DEP_1) | instskip(NEXT) | instid1(VALU_DEP_1)
	v_dual_add_nc_u32 v16, 20, v76 :: v_dual_add_nc_u32 v18, 19, v76
	v_lshlrev_b64_e64 v[16:17], v16, -1
	s_delay_alu instid0(VALU_DEP_2) | instskip(NEXT) | instid1(VALU_DEP_2)
	v_lshlrev_b64_e64 v[18:19], v18, 1
	v_bfi_b32 v17, v17, 0, 0
	s_delay_alu instid0(VALU_DEP_3) | instskip(NEXT) | instid1(VALU_DEP_1)
	v_bfi_b32 v16, v16, 0, v52
	v_cmp_eq_u64_e64 s7, v[16:17], v[18:19]
	v_lshrrev_b64 v[16:17], v76, v[52:53]
	s_delay_alu instid0(VALU_DEP_1)
	v_mov_b64_e32 v[18:19], v[16:17]
	s_and_saveexec_b32 s40, s7
; %bb.12144:                            ;   in Loop: Header=BB6_11188 Depth=2
	v_bfe_u32 v52, v16, 20, 1
	s_delay_alu instid0(VALU_DEP_1) | instskip(NEXT) | instid1(VALU_DEP_1)
	v_add_nc_u64_e32 v[18:19], v[16:17], v[52:53]
	v_add_nc_u64_e32 v[18:19], -1, v[18:19]
; %bb.12145:                            ;   in Loop: Header=BB6_11188 Depth=2
	s_or_b32 exec_lo, exec_lo, s40
	v_add_nc_u32_e32 v17, 0xffffff81, v26
	v_lshrrev_b32_e32 v19, 23, v16
	s_mov_b32 s7, exec_lo
	s_delay_alu instid0(VALU_DEP_2) | instskip(NEXT) | instid1(VALU_DEP_1)
	v_cndmask_b32_e64 v17, v17, 0xffffff82, vcc_lo
	v_add3_u32 v26, v76, v17, v19
	v_and_b32_e32 v17, 0xfffff, v18
                                        ; implicit-def: $vgpr18
	s_delay_alu instid0(VALU_DEP_1) | instskip(NEXT) | instid1(VALU_DEP_1)
	v_dual_add_nc_u32 v19, 6, v26 :: v_dual_add_nc_u32 v52, v17, v16
                                        ; implicit-def: $vgpr16_vgpr17
	v_cmpx_ne_u32_e32 0, v19
	s_xor_b32 s7, exec_lo, s7
; %bb.12146:                            ;   in Loop: Header=BB6_11188 Depth=2
	s_delay_alu instid0(VALU_DEP_2) | instskip(SKIP_1) | instid1(VALU_DEP_1)
	v_cmp_lt_u64_e32 vcc_lo, 0xffffff, v[52:53]
	v_add_nc_u32_e32 v16, 7, v26
	v_cndmask_b32_e32 v18, v19, v16, vcc_lo
	v_cndmask_b32_e64 v16, 0, 1, vcc_lo
	s_delay_alu instid0(VALU_DEP_1)
	v_lshrrev_b64 v[16:17], v16, v[52:53]
; %bb.12147:                            ;   in Loop: Header=BB6_11188 Depth=2
	s_and_not1_saveexec_b32 s7, s7
; %bb.12148:                            ;   in Loop: Header=BB6_11188 Depth=2
	v_mov_b64_e32 v[16:17], v[52:53]
	v_bfe_u32 v18, v52, 23, 1
; %bb.12149:                            ;   in Loop: Header=BB6_11188 Depth=2
	s_or_b32 exec_lo, exec_lo, s7
	s_delay_alu instid0(VALU_DEP_2) | instskip(NEXT) | instid1(VALU_DEP_2)
	v_lshrrev_b64 v[16:17], 20, v[16:17]
	v_cmp_gt_i32_e32 vcc_lo, 16, v18
	v_cmp_ne_u32_e64 s7, 0, v18
                                        ; implicit-def: $vgpr26
	s_delay_alu instid0(VALU_DEP_3) | instskip(NEXT) | instid1(VALU_DEP_1)
	v_dual_cndmask_b32 v17, 0, v17 :: v_dual_cndmask_b32 v16, 7, v16
	v_cmp_ne_u64_e32 vcc_lo, 0, v[16:17]
	s_or_b32 s7, s7, vcc_lo
	s_delay_alu instid0(SALU_CYCLE_1) | instskip(NEXT) | instid1(SALU_CYCLE_1)
	s_and_saveexec_b32 s40, s7
	s_xor_b32 s7, exec_lo, s40
; %bb.12150:                            ;   in Loop: Header=BB6_11188 Depth=2
	v_min_i32_e32 v17, 15, v18
	s_delay_alu instid0(VALU_DEP_1) | instskip(NEXT) | instid1(VALU_DEP_1)
	v_lshl_or_b32 v17, v17, 3, v75
                                        ; implicit-def: $vgpr75
	v_and_or_b32 v26, v16, 7, v17
; %bb.12151:                            ;   in Loop: Header=BB6_11188 Depth=2
	s_and_not1_saveexec_b32 s7, s7
; %bb.12152:                            ;   in Loop: Header=BB6_11188 Depth=2
	v_mov_b32_e32 v26, v75
; %bb.12153:                            ;   in Loop: Header=BB6_11188 Depth=2
	s_or_b32 exec_lo, exec_lo, s7
.LBB6_12154:                            ;   in Loop: Header=BB6_11188 Depth=2
	s_delay_alu instid0(SALU_CYCLE_1)
	s_or_b32 exec_lo, exec_lo, s29
                                        ; implicit-def: $vgpr75
.LBB6_12155:                            ;   in Loop: Header=BB6_11188 Depth=2
	s_and_not1_saveexec_b32 s7, s11
; %bb.12156:                            ;   in Loop: Header=BB6_11188 Depth=2
	v_or_b32_e32 v26, 0x7e, v75
; %bb.12157:                            ;   in Loop: Header=BB6_11188 Depth=2
	s_or_b32 exec_lo, exec_lo, s7
                                        ; implicit-def: $vgpr17
.LBB6_12158:                            ;   in Loop: Header=BB6_11188 Depth=2
	s_and_not1_saveexec_b32 s7, s10
; %bb.12159:                            ;   in Loop: Header=BB6_11188 Depth=2
	v_or_b32_e32 v26, 0x7f, v17
; %bb.12160:                            ;   in Loop: Header=BB6_11188 Depth=2
	s_or_b32 exec_lo, exec_lo, s7
	v_and_b32_e32 v16, 0xff, v35
	v_dual_mov_b32 v18, 0 :: v_dual_mov_b32 v19, 0
	s_mov_b32 s7, exec_lo
	s_delay_alu instid0(VALU_DEP_2)
	v_cmpx_ne_u16_e32 0, v16
	s_cbranch_execz .LBB6_12168
; %bb.12161:                            ;   in Loop: Header=BB6_11188 Depth=2
	v_bfrev_b32_e32 v19, 1
	s_mov_b32 s10, exec_lo
	v_cmpx_ne_u16_e32 0x80, v16
	s_cbranch_execz .LBB6_12167
; %bb.12162:                            ;   in Loop: Header=BB6_11188 Depth=2
	v_and_b32_e32 v17, 0x7f, v35
	v_mov_b32_e32 v19, 0x7f800001
	s_mov_b32 s11, exec_lo
	s_delay_alu instid0(VALU_DEP_2)
	v_cmpx_ne_u32_e32 0x7f, v17
	s_cbranch_execz .LBB6_12166
; %bb.12163:                            ;   in Loop: Header=BB6_11188 Depth=2
	v_dual_lshrrev_b32 v19, 3, v17 :: v_dual_bitop2_b32 v52, 7, v16 bitop3:0x40
	v_cmp_gt_u32_e32 vcc_lo, 8, v17
	s_delay_alu instid0(VALU_DEP_2)
	v_mov_b64_e32 v[16:17], v[52:53]
	s_and_saveexec_b32 s29, vcc_lo
; %bb.12164:                            ;   in Loop: Header=BB6_11188 Depth=2
	v_clz_i32_u32_e32 v16, v52
	s_delay_alu instid0(VALU_DEP_1) | instskip(NEXT) | instid1(VALU_DEP_1)
	v_min_u32_e32 v19, 32, v16
	v_subrev_nc_u32_e32 v16, 28, v19
	s_delay_alu instid0(VALU_DEP_1) | instskip(NEXT) | instid1(VALU_DEP_1)
	v_lshlrev_b64_e32 v[16:17], v16, v[52:53]
	v_dual_sub_nc_u32 v19, 29, v19 :: v_dual_bitop2_b32 v16, 7, v16 bitop3:0x40
; %bb.12165:                            ;   in Loop: Header=BB6_11188 Depth=2
	s_or_b32 exec_lo, exec_lo, s29
	s_delay_alu instid0(VALU_DEP_1) | instskip(NEXT) | instid1(VALU_DEP_2)
	v_dual_lshlrev_b32 v17, 24, v35 :: v_dual_lshlrev_b32 v16, 20, v16
	v_lshl_add_u32 v19, v19, 23, 0x3c000000
	s_delay_alu instid0(VALU_DEP_2) | instskip(NEXT) | instid1(VALU_DEP_1)
	v_and_b32_e32 v17, 0x80000000, v17
	v_or3_b32 v19, v16, v17, v19
.LBB6_12166:                            ;   in Loop: Header=BB6_11188 Depth=2
	s_or_b32 exec_lo, exec_lo, s11
.LBB6_12167:                            ;   in Loop: Header=BB6_11188 Depth=2
	s_delay_alu instid0(SALU_CYCLE_1)
	s_or_b32 exec_lo, exec_lo, s10
.LBB6_12168:                            ;   in Loop: Header=BB6_11188 Depth=2
	s_delay_alu instid0(SALU_CYCLE_1) | instskip(SKIP_3) | instid1(VALU_DEP_1)
	s_or_b32 exec_lo, exec_lo, s7
	s_wait_loadcnt_dscnt 0x1d1d
	v_and_b32_e32 v16, 0xff, v74
	s_mov_b32 s7, exec_lo
	v_cmpx_ne_u16_e32 0, v16
	s_cbranch_execz .LBB6_12176
; %bb.12169:                            ;   in Loop: Header=BB6_11188 Depth=2
	v_bfrev_b32_e32 v18, 1
	s_mov_b32 s10, exec_lo
	v_cmpx_ne_u16_e32 0x80, v16
	s_cbranch_execz .LBB6_12175
; %bb.12170:                            ;   in Loop: Header=BB6_11188 Depth=2
	v_and_b32_e32 v17, 0x7f, v74
	v_mov_b32_e32 v18, 0x7f800001
	s_mov_b32 s11, exec_lo
	s_delay_alu instid0(VALU_DEP_2)
	v_cmpx_ne_u32_e32 0x7f, v17
	s_cbranch_execz .LBB6_12174
; %bb.12171:                            ;   in Loop: Header=BB6_11188 Depth=2
	v_dual_lshrrev_b32 v18, 3, v17 :: v_dual_bitop2_b32 v52, 7, v16 bitop3:0x40
	v_cmp_gt_u32_e32 vcc_lo, 8, v17
	s_delay_alu instid0(VALU_DEP_2)
	v_mov_b64_e32 v[16:17], v[52:53]
	s_and_saveexec_b32 s29, vcc_lo
; %bb.12172:                            ;   in Loop: Header=BB6_11188 Depth=2
	v_clz_i32_u32_e32 v16, v52
	s_delay_alu instid0(VALU_DEP_1) | instskip(NEXT) | instid1(VALU_DEP_1)
	v_min_u32_e32 v18, 32, v16
	v_subrev_nc_u32_e32 v16, 28, v18
	s_delay_alu instid0(VALU_DEP_1) | instskip(NEXT) | instid1(VALU_DEP_1)
	v_lshlrev_b64_e32 v[16:17], v16, v[52:53]
	v_dual_sub_nc_u32 v18, 29, v18 :: v_dual_bitop2_b32 v16, 7, v16 bitop3:0x40
; %bb.12173:                            ;   in Loop: Header=BB6_11188 Depth=2
	s_or_b32 exec_lo, exec_lo, s29
	s_delay_alu instid0(VALU_DEP_1) | instskip(NEXT) | instid1(VALU_DEP_2)
	v_dual_lshlrev_b32 v17, 24, v74 :: v_dual_lshlrev_b32 v16, 20, v16
	v_lshl_add_u32 v18, v18, 23, 0x3c000000
	s_delay_alu instid0(VALU_DEP_2) | instskip(NEXT) | instid1(VALU_DEP_1)
	v_and_b32_e32 v17, 0x80000000, v17
	v_or3_b32 v18, v16, v17, v18
.LBB6_12174:                            ;   in Loop: Header=BB6_11188 Depth=2
	s_or_b32 exec_lo, exec_lo, s11
.LBB6_12175:                            ;   in Loop: Header=BB6_11188 Depth=2
	s_delay_alu instid0(SALU_CYCLE_1)
	s_or_b32 exec_lo, exec_lo, s10
.LBB6_12176:                            ;   in Loop: Header=BB6_11188 Depth=2
	s_delay_alu instid0(SALU_CYCLE_1) | instskip(NEXT) | instid1(VALU_DEP_1)
	s_or_b32 exec_lo, exec_lo, s7
	v_add_f32_e32 v16, v19, v18
                                        ; implicit-def: $vgpr35
	s_mov_b32 s7, exec_lo
	s_delay_alu instid0(VALU_DEP_1) | instskip(SKIP_1) | instid1(VALU_DEP_2)
	v_and_b32_e32 v52, 0x7f800000, v16
	v_lshrrev_b32_e32 v17, 24, v16
	v_cmpx_ne_u64_e32 0x7f800000, v[52:53]
	s_xor_b32 s10, exec_lo, s7
	s_cbranch_execz .LBB6_12194
; %bb.12177:                            ;   in Loop: Header=BB6_11188 Depth=2
	v_and_b32_e32 v52, 0x7fffffff, v16
	v_and_b32_e32 v74, 0x80, v17
                                        ; implicit-def: $vgpr35
	s_mov_b32 s7, exec_lo
	s_delay_alu instid0(VALU_DEP_2)
	v_cmpx_gt_u64_e32 0x43e00001, v[52:53]
	s_xor_b32 s11, exec_lo, s7
	s_cbranch_execz .LBB6_12191
; %bb.12178:                            ;   in Loop: Header=BB6_11188 Depth=2
	v_mov_b32_e32 v35, 0
	s_mov_b32 s29, exec_lo
	v_cmpx_ne_u32_e32 0, v16
	s_cbranch_execz .LBB6_12190
; %bb.12179:                            ;   in Loop: Header=BB6_11188 Depth=2
	v_bfe_u32 v35, v16, 23, 8
	v_and_b32_e32 v17, 0x7fffff, v16
	s_delay_alu instid0(VALU_DEP_2) | instskip(SKIP_2) | instid1(VALU_DEP_4)
	v_cmp_gt_u32_e64 s7, 0x7a, v35
	v_sub_nc_u32_e32 v16, 0x79, v35
	v_cmp_eq_u32_e32 vcc_lo, 0, v35
	v_or_b32_e32 v18, 0x800000, v17
	s_delay_alu instid0(VALU_DEP_1) | instskip(NEXT) | instid1(VALU_DEP_1)
	v_dual_cndmask_b32 v16, 0, v16, s7 :: v_dual_cndmask_b32 v52, v18, v17, vcc_lo
	v_cndmask_b32_e64 v75, v16, 0x78, vcc_lo
	s_delay_alu instid0(VALU_DEP_1) | instskip(NEXT) | instid1(VALU_DEP_1)
	v_dual_add_nc_u32 v16, 20, v75 :: v_dual_add_nc_u32 v18, 19, v75
	v_lshlrev_b64_e64 v[16:17], v16, -1
	s_delay_alu instid0(VALU_DEP_2) | instskip(NEXT) | instid1(VALU_DEP_2)
	v_lshlrev_b64_e64 v[18:19], v18, 1
	v_bfi_b32 v17, v17, 0, 0
	s_delay_alu instid0(VALU_DEP_3) | instskip(NEXT) | instid1(VALU_DEP_1)
	v_bfi_b32 v16, v16, 0, v52
	v_cmp_eq_u64_e64 s7, v[16:17], v[18:19]
	v_lshrrev_b64 v[16:17], v75, v[52:53]
	s_delay_alu instid0(VALU_DEP_1)
	v_mov_b64_e32 v[18:19], v[16:17]
	s_and_saveexec_b32 s40, s7
; %bb.12180:                            ;   in Loop: Header=BB6_11188 Depth=2
	v_bfe_u32 v52, v16, 20, 1
	s_delay_alu instid0(VALU_DEP_1) | instskip(NEXT) | instid1(VALU_DEP_1)
	v_add_nc_u64_e32 v[18:19], v[16:17], v[52:53]
	v_add_nc_u64_e32 v[18:19], -1, v[18:19]
; %bb.12181:                            ;   in Loop: Header=BB6_11188 Depth=2
	s_or_b32 exec_lo, exec_lo, s40
	v_add_nc_u32_e32 v17, 0xffffff81, v35
	v_lshrrev_b32_e32 v19, 23, v16
	s_mov_b32 s7, exec_lo
	s_delay_alu instid0(VALU_DEP_2) | instskip(NEXT) | instid1(VALU_DEP_1)
	v_cndmask_b32_e64 v17, v17, 0xffffff82, vcc_lo
	v_add3_u32 v19, v75, v17, v19
	v_and_b32_e32 v17, 0xfffff, v18
                                        ; implicit-def: $vgpr18
	s_delay_alu instid0(VALU_DEP_1) | instskip(NEXT) | instid1(VALU_DEP_1)
	v_dual_add_nc_u32 v35, 6, v19 :: v_dual_add_nc_u32 v52, v17, v16
                                        ; implicit-def: $vgpr16_vgpr17
	v_cmpx_ne_u32_e32 0, v35
	s_xor_b32 s7, exec_lo, s7
; %bb.12182:                            ;   in Loop: Header=BB6_11188 Depth=2
	s_delay_alu instid0(VALU_DEP_2) | instskip(SKIP_1) | instid1(VALU_DEP_1)
	v_cmp_lt_u64_e32 vcc_lo, 0xffffff, v[52:53]
	v_add_nc_u32_e32 v16, 7, v19
	v_cndmask_b32_e32 v18, v35, v16, vcc_lo
	v_cndmask_b32_e64 v16, 0, 1, vcc_lo
	s_delay_alu instid0(VALU_DEP_1)
	v_lshrrev_b64 v[16:17], v16, v[52:53]
; %bb.12183:                            ;   in Loop: Header=BB6_11188 Depth=2
	s_and_not1_saveexec_b32 s7, s7
; %bb.12184:                            ;   in Loop: Header=BB6_11188 Depth=2
	v_mov_b64_e32 v[16:17], v[52:53]
	v_bfe_u32 v18, v52, 23, 1
; %bb.12185:                            ;   in Loop: Header=BB6_11188 Depth=2
	s_or_b32 exec_lo, exec_lo, s7
	s_delay_alu instid0(VALU_DEP_2) | instskip(NEXT) | instid1(VALU_DEP_2)
	v_lshrrev_b64 v[16:17], 20, v[16:17]
	v_cmp_gt_i32_e32 vcc_lo, 16, v18
	v_cmp_ne_u32_e64 s7, 0, v18
                                        ; implicit-def: $vgpr35
	s_delay_alu instid0(VALU_DEP_3) | instskip(NEXT) | instid1(VALU_DEP_1)
	v_dual_cndmask_b32 v17, 0, v17 :: v_dual_cndmask_b32 v16, 7, v16
	v_cmp_ne_u64_e32 vcc_lo, 0, v[16:17]
	s_or_b32 s7, s7, vcc_lo
	s_delay_alu instid0(SALU_CYCLE_1) | instskip(NEXT) | instid1(SALU_CYCLE_1)
	s_and_saveexec_b32 s40, s7
	s_xor_b32 s7, exec_lo, s40
; %bb.12186:                            ;   in Loop: Header=BB6_11188 Depth=2
	v_min_i32_e32 v17, 15, v18
	s_delay_alu instid0(VALU_DEP_1) | instskip(NEXT) | instid1(VALU_DEP_1)
	v_lshl_or_b32 v17, v17, 3, v74
                                        ; implicit-def: $vgpr74
	v_and_or_b32 v35, v16, 7, v17
; %bb.12187:                            ;   in Loop: Header=BB6_11188 Depth=2
	s_and_not1_saveexec_b32 s7, s7
; %bb.12188:                            ;   in Loop: Header=BB6_11188 Depth=2
	v_mov_b32_e32 v35, v74
; %bb.12189:                            ;   in Loop: Header=BB6_11188 Depth=2
	s_or_b32 exec_lo, exec_lo, s7
.LBB6_12190:                            ;   in Loop: Header=BB6_11188 Depth=2
	s_delay_alu instid0(SALU_CYCLE_1)
	s_or_b32 exec_lo, exec_lo, s29
                                        ; implicit-def: $vgpr74
.LBB6_12191:                            ;   in Loop: Header=BB6_11188 Depth=2
	s_and_not1_saveexec_b32 s7, s11
; %bb.12192:                            ;   in Loop: Header=BB6_11188 Depth=2
	v_or_b32_e32 v35, 0x7e, v74
; %bb.12193:                            ;   in Loop: Header=BB6_11188 Depth=2
	s_or_b32 exec_lo, exec_lo, s7
                                        ; implicit-def: $vgpr17
.LBB6_12194:                            ;   in Loop: Header=BB6_11188 Depth=2
	s_and_not1_saveexec_b32 s7, s10
; %bb.12195:                            ;   in Loop: Header=BB6_11188 Depth=2
	v_or_b32_e32 v35, 0x7f, v17
; %bb.12196:                            ;   in Loop: Header=BB6_11188 Depth=2
	s_or_b32 exec_lo, exec_lo, s7
	v_and_b32_e32 v16, 0xff, v64
	v_dual_mov_b32 v18, 0 :: v_dual_mov_b32 v19, 0
	s_mov_b32 s7, exec_lo
	s_delay_alu instid0(VALU_DEP_2)
	v_cmpx_ne_u16_e32 0, v16
	s_cbranch_execz .LBB6_12204
; %bb.12197:                            ;   in Loop: Header=BB6_11188 Depth=2
	v_bfrev_b32_e32 v19, 1
	s_mov_b32 s10, exec_lo
	v_cmpx_ne_u16_e32 0x80, v16
	s_cbranch_execz .LBB6_12203
; %bb.12198:                            ;   in Loop: Header=BB6_11188 Depth=2
	v_and_b32_e32 v17, 0x7f, v64
	v_mov_b32_e32 v19, 0x7f800001
	s_mov_b32 s11, exec_lo
	s_delay_alu instid0(VALU_DEP_2)
	v_cmpx_ne_u32_e32 0x7f, v17
	s_cbranch_execz .LBB6_12202
; %bb.12199:                            ;   in Loop: Header=BB6_11188 Depth=2
	v_dual_lshrrev_b32 v19, 3, v17 :: v_dual_bitop2_b32 v52, 7, v16 bitop3:0x40
	v_cmp_gt_u32_e32 vcc_lo, 8, v17
	s_delay_alu instid0(VALU_DEP_2)
	v_mov_b64_e32 v[16:17], v[52:53]
	s_and_saveexec_b32 s29, vcc_lo
; %bb.12200:                            ;   in Loop: Header=BB6_11188 Depth=2
	v_clz_i32_u32_e32 v16, v52
	s_delay_alu instid0(VALU_DEP_1) | instskip(NEXT) | instid1(VALU_DEP_1)
	v_min_u32_e32 v19, 32, v16
	v_subrev_nc_u32_e32 v16, 28, v19
	s_delay_alu instid0(VALU_DEP_1) | instskip(NEXT) | instid1(VALU_DEP_1)
	v_lshlrev_b64_e32 v[16:17], v16, v[52:53]
	v_dual_sub_nc_u32 v19, 29, v19 :: v_dual_bitop2_b32 v16, 7, v16 bitop3:0x40
; %bb.12201:                            ;   in Loop: Header=BB6_11188 Depth=2
	s_or_b32 exec_lo, exec_lo, s29
	v_lshlrev_b32_e32 v17, 24, v64
	s_delay_alu instid0(VALU_DEP_2) | instskip(NEXT) | instid1(VALU_DEP_3)
	v_lshlrev_b32_e32 v16, 20, v16
	v_lshl_add_u32 v19, v19, 23, 0x3c000000
	s_delay_alu instid0(VALU_DEP_3) | instskip(NEXT) | instid1(VALU_DEP_1)
	v_and_b32_e32 v17, 0x80000000, v17
	v_or3_b32 v19, v16, v17, v19
.LBB6_12202:                            ;   in Loop: Header=BB6_11188 Depth=2
	s_or_b32 exec_lo, exec_lo, s11
.LBB6_12203:                            ;   in Loop: Header=BB6_11188 Depth=2
	s_delay_alu instid0(SALU_CYCLE_1)
	s_or_b32 exec_lo, exec_lo, s10
.LBB6_12204:                            ;   in Loop: Header=BB6_11188 Depth=2
	s_delay_alu instid0(SALU_CYCLE_1) | instskip(SKIP_3) | instid1(VALU_DEP_1)
	s_or_b32 exec_lo, exec_lo, s7
	s_wait_loadcnt_dscnt 0x1c1c
	v_and_b32_e32 v16, 0xff, v73
	s_mov_b32 s7, exec_lo
	v_cmpx_ne_u16_e32 0, v16
	s_cbranch_execz .LBB6_12212
; %bb.12205:                            ;   in Loop: Header=BB6_11188 Depth=2
	v_bfrev_b32_e32 v18, 1
	s_mov_b32 s10, exec_lo
	v_cmpx_ne_u16_e32 0x80, v16
	s_cbranch_execz .LBB6_12211
; %bb.12206:                            ;   in Loop: Header=BB6_11188 Depth=2
	v_and_b32_e32 v17, 0x7f, v73
	v_mov_b32_e32 v18, 0x7f800001
	s_mov_b32 s11, exec_lo
	s_delay_alu instid0(VALU_DEP_2)
	v_cmpx_ne_u32_e32 0x7f, v17
	s_cbranch_execz .LBB6_12210
; %bb.12207:                            ;   in Loop: Header=BB6_11188 Depth=2
	v_dual_lshrrev_b32 v18, 3, v17 :: v_dual_bitop2_b32 v52, 7, v16 bitop3:0x40
	v_cmp_gt_u32_e32 vcc_lo, 8, v17
	s_delay_alu instid0(VALU_DEP_2)
	v_mov_b64_e32 v[16:17], v[52:53]
	s_and_saveexec_b32 s29, vcc_lo
; %bb.12208:                            ;   in Loop: Header=BB6_11188 Depth=2
	v_clz_i32_u32_e32 v16, v52
	s_delay_alu instid0(VALU_DEP_1) | instskip(NEXT) | instid1(VALU_DEP_1)
	v_min_u32_e32 v18, 32, v16
	v_subrev_nc_u32_e32 v16, 28, v18
	s_delay_alu instid0(VALU_DEP_1) | instskip(NEXT) | instid1(VALU_DEP_1)
	v_lshlrev_b64_e32 v[16:17], v16, v[52:53]
	v_dual_sub_nc_u32 v18, 29, v18 :: v_dual_bitop2_b32 v16, 7, v16 bitop3:0x40
; %bb.12209:                            ;   in Loop: Header=BB6_11188 Depth=2
	s_or_b32 exec_lo, exec_lo, s29
	s_delay_alu instid0(VALU_DEP_1) | instskip(NEXT) | instid1(VALU_DEP_2)
	v_dual_lshlrev_b32 v17, 24, v73 :: v_dual_lshlrev_b32 v16, 20, v16
	v_lshl_add_u32 v18, v18, 23, 0x3c000000
	s_delay_alu instid0(VALU_DEP_2) | instskip(NEXT) | instid1(VALU_DEP_1)
	v_and_b32_e32 v17, 0x80000000, v17
	v_or3_b32 v18, v16, v17, v18
.LBB6_12210:                            ;   in Loop: Header=BB6_11188 Depth=2
	s_or_b32 exec_lo, exec_lo, s11
.LBB6_12211:                            ;   in Loop: Header=BB6_11188 Depth=2
	s_delay_alu instid0(SALU_CYCLE_1)
	s_or_b32 exec_lo, exec_lo, s10
.LBB6_12212:                            ;   in Loop: Header=BB6_11188 Depth=2
	s_delay_alu instid0(SALU_CYCLE_1) | instskip(NEXT) | instid1(VALU_DEP_1)
	s_or_b32 exec_lo, exec_lo, s7
	v_add_f32_e32 v16, v19, v18
                                        ; implicit-def: $vgpr64
	s_mov_b32 s7, exec_lo
	s_delay_alu instid0(VALU_DEP_1) | instskip(SKIP_1) | instid1(VALU_DEP_2)
	v_and_b32_e32 v52, 0x7f800000, v16
	v_lshrrev_b32_e32 v17, 24, v16
	v_cmpx_ne_u64_e32 0x7f800000, v[52:53]
	s_xor_b32 s10, exec_lo, s7
	s_cbranch_execz .LBB6_12230
; %bb.12213:                            ;   in Loop: Header=BB6_11188 Depth=2
	v_and_b32_e32 v52, 0x7fffffff, v16
	v_and_b32_e32 v73, 0x80, v17
                                        ; implicit-def: $vgpr64
	s_mov_b32 s7, exec_lo
	s_delay_alu instid0(VALU_DEP_2)
	v_cmpx_gt_u64_e32 0x43e00001, v[52:53]
	s_xor_b32 s11, exec_lo, s7
	s_cbranch_execz .LBB6_12227
; %bb.12214:                            ;   in Loop: Header=BB6_11188 Depth=2
	v_mov_b32_e32 v64, 0
	s_mov_b32 s29, exec_lo
	v_cmpx_ne_u32_e32 0, v16
	s_cbranch_execz .LBB6_12226
; %bb.12215:                            ;   in Loop: Header=BB6_11188 Depth=2
	v_bfe_u32 v64, v16, 23, 8
	v_and_b32_e32 v17, 0x7fffff, v16
	s_delay_alu instid0(VALU_DEP_2) | instskip(SKIP_2) | instid1(VALU_DEP_4)
	v_cmp_gt_u32_e64 s7, 0x7a, v64
	v_sub_nc_u32_e32 v16, 0x79, v64
	v_cmp_eq_u32_e32 vcc_lo, 0, v64
	v_or_b32_e32 v18, 0x800000, v17
	s_delay_alu instid0(VALU_DEP_1) | instskip(NEXT) | instid1(VALU_DEP_1)
	v_dual_cndmask_b32 v16, 0, v16, s7 :: v_dual_cndmask_b32 v52, v18, v17, vcc_lo
	v_cndmask_b32_e64 v74, v16, 0x78, vcc_lo
	s_delay_alu instid0(VALU_DEP_1) | instskip(NEXT) | instid1(VALU_DEP_1)
	v_dual_add_nc_u32 v16, 20, v74 :: v_dual_add_nc_u32 v18, 19, v74
	v_lshlrev_b64_e64 v[16:17], v16, -1
	s_delay_alu instid0(VALU_DEP_2) | instskip(NEXT) | instid1(VALU_DEP_2)
	v_lshlrev_b64_e64 v[18:19], v18, 1
	v_bfi_b32 v17, v17, 0, 0
	s_delay_alu instid0(VALU_DEP_3) | instskip(NEXT) | instid1(VALU_DEP_1)
	v_bfi_b32 v16, v16, 0, v52
	v_cmp_eq_u64_e64 s7, v[16:17], v[18:19]
	v_lshrrev_b64 v[16:17], v74, v[52:53]
	s_delay_alu instid0(VALU_DEP_1)
	v_mov_b64_e32 v[18:19], v[16:17]
	s_and_saveexec_b32 s40, s7
; %bb.12216:                            ;   in Loop: Header=BB6_11188 Depth=2
	v_bfe_u32 v52, v16, 20, 1
	s_delay_alu instid0(VALU_DEP_1) | instskip(NEXT) | instid1(VALU_DEP_1)
	v_add_nc_u64_e32 v[18:19], v[16:17], v[52:53]
	v_add_nc_u64_e32 v[18:19], -1, v[18:19]
; %bb.12217:                            ;   in Loop: Header=BB6_11188 Depth=2
	s_or_b32 exec_lo, exec_lo, s40
	v_add_nc_u32_e32 v17, 0xffffff81, v64
	v_lshrrev_b32_e32 v19, 23, v16
	s_mov_b32 s7, exec_lo
	s_delay_alu instid0(VALU_DEP_2) | instskip(NEXT) | instid1(VALU_DEP_1)
	v_cndmask_b32_e64 v17, v17, 0xffffff82, vcc_lo
	v_add3_u32 v19, v74, v17, v19
	v_and_b32_e32 v17, 0xfffff, v18
                                        ; implicit-def: $vgpr18
	s_delay_alu instid0(VALU_DEP_1) | instskip(NEXT) | instid1(VALU_DEP_1)
	v_dual_add_nc_u32 v64, 6, v19 :: v_dual_add_nc_u32 v52, v17, v16
                                        ; implicit-def: $vgpr16_vgpr17
	v_cmpx_ne_u32_e32 0, v64
	s_xor_b32 s7, exec_lo, s7
; %bb.12218:                            ;   in Loop: Header=BB6_11188 Depth=2
	s_delay_alu instid0(VALU_DEP_2) | instskip(SKIP_1) | instid1(VALU_DEP_1)
	v_cmp_lt_u64_e32 vcc_lo, 0xffffff, v[52:53]
	v_add_nc_u32_e32 v16, 7, v19
	v_cndmask_b32_e32 v18, v64, v16, vcc_lo
	v_cndmask_b32_e64 v16, 0, 1, vcc_lo
	s_delay_alu instid0(VALU_DEP_1)
	v_lshrrev_b64 v[16:17], v16, v[52:53]
; %bb.12219:                            ;   in Loop: Header=BB6_11188 Depth=2
	s_and_not1_saveexec_b32 s7, s7
; %bb.12220:                            ;   in Loop: Header=BB6_11188 Depth=2
	v_mov_b64_e32 v[16:17], v[52:53]
	v_bfe_u32 v18, v52, 23, 1
; %bb.12221:                            ;   in Loop: Header=BB6_11188 Depth=2
	s_or_b32 exec_lo, exec_lo, s7
	s_delay_alu instid0(VALU_DEP_2) | instskip(NEXT) | instid1(VALU_DEP_2)
	v_lshrrev_b64 v[16:17], 20, v[16:17]
	v_cmp_gt_i32_e32 vcc_lo, 16, v18
	v_cmp_ne_u32_e64 s7, 0, v18
                                        ; implicit-def: $vgpr64
	s_delay_alu instid0(VALU_DEP_3) | instskip(NEXT) | instid1(VALU_DEP_1)
	v_dual_cndmask_b32 v17, 0, v17 :: v_dual_cndmask_b32 v16, 7, v16
	v_cmp_ne_u64_e32 vcc_lo, 0, v[16:17]
	s_or_b32 s7, s7, vcc_lo
	s_delay_alu instid0(SALU_CYCLE_1) | instskip(NEXT) | instid1(SALU_CYCLE_1)
	s_and_saveexec_b32 s40, s7
	s_xor_b32 s7, exec_lo, s40
; %bb.12222:                            ;   in Loop: Header=BB6_11188 Depth=2
	v_min_i32_e32 v17, 15, v18
	s_delay_alu instid0(VALU_DEP_1) | instskip(NEXT) | instid1(VALU_DEP_1)
	v_lshl_or_b32 v17, v17, 3, v73
                                        ; implicit-def: $vgpr73
	v_and_or_b32 v64, v16, 7, v17
; %bb.12223:                            ;   in Loop: Header=BB6_11188 Depth=2
	s_and_not1_saveexec_b32 s7, s7
; %bb.12224:                            ;   in Loop: Header=BB6_11188 Depth=2
	v_mov_b32_e32 v64, v73
; %bb.12225:                            ;   in Loop: Header=BB6_11188 Depth=2
	s_or_b32 exec_lo, exec_lo, s7
.LBB6_12226:                            ;   in Loop: Header=BB6_11188 Depth=2
	s_delay_alu instid0(SALU_CYCLE_1)
	s_or_b32 exec_lo, exec_lo, s29
                                        ; implicit-def: $vgpr73
.LBB6_12227:                            ;   in Loop: Header=BB6_11188 Depth=2
	s_and_not1_saveexec_b32 s7, s11
; %bb.12228:                            ;   in Loop: Header=BB6_11188 Depth=2
	v_or_b32_e32 v64, 0x7e, v73
; %bb.12229:                            ;   in Loop: Header=BB6_11188 Depth=2
	s_or_b32 exec_lo, exec_lo, s7
                                        ; implicit-def: $vgpr17
.LBB6_12230:                            ;   in Loop: Header=BB6_11188 Depth=2
	s_and_not1_saveexec_b32 s7, s10
; %bb.12231:                            ;   in Loop: Header=BB6_11188 Depth=2
	v_or_b32_e32 v64, 0x7f, v17
; %bb.12232:                            ;   in Loop: Header=BB6_11188 Depth=2
	s_or_b32 exec_lo, exec_lo, s7
	v_and_b32_e32 v16, 0xff, v100
	v_dual_mov_b32 v18, 0 :: v_dual_mov_b32 v19, 0
	s_mov_b32 s7, exec_lo
	s_delay_alu instid0(VALU_DEP_2)
	v_cmpx_ne_u16_e32 0, v16
	s_cbranch_execz .LBB6_12240
; %bb.12233:                            ;   in Loop: Header=BB6_11188 Depth=2
	v_bfrev_b32_e32 v19, 1
	s_mov_b32 s10, exec_lo
	v_cmpx_ne_u16_e32 0x80, v16
	s_cbranch_execz .LBB6_12239
; %bb.12234:                            ;   in Loop: Header=BB6_11188 Depth=2
	v_and_b32_e32 v17, 0x7f, v100
	v_mov_b32_e32 v19, 0x7f800001
	s_mov_b32 s11, exec_lo
	s_delay_alu instid0(VALU_DEP_2)
	v_cmpx_ne_u32_e32 0x7f, v17
	s_cbranch_execz .LBB6_12238
; %bb.12235:                            ;   in Loop: Header=BB6_11188 Depth=2
	v_dual_lshrrev_b32 v19, 3, v17 :: v_dual_bitop2_b32 v52, 7, v16 bitop3:0x40
	v_cmp_gt_u32_e32 vcc_lo, 8, v17
	s_delay_alu instid0(VALU_DEP_2)
	v_mov_b64_e32 v[16:17], v[52:53]
	s_and_saveexec_b32 s29, vcc_lo
; %bb.12236:                            ;   in Loop: Header=BB6_11188 Depth=2
	v_clz_i32_u32_e32 v16, v52
	s_delay_alu instid0(VALU_DEP_1) | instskip(NEXT) | instid1(VALU_DEP_1)
	v_min_u32_e32 v19, 32, v16
	v_subrev_nc_u32_e32 v16, 28, v19
	s_delay_alu instid0(VALU_DEP_1) | instskip(NEXT) | instid1(VALU_DEP_1)
	v_lshlrev_b64_e32 v[16:17], v16, v[52:53]
	v_dual_sub_nc_u32 v19, 29, v19 :: v_dual_bitop2_b32 v16, 7, v16 bitop3:0x40
; %bb.12237:                            ;   in Loop: Header=BB6_11188 Depth=2
	s_or_b32 exec_lo, exec_lo, s29
	v_lshlrev_b32_e32 v17, 24, v100
	s_delay_alu instid0(VALU_DEP_2) | instskip(NEXT) | instid1(VALU_DEP_3)
	v_lshlrev_b32_e32 v16, 20, v16
	v_lshl_add_u32 v19, v19, 23, 0x3c000000
	s_delay_alu instid0(VALU_DEP_3) | instskip(NEXT) | instid1(VALU_DEP_1)
	v_and_b32_e32 v17, 0x80000000, v17
	v_or3_b32 v19, v16, v17, v19
.LBB6_12238:                            ;   in Loop: Header=BB6_11188 Depth=2
	s_or_b32 exec_lo, exec_lo, s11
.LBB6_12239:                            ;   in Loop: Header=BB6_11188 Depth=2
	s_delay_alu instid0(SALU_CYCLE_1)
	s_or_b32 exec_lo, exec_lo, s10
.LBB6_12240:                            ;   in Loop: Header=BB6_11188 Depth=2
	s_delay_alu instid0(SALU_CYCLE_1) | instskip(SKIP_3) | instid1(VALU_DEP_1)
	s_or_b32 exec_lo, exec_lo, s7
	s_wait_loadcnt_dscnt 0x1b1b
	v_and_b32_e32 v16, 0xff, v72
	s_mov_b32 s7, exec_lo
	v_cmpx_ne_u16_e32 0, v16
	s_cbranch_execz .LBB6_12248
; %bb.12241:                            ;   in Loop: Header=BB6_11188 Depth=2
	v_bfrev_b32_e32 v18, 1
	s_mov_b32 s10, exec_lo
	v_cmpx_ne_u16_e32 0x80, v16
	s_cbranch_execz .LBB6_12247
; %bb.12242:                            ;   in Loop: Header=BB6_11188 Depth=2
	v_and_b32_e32 v17, 0x7f, v72
	v_mov_b32_e32 v18, 0x7f800001
	s_mov_b32 s11, exec_lo
	s_delay_alu instid0(VALU_DEP_2)
	v_cmpx_ne_u32_e32 0x7f, v17
	s_cbranch_execz .LBB6_12246
; %bb.12243:                            ;   in Loop: Header=BB6_11188 Depth=2
	v_dual_lshrrev_b32 v18, 3, v17 :: v_dual_bitop2_b32 v52, 7, v16 bitop3:0x40
	v_cmp_gt_u32_e32 vcc_lo, 8, v17
	s_delay_alu instid0(VALU_DEP_2)
	v_mov_b64_e32 v[16:17], v[52:53]
	s_and_saveexec_b32 s29, vcc_lo
; %bb.12244:                            ;   in Loop: Header=BB6_11188 Depth=2
	v_clz_i32_u32_e32 v16, v52
	s_delay_alu instid0(VALU_DEP_1) | instskip(NEXT) | instid1(VALU_DEP_1)
	v_min_u32_e32 v18, 32, v16
	v_subrev_nc_u32_e32 v16, 28, v18
	s_delay_alu instid0(VALU_DEP_1) | instskip(NEXT) | instid1(VALU_DEP_1)
	v_lshlrev_b64_e32 v[16:17], v16, v[52:53]
	v_dual_sub_nc_u32 v18, 29, v18 :: v_dual_bitop2_b32 v16, 7, v16 bitop3:0x40
; %bb.12245:                            ;   in Loop: Header=BB6_11188 Depth=2
	s_or_b32 exec_lo, exec_lo, s29
	v_lshlrev_b32_e32 v17, 24, v72
	s_delay_alu instid0(VALU_DEP_2) | instskip(NEXT) | instid1(VALU_DEP_3)
	v_lshlrev_b32_e32 v16, 20, v16
	v_lshl_add_u32 v18, v18, 23, 0x3c000000
	s_delay_alu instid0(VALU_DEP_3) | instskip(NEXT) | instid1(VALU_DEP_1)
	v_and_b32_e32 v17, 0x80000000, v17
	v_or3_b32 v18, v16, v17, v18
.LBB6_12246:                            ;   in Loop: Header=BB6_11188 Depth=2
	s_or_b32 exec_lo, exec_lo, s11
.LBB6_12247:                            ;   in Loop: Header=BB6_11188 Depth=2
	s_delay_alu instid0(SALU_CYCLE_1)
	s_or_b32 exec_lo, exec_lo, s10
.LBB6_12248:                            ;   in Loop: Header=BB6_11188 Depth=2
	s_delay_alu instid0(SALU_CYCLE_1) | instskip(NEXT) | instid1(VALU_DEP_1)
	s_or_b32 exec_lo, exec_lo, s7
	v_add_f32_e32 v16, v19, v18
                                        ; implicit-def: $vgpr100
	s_mov_b32 s7, exec_lo
	s_delay_alu instid0(VALU_DEP_1) | instskip(SKIP_1) | instid1(VALU_DEP_2)
	v_and_b32_e32 v52, 0x7f800000, v16
	v_lshrrev_b32_e32 v17, 24, v16
	v_cmpx_ne_u64_e32 0x7f800000, v[52:53]
	s_xor_b32 s10, exec_lo, s7
	s_cbranch_execz .LBB6_12266
; %bb.12249:                            ;   in Loop: Header=BB6_11188 Depth=2
	v_and_b32_e32 v52, 0x7fffffff, v16
	v_and_b32_e32 v72, 0x80, v17
                                        ; implicit-def: $vgpr100
	s_mov_b32 s7, exec_lo
	s_delay_alu instid0(VALU_DEP_2)
	v_cmpx_gt_u64_e32 0x43e00001, v[52:53]
	s_xor_b32 s11, exec_lo, s7
	s_cbranch_execz .LBB6_12263
; %bb.12250:                            ;   in Loop: Header=BB6_11188 Depth=2
	v_mov_b32_e32 v100, 0
	s_mov_b32 s29, exec_lo
	v_cmpx_ne_u32_e32 0, v16
	s_cbranch_execz .LBB6_12262
; %bb.12251:                            ;   in Loop: Header=BB6_11188 Depth=2
	v_bfe_u32 v100, v16, 23, 8
	v_and_b32_e32 v17, 0x7fffff, v16
	s_delay_alu instid0(VALU_DEP_2) | instskip(SKIP_2) | instid1(VALU_DEP_4)
	v_cmp_gt_u32_e64 s7, 0x7a, v100
	v_sub_nc_u32_e32 v16, 0x79, v100
	v_cmp_eq_u32_e32 vcc_lo, 0, v100
	v_or_b32_e32 v18, 0x800000, v17
	s_delay_alu instid0(VALU_DEP_1) | instskip(NEXT) | instid1(VALU_DEP_1)
	v_dual_cndmask_b32 v16, 0, v16, s7 :: v_dual_cndmask_b32 v52, v18, v17, vcc_lo
	v_cndmask_b32_e64 v73, v16, 0x78, vcc_lo
	s_delay_alu instid0(VALU_DEP_1) | instskip(NEXT) | instid1(VALU_DEP_1)
	v_dual_add_nc_u32 v16, 20, v73 :: v_dual_add_nc_u32 v18, 19, v73
	v_lshlrev_b64_e64 v[16:17], v16, -1
	s_delay_alu instid0(VALU_DEP_2) | instskip(NEXT) | instid1(VALU_DEP_2)
	v_lshlrev_b64_e64 v[18:19], v18, 1
	v_bfi_b32 v17, v17, 0, 0
	s_delay_alu instid0(VALU_DEP_3) | instskip(NEXT) | instid1(VALU_DEP_1)
	v_bfi_b32 v16, v16, 0, v52
	v_cmp_eq_u64_e64 s7, v[16:17], v[18:19]
	v_lshrrev_b64 v[16:17], v73, v[52:53]
	s_delay_alu instid0(VALU_DEP_1)
	v_mov_b64_e32 v[18:19], v[16:17]
	s_and_saveexec_b32 s40, s7
; %bb.12252:                            ;   in Loop: Header=BB6_11188 Depth=2
	v_bfe_u32 v52, v16, 20, 1
	s_delay_alu instid0(VALU_DEP_1) | instskip(NEXT) | instid1(VALU_DEP_1)
	v_add_nc_u64_e32 v[18:19], v[16:17], v[52:53]
	v_add_nc_u64_e32 v[18:19], -1, v[18:19]
; %bb.12253:                            ;   in Loop: Header=BB6_11188 Depth=2
	s_or_b32 exec_lo, exec_lo, s40
	v_add_nc_u32_e32 v17, 0xffffff81, v100
	v_lshrrev_b32_e32 v19, 23, v16
	s_mov_b32 s7, exec_lo
	s_delay_alu instid0(VALU_DEP_2) | instskip(NEXT) | instid1(VALU_DEP_1)
	v_cndmask_b32_e64 v17, v17, 0xffffff82, vcc_lo
	v_add3_u32 v19, v73, v17, v19
	v_and_b32_e32 v17, 0xfffff, v18
                                        ; implicit-def: $vgpr18
	s_delay_alu instid0(VALU_DEP_1) | instskip(NEXT) | instid1(VALU_DEP_1)
	v_dual_add_nc_u32 v100, 6, v19 :: v_dual_add_nc_u32 v52, v17, v16
                                        ; implicit-def: $vgpr16_vgpr17
	v_cmpx_ne_u32_e32 0, v100
	s_xor_b32 s7, exec_lo, s7
; %bb.12254:                            ;   in Loop: Header=BB6_11188 Depth=2
	s_delay_alu instid0(VALU_DEP_2) | instskip(SKIP_1) | instid1(VALU_DEP_1)
	v_cmp_lt_u64_e32 vcc_lo, 0xffffff, v[52:53]
	v_add_nc_u32_e32 v16, 7, v19
	v_cndmask_b32_e32 v18, v100, v16, vcc_lo
	v_cndmask_b32_e64 v16, 0, 1, vcc_lo
	s_delay_alu instid0(VALU_DEP_1)
	v_lshrrev_b64 v[16:17], v16, v[52:53]
; %bb.12255:                            ;   in Loop: Header=BB6_11188 Depth=2
	s_and_not1_saveexec_b32 s7, s7
; %bb.12256:                            ;   in Loop: Header=BB6_11188 Depth=2
	v_mov_b64_e32 v[16:17], v[52:53]
	v_bfe_u32 v18, v52, 23, 1
; %bb.12257:                            ;   in Loop: Header=BB6_11188 Depth=2
	s_or_b32 exec_lo, exec_lo, s7
	s_delay_alu instid0(VALU_DEP_2) | instskip(NEXT) | instid1(VALU_DEP_2)
	v_lshrrev_b64 v[16:17], 20, v[16:17]
	v_cmp_gt_i32_e32 vcc_lo, 16, v18
	v_cmp_ne_u32_e64 s7, 0, v18
                                        ; implicit-def: $vgpr100
	s_delay_alu instid0(VALU_DEP_3) | instskip(NEXT) | instid1(VALU_DEP_1)
	v_dual_cndmask_b32 v17, 0, v17 :: v_dual_cndmask_b32 v16, 7, v16
	v_cmp_ne_u64_e32 vcc_lo, 0, v[16:17]
	s_or_b32 s7, s7, vcc_lo
	s_delay_alu instid0(SALU_CYCLE_1) | instskip(NEXT) | instid1(SALU_CYCLE_1)
	s_and_saveexec_b32 s40, s7
	s_xor_b32 s7, exec_lo, s40
; %bb.12258:                            ;   in Loop: Header=BB6_11188 Depth=2
	v_min_i32_e32 v17, 15, v18
	s_delay_alu instid0(VALU_DEP_1) | instskip(NEXT) | instid1(VALU_DEP_1)
	v_lshl_or_b32 v17, v17, 3, v72
                                        ; implicit-def: $vgpr72
	v_and_or_b32 v100, v16, 7, v17
; %bb.12259:                            ;   in Loop: Header=BB6_11188 Depth=2
	s_and_not1_saveexec_b32 s7, s7
; %bb.12260:                            ;   in Loop: Header=BB6_11188 Depth=2
	v_mov_b32_e32 v100, v72
; %bb.12261:                            ;   in Loop: Header=BB6_11188 Depth=2
	s_or_b32 exec_lo, exec_lo, s7
.LBB6_12262:                            ;   in Loop: Header=BB6_11188 Depth=2
	s_delay_alu instid0(SALU_CYCLE_1)
	s_or_b32 exec_lo, exec_lo, s29
                                        ; implicit-def: $vgpr72
.LBB6_12263:                            ;   in Loop: Header=BB6_11188 Depth=2
	s_and_not1_saveexec_b32 s7, s11
; %bb.12264:                            ;   in Loop: Header=BB6_11188 Depth=2
	v_or_b32_e32 v100, 0x7e, v72
; %bb.12265:                            ;   in Loop: Header=BB6_11188 Depth=2
	s_or_b32 exec_lo, exec_lo, s7
                                        ; implicit-def: $vgpr17
.LBB6_12266:                            ;   in Loop: Header=BB6_11188 Depth=2
	s_and_not1_saveexec_b32 s7, s10
; %bb.12267:                            ;   in Loop: Header=BB6_11188 Depth=2
	v_or_b32_e32 v100, 0x7f, v17
; %bb.12268:                            ;   in Loop: Header=BB6_11188 Depth=2
	s_or_b32 exec_lo, exec_lo, s7
	v_and_b32_e32 v16, 0xff, v112
	v_dual_mov_b32 v18, 0 :: v_dual_mov_b32 v19, 0
	s_mov_b32 s7, exec_lo
	s_delay_alu instid0(VALU_DEP_2)
	v_cmpx_ne_u16_e32 0, v16
	s_cbranch_execz .LBB6_12276
; %bb.12269:                            ;   in Loop: Header=BB6_11188 Depth=2
	v_bfrev_b32_e32 v19, 1
	s_mov_b32 s10, exec_lo
	v_cmpx_ne_u16_e32 0x80, v16
	s_cbranch_execz .LBB6_12275
; %bb.12270:                            ;   in Loop: Header=BB6_11188 Depth=2
	v_and_b32_e32 v17, 0x7f, v112
	v_mov_b32_e32 v19, 0x7f800001
	s_mov_b32 s11, exec_lo
	s_delay_alu instid0(VALU_DEP_2)
	v_cmpx_ne_u32_e32 0x7f, v17
	s_cbranch_execz .LBB6_12274
; %bb.12271:                            ;   in Loop: Header=BB6_11188 Depth=2
	v_dual_lshrrev_b32 v19, 3, v17 :: v_dual_bitop2_b32 v52, 7, v16 bitop3:0x40
	v_cmp_gt_u32_e32 vcc_lo, 8, v17
	s_delay_alu instid0(VALU_DEP_2)
	v_mov_b64_e32 v[16:17], v[52:53]
	s_and_saveexec_b32 s29, vcc_lo
; %bb.12272:                            ;   in Loop: Header=BB6_11188 Depth=2
	v_clz_i32_u32_e32 v16, v52
	s_delay_alu instid0(VALU_DEP_1) | instskip(NEXT) | instid1(VALU_DEP_1)
	v_min_u32_e32 v19, 32, v16
	v_subrev_nc_u32_e32 v16, 28, v19
	s_delay_alu instid0(VALU_DEP_1) | instskip(NEXT) | instid1(VALU_DEP_1)
	v_lshlrev_b64_e32 v[16:17], v16, v[52:53]
	v_dual_sub_nc_u32 v19, 29, v19 :: v_dual_bitop2_b32 v16, 7, v16 bitop3:0x40
; %bb.12273:                            ;   in Loop: Header=BB6_11188 Depth=2
	s_or_b32 exec_lo, exec_lo, s29
	v_lshlrev_b32_e32 v17, 24, v112
	s_delay_alu instid0(VALU_DEP_2) | instskip(NEXT) | instid1(VALU_DEP_3)
	v_lshlrev_b32_e32 v16, 20, v16
	v_lshl_add_u32 v19, v19, 23, 0x3c000000
	s_delay_alu instid0(VALU_DEP_3) | instskip(NEXT) | instid1(VALU_DEP_1)
	v_and_b32_e32 v17, 0x80000000, v17
	v_or3_b32 v19, v16, v17, v19
.LBB6_12274:                            ;   in Loop: Header=BB6_11188 Depth=2
	s_or_b32 exec_lo, exec_lo, s11
.LBB6_12275:                            ;   in Loop: Header=BB6_11188 Depth=2
	s_delay_alu instid0(SALU_CYCLE_1)
	s_or_b32 exec_lo, exec_lo, s10
.LBB6_12276:                            ;   in Loop: Header=BB6_11188 Depth=2
	s_delay_alu instid0(SALU_CYCLE_1) | instskip(SKIP_3) | instid1(VALU_DEP_1)
	s_or_b32 exec_lo, exec_lo, s7
	s_wait_loadcnt_dscnt 0x1a1a
	v_and_b32_e32 v16, 0xff, v63
	s_mov_b32 s7, exec_lo
	v_cmpx_ne_u16_e32 0, v16
	s_cbranch_execz .LBB6_12284
; %bb.12277:                            ;   in Loop: Header=BB6_11188 Depth=2
	v_bfrev_b32_e32 v18, 1
	s_mov_b32 s10, exec_lo
	v_cmpx_ne_u16_e32 0x80, v16
	s_cbranch_execz .LBB6_12283
; %bb.12278:                            ;   in Loop: Header=BB6_11188 Depth=2
	v_and_b32_e32 v17, 0x7f, v63
	v_mov_b32_e32 v18, 0x7f800001
	s_mov_b32 s11, exec_lo
	s_delay_alu instid0(VALU_DEP_2)
	v_cmpx_ne_u32_e32 0x7f, v17
	s_cbranch_execz .LBB6_12282
; %bb.12279:                            ;   in Loop: Header=BB6_11188 Depth=2
	v_dual_lshrrev_b32 v18, 3, v17 :: v_dual_bitop2_b32 v52, 7, v16 bitop3:0x40
	v_cmp_gt_u32_e32 vcc_lo, 8, v17
	s_delay_alu instid0(VALU_DEP_2)
	v_mov_b64_e32 v[16:17], v[52:53]
	s_and_saveexec_b32 s29, vcc_lo
; %bb.12280:                            ;   in Loop: Header=BB6_11188 Depth=2
	v_clz_i32_u32_e32 v16, v52
	s_delay_alu instid0(VALU_DEP_1) | instskip(NEXT) | instid1(VALU_DEP_1)
	v_min_u32_e32 v18, 32, v16
	v_subrev_nc_u32_e32 v16, 28, v18
	s_delay_alu instid0(VALU_DEP_1) | instskip(NEXT) | instid1(VALU_DEP_1)
	v_lshlrev_b64_e32 v[16:17], v16, v[52:53]
	v_dual_sub_nc_u32 v18, 29, v18 :: v_dual_bitop2_b32 v16, 7, v16 bitop3:0x40
; %bb.12281:                            ;   in Loop: Header=BB6_11188 Depth=2
	s_or_b32 exec_lo, exec_lo, s29
	s_delay_alu instid0(VALU_DEP_1) | instskip(NEXT) | instid1(VALU_DEP_2)
	v_dual_lshlrev_b32 v17, 24, v63 :: v_dual_lshlrev_b32 v16, 20, v16
	v_lshl_add_u32 v18, v18, 23, 0x3c000000
	s_delay_alu instid0(VALU_DEP_2) | instskip(NEXT) | instid1(VALU_DEP_1)
	v_and_b32_e32 v17, 0x80000000, v17
	v_or3_b32 v18, v16, v17, v18
.LBB6_12282:                            ;   in Loop: Header=BB6_11188 Depth=2
	s_or_b32 exec_lo, exec_lo, s11
.LBB6_12283:                            ;   in Loop: Header=BB6_11188 Depth=2
	s_delay_alu instid0(SALU_CYCLE_1)
	s_or_b32 exec_lo, exec_lo, s10
.LBB6_12284:                            ;   in Loop: Header=BB6_11188 Depth=2
	s_delay_alu instid0(SALU_CYCLE_1) | instskip(NEXT) | instid1(VALU_DEP_1)
	s_or_b32 exec_lo, exec_lo, s7
	v_add_f32_e32 v16, v19, v18
                                        ; implicit-def: $vgpr112
	s_mov_b32 s7, exec_lo
	s_delay_alu instid0(VALU_DEP_1) | instskip(SKIP_1) | instid1(VALU_DEP_2)
	v_and_b32_e32 v52, 0x7f800000, v16
	v_lshrrev_b32_e32 v17, 24, v16
	v_cmpx_ne_u64_e32 0x7f800000, v[52:53]
	s_xor_b32 s10, exec_lo, s7
	s_cbranch_execz .LBB6_12302
; %bb.12285:                            ;   in Loop: Header=BB6_11188 Depth=2
	v_and_b32_e32 v52, 0x7fffffff, v16
	v_and_b32_e32 v63, 0x80, v17
                                        ; implicit-def: $vgpr112
	s_mov_b32 s7, exec_lo
	s_delay_alu instid0(VALU_DEP_2)
	v_cmpx_gt_u64_e32 0x43e00001, v[52:53]
	s_xor_b32 s11, exec_lo, s7
	s_cbranch_execz .LBB6_12299
; %bb.12286:                            ;   in Loop: Header=BB6_11188 Depth=2
	v_mov_b32_e32 v112, 0
	s_mov_b32 s29, exec_lo
	v_cmpx_ne_u32_e32 0, v16
	s_cbranch_execz .LBB6_12298
; %bb.12287:                            ;   in Loop: Header=BB6_11188 Depth=2
	v_bfe_u32 v112, v16, 23, 8
	v_and_b32_e32 v17, 0x7fffff, v16
	s_delay_alu instid0(VALU_DEP_2) | instskip(SKIP_2) | instid1(VALU_DEP_4)
	v_cmp_gt_u32_e64 s7, 0x7a, v112
	v_sub_nc_u32_e32 v16, 0x79, v112
	v_cmp_eq_u32_e32 vcc_lo, 0, v112
	v_or_b32_e32 v18, 0x800000, v17
	s_delay_alu instid0(VALU_DEP_1) | instskip(NEXT) | instid1(VALU_DEP_1)
	v_dual_cndmask_b32 v16, 0, v16, s7 :: v_dual_cndmask_b32 v52, v18, v17, vcc_lo
	v_cndmask_b32_e64 v72, v16, 0x78, vcc_lo
	s_delay_alu instid0(VALU_DEP_1) | instskip(NEXT) | instid1(VALU_DEP_1)
	v_dual_add_nc_u32 v16, 20, v72 :: v_dual_add_nc_u32 v18, 19, v72
	v_lshlrev_b64_e64 v[16:17], v16, -1
	s_delay_alu instid0(VALU_DEP_2) | instskip(NEXT) | instid1(VALU_DEP_2)
	v_lshlrev_b64_e64 v[18:19], v18, 1
	v_bfi_b32 v17, v17, 0, 0
	s_delay_alu instid0(VALU_DEP_3) | instskip(NEXT) | instid1(VALU_DEP_1)
	v_bfi_b32 v16, v16, 0, v52
	v_cmp_eq_u64_e64 s7, v[16:17], v[18:19]
	v_lshrrev_b64 v[16:17], v72, v[52:53]
	s_delay_alu instid0(VALU_DEP_1)
	v_mov_b64_e32 v[18:19], v[16:17]
	s_and_saveexec_b32 s40, s7
; %bb.12288:                            ;   in Loop: Header=BB6_11188 Depth=2
	v_bfe_u32 v52, v16, 20, 1
	s_delay_alu instid0(VALU_DEP_1) | instskip(NEXT) | instid1(VALU_DEP_1)
	v_add_nc_u64_e32 v[18:19], v[16:17], v[52:53]
	v_add_nc_u64_e32 v[18:19], -1, v[18:19]
; %bb.12289:                            ;   in Loop: Header=BB6_11188 Depth=2
	s_or_b32 exec_lo, exec_lo, s40
	v_add_nc_u32_e32 v17, 0xffffff81, v112
	v_lshrrev_b32_e32 v19, 23, v16
	s_mov_b32 s7, exec_lo
	s_delay_alu instid0(VALU_DEP_2) | instskip(NEXT) | instid1(VALU_DEP_1)
	v_cndmask_b32_e64 v17, v17, 0xffffff82, vcc_lo
	v_add3_u32 v19, v72, v17, v19
	v_and_b32_e32 v17, 0xfffff, v18
                                        ; implicit-def: $vgpr18
	s_delay_alu instid0(VALU_DEP_1) | instskip(NEXT) | instid1(VALU_DEP_1)
	v_dual_add_nc_u32 v112, 6, v19 :: v_dual_add_nc_u32 v52, v17, v16
                                        ; implicit-def: $vgpr16_vgpr17
	v_cmpx_ne_u32_e32 0, v112
	s_xor_b32 s7, exec_lo, s7
; %bb.12290:                            ;   in Loop: Header=BB6_11188 Depth=2
	s_delay_alu instid0(VALU_DEP_2) | instskip(SKIP_1) | instid1(VALU_DEP_1)
	v_cmp_lt_u64_e32 vcc_lo, 0xffffff, v[52:53]
	v_add_nc_u32_e32 v16, 7, v19
	v_cndmask_b32_e32 v18, v112, v16, vcc_lo
	v_cndmask_b32_e64 v16, 0, 1, vcc_lo
	s_delay_alu instid0(VALU_DEP_1)
	v_lshrrev_b64 v[16:17], v16, v[52:53]
; %bb.12291:                            ;   in Loop: Header=BB6_11188 Depth=2
	s_and_not1_saveexec_b32 s7, s7
; %bb.12292:                            ;   in Loop: Header=BB6_11188 Depth=2
	v_mov_b64_e32 v[16:17], v[52:53]
	v_bfe_u32 v18, v52, 23, 1
; %bb.12293:                            ;   in Loop: Header=BB6_11188 Depth=2
	s_or_b32 exec_lo, exec_lo, s7
	s_delay_alu instid0(VALU_DEP_2) | instskip(NEXT) | instid1(VALU_DEP_2)
	v_lshrrev_b64 v[16:17], 20, v[16:17]
	v_cmp_gt_i32_e32 vcc_lo, 16, v18
	v_cmp_ne_u32_e64 s7, 0, v18
                                        ; implicit-def: $vgpr112
	s_delay_alu instid0(VALU_DEP_3) | instskip(NEXT) | instid1(VALU_DEP_1)
	v_dual_cndmask_b32 v17, 0, v17 :: v_dual_cndmask_b32 v16, 7, v16
	v_cmp_ne_u64_e32 vcc_lo, 0, v[16:17]
	s_or_b32 s7, s7, vcc_lo
	s_delay_alu instid0(SALU_CYCLE_1) | instskip(NEXT) | instid1(SALU_CYCLE_1)
	s_and_saveexec_b32 s40, s7
	s_xor_b32 s7, exec_lo, s40
; %bb.12294:                            ;   in Loop: Header=BB6_11188 Depth=2
	v_min_i32_e32 v17, 15, v18
	s_delay_alu instid0(VALU_DEP_1) | instskip(NEXT) | instid1(VALU_DEP_1)
	v_lshl_or_b32 v17, v17, 3, v63
                                        ; implicit-def: $vgpr63
	v_and_or_b32 v112, v16, 7, v17
; %bb.12295:                            ;   in Loop: Header=BB6_11188 Depth=2
	s_and_not1_saveexec_b32 s7, s7
; %bb.12296:                            ;   in Loop: Header=BB6_11188 Depth=2
	v_mov_b32_e32 v112, v63
; %bb.12297:                            ;   in Loop: Header=BB6_11188 Depth=2
	s_or_b32 exec_lo, exec_lo, s7
.LBB6_12298:                            ;   in Loop: Header=BB6_11188 Depth=2
	s_delay_alu instid0(SALU_CYCLE_1)
	s_or_b32 exec_lo, exec_lo, s29
                                        ; implicit-def: $vgpr63
.LBB6_12299:                            ;   in Loop: Header=BB6_11188 Depth=2
	s_and_not1_saveexec_b32 s7, s11
; %bb.12300:                            ;   in Loop: Header=BB6_11188 Depth=2
	v_or_b32_e32 v112, 0x7e, v63
; %bb.12301:                            ;   in Loop: Header=BB6_11188 Depth=2
	s_or_b32 exec_lo, exec_lo, s7
                                        ; implicit-def: $vgpr17
.LBB6_12302:                            ;   in Loop: Header=BB6_11188 Depth=2
	s_and_not1_saveexec_b32 s7, s10
; %bb.12303:                            ;   in Loop: Header=BB6_11188 Depth=2
	v_or_b32_e32 v112, 0x7f, v17
; %bb.12304:                            ;   in Loop: Header=BB6_11188 Depth=2
	s_or_b32 exec_lo, exec_lo, s7
	v_and_b32_e32 v16, 0xff, v103
	v_dual_mov_b32 v18, 0 :: v_dual_mov_b32 v19, 0
	s_mov_b32 s7, exec_lo
	s_delay_alu instid0(VALU_DEP_2)
	v_cmpx_ne_u16_e32 0, v16
	s_cbranch_execz .LBB6_12312
; %bb.12305:                            ;   in Loop: Header=BB6_11188 Depth=2
	v_bfrev_b32_e32 v19, 1
	s_mov_b32 s10, exec_lo
	v_cmpx_ne_u16_e32 0x80, v16
	s_cbranch_execz .LBB6_12311
; %bb.12306:                            ;   in Loop: Header=BB6_11188 Depth=2
	v_and_b32_e32 v17, 0x7f, v103
	v_mov_b32_e32 v19, 0x7f800001
	s_mov_b32 s11, exec_lo
	s_delay_alu instid0(VALU_DEP_2)
	v_cmpx_ne_u32_e32 0x7f, v17
	s_cbranch_execz .LBB6_12310
; %bb.12307:                            ;   in Loop: Header=BB6_11188 Depth=2
	v_dual_lshrrev_b32 v19, 3, v17 :: v_dual_bitop2_b32 v52, 7, v16 bitop3:0x40
	v_cmp_gt_u32_e32 vcc_lo, 8, v17
	s_delay_alu instid0(VALU_DEP_2)
	v_mov_b64_e32 v[16:17], v[52:53]
	s_and_saveexec_b32 s29, vcc_lo
; %bb.12308:                            ;   in Loop: Header=BB6_11188 Depth=2
	v_clz_i32_u32_e32 v16, v52
	s_delay_alu instid0(VALU_DEP_1) | instskip(NEXT) | instid1(VALU_DEP_1)
	v_min_u32_e32 v19, 32, v16
	v_subrev_nc_u32_e32 v16, 28, v19
	s_delay_alu instid0(VALU_DEP_1) | instskip(NEXT) | instid1(VALU_DEP_1)
	v_lshlrev_b64_e32 v[16:17], v16, v[52:53]
	v_dual_sub_nc_u32 v19, 29, v19 :: v_dual_bitop2_b32 v16, 7, v16 bitop3:0x40
; %bb.12309:                            ;   in Loop: Header=BB6_11188 Depth=2
	s_or_b32 exec_lo, exec_lo, s29
	s_delay_alu instid0(VALU_DEP_1) | instskip(NEXT) | instid1(VALU_DEP_2)
	v_dual_lshlrev_b32 v17, 24, v103 :: v_dual_lshlrev_b32 v16, 20, v16
	v_lshl_add_u32 v19, v19, 23, 0x3c000000
	s_delay_alu instid0(VALU_DEP_2) | instskip(NEXT) | instid1(VALU_DEP_1)
	v_and_b32_e32 v17, 0x80000000, v17
	v_or3_b32 v19, v16, v17, v19
.LBB6_12310:                            ;   in Loop: Header=BB6_11188 Depth=2
	s_or_b32 exec_lo, exec_lo, s11
.LBB6_12311:                            ;   in Loop: Header=BB6_11188 Depth=2
	s_delay_alu instid0(SALU_CYCLE_1)
	s_or_b32 exec_lo, exec_lo, s10
.LBB6_12312:                            ;   in Loop: Header=BB6_11188 Depth=2
	s_delay_alu instid0(SALU_CYCLE_1) | instskip(SKIP_3) | instid1(VALU_DEP_1)
	s_or_b32 exec_lo, exec_lo, s7
	s_wait_loadcnt_dscnt 0x1919
	v_and_b32_e32 v16, 0xff, v62
	s_mov_b32 s7, exec_lo
	v_cmpx_ne_u16_e32 0, v16
	s_cbranch_execz .LBB6_12320
; %bb.12313:                            ;   in Loop: Header=BB6_11188 Depth=2
	v_bfrev_b32_e32 v18, 1
	s_mov_b32 s10, exec_lo
	v_cmpx_ne_u16_e32 0x80, v16
	s_cbranch_execz .LBB6_12319
; %bb.12314:                            ;   in Loop: Header=BB6_11188 Depth=2
	v_and_b32_e32 v17, 0x7f, v62
	v_mov_b32_e32 v18, 0x7f800001
	s_mov_b32 s11, exec_lo
	s_delay_alu instid0(VALU_DEP_2)
	v_cmpx_ne_u32_e32 0x7f, v17
	s_cbranch_execz .LBB6_12318
; %bb.12315:                            ;   in Loop: Header=BB6_11188 Depth=2
	v_dual_lshrrev_b32 v18, 3, v17 :: v_dual_bitop2_b32 v52, 7, v16 bitop3:0x40
	v_cmp_gt_u32_e32 vcc_lo, 8, v17
	s_delay_alu instid0(VALU_DEP_2)
	v_mov_b64_e32 v[16:17], v[52:53]
	s_and_saveexec_b32 s29, vcc_lo
; %bb.12316:                            ;   in Loop: Header=BB6_11188 Depth=2
	v_clz_i32_u32_e32 v16, v52
	s_delay_alu instid0(VALU_DEP_1) | instskip(NEXT) | instid1(VALU_DEP_1)
	v_min_u32_e32 v18, 32, v16
	v_subrev_nc_u32_e32 v16, 28, v18
	s_delay_alu instid0(VALU_DEP_1) | instskip(NEXT) | instid1(VALU_DEP_1)
	v_lshlrev_b64_e32 v[16:17], v16, v[52:53]
	v_dual_sub_nc_u32 v18, 29, v18 :: v_dual_bitop2_b32 v16, 7, v16 bitop3:0x40
; %bb.12317:                            ;   in Loop: Header=BB6_11188 Depth=2
	s_or_b32 exec_lo, exec_lo, s29
	s_delay_alu instid0(VALU_DEP_1) | instskip(NEXT) | instid1(VALU_DEP_2)
	v_dual_lshlrev_b32 v17, 24, v62 :: v_dual_lshlrev_b32 v16, 20, v16
	v_lshl_add_u32 v18, v18, 23, 0x3c000000
	s_delay_alu instid0(VALU_DEP_2) | instskip(NEXT) | instid1(VALU_DEP_1)
	v_and_b32_e32 v17, 0x80000000, v17
	v_or3_b32 v18, v16, v17, v18
.LBB6_12318:                            ;   in Loop: Header=BB6_11188 Depth=2
	s_or_b32 exec_lo, exec_lo, s11
.LBB6_12319:                            ;   in Loop: Header=BB6_11188 Depth=2
	s_delay_alu instid0(SALU_CYCLE_1)
	s_or_b32 exec_lo, exec_lo, s10
.LBB6_12320:                            ;   in Loop: Header=BB6_11188 Depth=2
	s_delay_alu instid0(SALU_CYCLE_1) | instskip(NEXT) | instid1(VALU_DEP_1)
	s_or_b32 exec_lo, exec_lo, s7
	v_add_f32_e32 v16, v19, v18
                                        ; implicit-def: $vgpr103
	s_mov_b32 s7, exec_lo
	s_delay_alu instid0(VALU_DEP_1) | instskip(SKIP_1) | instid1(VALU_DEP_2)
	v_and_b32_e32 v52, 0x7f800000, v16
	v_lshrrev_b32_e32 v17, 24, v16
	v_cmpx_ne_u64_e32 0x7f800000, v[52:53]
	s_xor_b32 s10, exec_lo, s7
	s_cbranch_execz .LBB6_12338
; %bb.12321:                            ;   in Loop: Header=BB6_11188 Depth=2
	v_and_b32_e32 v52, 0x7fffffff, v16
	v_and_b32_e32 v62, 0x80, v17
                                        ; implicit-def: $vgpr103
	s_mov_b32 s7, exec_lo
	s_delay_alu instid0(VALU_DEP_2)
	v_cmpx_gt_u64_e32 0x43e00001, v[52:53]
	s_xor_b32 s11, exec_lo, s7
	s_cbranch_execz .LBB6_12335
; %bb.12322:                            ;   in Loop: Header=BB6_11188 Depth=2
	v_mov_b32_e32 v103, 0
	s_mov_b32 s29, exec_lo
	v_cmpx_ne_u32_e32 0, v16
	s_cbranch_execz .LBB6_12334
; %bb.12323:                            ;   in Loop: Header=BB6_11188 Depth=2
	v_bfe_u32 v103, v16, 23, 8
	v_and_b32_e32 v18, 0x7fffff, v16
	s_delay_alu instid0(VALU_DEP_2) | instskip(NEXT) | instid1(VALU_DEP_2)
	v_cmp_gt_u32_e32 vcc_lo, 0x7a, v103
	v_or_b32_e32 v19, 0x800000, v18
	v_sub_nc_u32_e32 v17, 0x79, v103
	s_delay_alu instid0(VALU_DEP_1) | instskip(SKIP_1) | instid1(VALU_DEP_2)
	v_cndmask_b32_e32 v17, 0, v17, vcc_lo
	v_cmp_eq_u32_e32 vcc_lo, 0, v103
	v_cndmask_b32_e64 v63, v17, 0x78, vcc_lo
	s_delay_alu instid0(VALU_DEP_1) | instskip(SKIP_1) | instid1(VALU_DEP_2)
	v_dual_cndmask_b32 v52, v19, v18, vcc_lo :: v_dual_add_nc_u32 v16, 20, v63
	v_add_nc_u32_e32 v72, 19, v63
	v_lshlrev_b64_e64 v[16:17], v16, -1
	s_delay_alu instid0(VALU_DEP_2) | instskip(NEXT) | instid1(VALU_DEP_2)
	v_lshlrev_b64_e64 v[18:19], v72, 1
	v_bfi_b32 v73, v17, 0, 0
	s_delay_alu instid0(VALU_DEP_3) | instskip(SKIP_1) | instid1(VALU_DEP_2)
	v_bfi_b32 v72, v16, 0, v52
	v_lshrrev_b64 v[16:17], v63, v[52:53]
	v_cmp_eq_u64_e64 s7, v[72:73], v[18:19]
	s_delay_alu instid0(VALU_DEP_2)
	v_mov_b64_e32 v[18:19], v[16:17]
	s_and_saveexec_b32 s40, s7
; %bb.12324:                            ;   in Loop: Header=BB6_11188 Depth=2
	v_bfe_u32 v52, v16, 20, 1
	s_delay_alu instid0(VALU_DEP_1) | instskip(NEXT) | instid1(VALU_DEP_1)
	v_add_nc_u64_e32 v[18:19], v[16:17], v[52:53]
	v_add_nc_u64_e32 v[18:19], -1, v[18:19]
; %bb.12325:                            ;   in Loop: Header=BB6_11188 Depth=2
	s_or_b32 exec_lo, exec_lo, s40
	v_add_nc_u32_e32 v17, 0xffffff81, v103
	v_lshrrev_b32_e32 v19, 23, v16
	s_mov_b32 s7, exec_lo
	s_delay_alu instid0(VALU_DEP_2) | instskip(NEXT) | instid1(VALU_DEP_1)
	v_cndmask_b32_e64 v17, v17, 0xffffff82, vcc_lo
	v_add3_u32 v19, v63, v17, v19
	v_and_b32_e32 v17, 0xfffff, v18
                                        ; implicit-def: $vgpr18
	s_delay_alu instid0(VALU_DEP_1) | instskip(NEXT) | instid1(VALU_DEP_1)
	v_dual_add_nc_u32 v103, 6, v19 :: v_dual_add_nc_u32 v52, v17, v16
                                        ; implicit-def: $vgpr16_vgpr17
	v_cmpx_ne_u32_e32 0, v103
	s_xor_b32 s7, exec_lo, s7
; %bb.12326:                            ;   in Loop: Header=BB6_11188 Depth=2
	s_delay_alu instid0(VALU_DEP_2) | instskip(SKIP_1) | instid1(VALU_DEP_1)
	v_cmp_lt_u64_e32 vcc_lo, 0xffffff, v[52:53]
	v_add_nc_u32_e32 v16, 7, v19
	v_cndmask_b32_e32 v18, v103, v16, vcc_lo
	v_cndmask_b32_e64 v16, 0, 1, vcc_lo
	s_delay_alu instid0(VALU_DEP_1)
	v_lshrrev_b64 v[16:17], v16, v[52:53]
; %bb.12327:                            ;   in Loop: Header=BB6_11188 Depth=2
	s_and_not1_saveexec_b32 s7, s7
; %bb.12328:                            ;   in Loop: Header=BB6_11188 Depth=2
	v_mov_b64_e32 v[16:17], v[52:53]
	v_bfe_u32 v18, v52, 23, 1
; %bb.12329:                            ;   in Loop: Header=BB6_11188 Depth=2
	s_or_b32 exec_lo, exec_lo, s7
	s_delay_alu instid0(VALU_DEP_2) | instskip(NEXT) | instid1(VALU_DEP_2)
	v_lshrrev_b64 v[16:17], 20, v[16:17]
	v_cmp_gt_i32_e32 vcc_lo, 16, v18
	v_cmp_ne_u32_e64 s7, 0, v18
                                        ; implicit-def: $vgpr103
	s_delay_alu instid0(VALU_DEP_3) | instskip(NEXT) | instid1(VALU_DEP_1)
	v_dual_cndmask_b32 v17, 0, v17 :: v_dual_cndmask_b32 v16, 7, v16
	v_cmp_ne_u64_e32 vcc_lo, 0, v[16:17]
	s_or_b32 s7, s7, vcc_lo
	s_delay_alu instid0(SALU_CYCLE_1) | instskip(NEXT) | instid1(SALU_CYCLE_1)
	s_and_saveexec_b32 s40, s7
	s_xor_b32 s7, exec_lo, s40
; %bb.12330:                            ;   in Loop: Header=BB6_11188 Depth=2
	v_min_i32_e32 v17, 15, v18
	s_delay_alu instid0(VALU_DEP_1) | instskip(NEXT) | instid1(VALU_DEP_1)
	v_lshl_or_b32 v17, v17, 3, v62
                                        ; implicit-def: $vgpr62
	v_and_or_b32 v103, v16, 7, v17
; %bb.12331:                            ;   in Loop: Header=BB6_11188 Depth=2
	s_and_not1_saveexec_b32 s7, s7
; %bb.12332:                            ;   in Loop: Header=BB6_11188 Depth=2
	v_mov_b32_e32 v103, v62
; %bb.12333:                            ;   in Loop: Header=BB6_11188 Depth=2
	s_or_b32 exec_lo, exec_lo, s7
.LBB6_12334:                            ;   in Loop: Header=BB6_11188 Depth=2
	s_delay_alu instid0(SALU_CYCLE_1)
	s_or_b32 exec_lo, exec_lo, s29
                                        ; implicit-def: $vgpr62
.LBB6_12335:                            ;   in Loop: Header=BB6_11188 Depth=2
	s_and_not1_saveexec_b32 s7, s11
; %bb.12336:                            ;   in Loop: Header=BB6_11188 Depth=2
	v_or_b32_e32 v103, 0x7e, v62
; %bb.12337:                            ;   in Loop: Header=BB6_11188 Depth=2
	s_or_b32 exec_lo, exec_lo, s7
                                        ; implicit-def: $vgpr17
.LBB6_12338:                            ;   in Loop: Header=BB6_11188 Depth=2
	s_and_not1_saveexec_b32 s7, s10
; %bb.12339:                            ;   in Loop: Header=BB6_11188 Depth=2
	v_or_b32_e32 v103, 0x7f, v17
; %bb.12340:                            ;   in Loop: Header=BB6_11188 Depth=2
	s_or_b32 exec_lo, exec_lo, s7
	v_and_b32_e32 v16, 0xff, v101
	v_dual_mov_b32 v18, 0 :: v_dual_mov_b32 v19, 0
	s_mov_b32 s7, exec_lo
	s_delay_alu instid0(VALU_DEP_2)
	v_cmpx_ne_u16_e32 0, v16
	s_cbranch_execz .LBB6_12348
; %bb.12341:                            ;   in Loop: Header=BB6_11188 Depth=2
	v_bfrev_b32_e32 v19, 1
	s_mov_b32 s10, exec_lo
	v_cmpx_ne_u16_e32 0x80, v16
	s_cbranch_execz .LBB6_12347
; %bb.12342:                            ;   in Loop: Header=BB6_11188 Depth=2
	v_and_b32_e32 v17, 0x7f, v101
	v_mov_b32_e32 v19, 0x7f800001
	s_mov_b32 s11, exec_lo
	s_delay_alu instid0(VALU_DEP_2)
	v_cmpx_ne_u32_e32 0x7f, v17
	s_cbranch_execz .LBB6_12346
; %bb.12343:                            ;   in Loop: Header=BB6_11188 Depth=2
	v_dual_lshrrev_b32 v19, 3, v17 :: v_dual_bitop2_b32 v52, 7, v16 bitop3:0x40
	v_cmp_gt_u32_e32 vcc_lo, 8, v17
	s_delay_alu instid0(VALU_DEP_2)
	v_mov_b64_e32 v[16:17], v[52:53]
	s_and_saveexec_b32 s29, vcc_lo
; %bb.12344:                            ;   in Loop: Header=BB6_11188 Depth=2
	v_clz_i32_u32_e32 v16, v52
	s_delay_alu instid0(VALU_DEP_1) | instskip(NEXT) | instid1(VALU_DEP_1)
	v_min_u32_e32 v19, 32, v16
	v_subrev_nc_u32_e32 v16, 28, v19
	s_delay_alu instid0(VALU_DEP_1) | instskip(NEXT) | instid1(VALU_DEP_1)
	v_lshlrev_b64_e32 v[16:17], v16, v[52:53]
	v_dual_sub_nc_u32 v19, 29, v19 :: v_dual_bitop2_b32 v16, 7, v16 bitop3:0x40
; %bb.12345:                            ;   in Loop: Header=BB6_11188 Depth=2
	s_or_b32 exec_lo, exec_lo, s29
	s_delay_alu instid0(VALU_DEP_1) | instskip(NEXT) | instid1(VALU_DEP_2)
	v_dual_lshlrev_b32 v17, 24, v101 :: v_dual_lshlrev_b32 v16, 20, v16
	v_lshl_add_u32 v19, v19, 23, 0x3c000000
	s_delay_alu instid0(VALU_DEP_2) | instskip(NEXT) | instid1(VALU_DEP_1)
	v_and_b32_e32 v17, 0x80000000, v17
	v_or3_b32 v19, v16, v17, v19
.LBB6_12346:                            ;   in Loop: Header=BB6_11188 Depth=2
	s_or_b32 exec_lo, exec_lo, s11
.LBB6_12347:                            ;   in Loop: Header=BB6_11188 Depth=2
	s_delay_alu instid0(SALU_CYCLE_1)
	s_or_b32 exec_lo, exec_lo, s10
.LBB6_12348:                            ;   in Loop: Header=BB6_11188 Depth=2
	s_delay_alu instid0(SALU_CYCLE_1) | instskip(SKIP_3) | instid1(VALU_DEP_1)
	s_or_b32 exec_lo, exec_lo, s7
	s_wait_loadcnt_dscnt 0x1818
	v_and_b32_e32 v16, 0xff, v61
	s_mov_b32 s7, exec_lo
	v_cmpx_ne_u16_e32 0, v16
	s_cbranch_execz .LBB6_12356
; %bb.12349:                            ;   in Loop: Header=BB6_11188 Depth=2
	v_bfrev_b32_e32 v18, 1
	s_mov_b32 s10, exec_lo
	v_cmpx_ne_u16_e32 0x80, v16
	s_cbranch_execz .LBB6_12355
; %bb.12350:                            ;   in Loop: Header=BB6_11188 Depth=2
	v_and_b32_e32 v17, 0x7f, v61
	v_mov_b32_e32 v18, 0x7f800001
	s_mov_b32 s11, exec_lo
	s_delay_alu instid0(VALU_DEP_2)
	v_cmpx_ne_u32_e32 0x7f, v17
	s_cbranch_execz .LBB6_12354
; %bb.12351:                            ;   in Loop: Header=BB6_11188 Depth=2
	v_dual_lshrrev_b32 v18, 3, v17 :: v_dual_bitop2_b32 v52, 7, v16 bitop3:0x40
	v_cmp_gt_u32_e32 vcc_lo, 8, v17
	s_delay_alu instid0(VALU_DEP_2)
	v_mov_b64_e32 v[16:17], v[52:53]
	s_and_saveexec_b32 s29, vcc_lo
; %bb.12352:                            ;   in Loop: Header=BB6_11188 Depth=2
	v_clz_i32_u32_e32 v16, v52
	s_delay_alu instid0(VALU_DEP_1) | instskip(NEXT) | instid1(VALU_DEP_1)
	v_min_u32_e32 v18, 32, v16
	v_subrev_nc_u32_e32 v16, 28, v18
	s_delay_alu instid0(VALU_DEP_1) | instskip(NEXT) | instid1(VALU_DEP_1)
	v_lshlrev_b64_e32 v[16:17], v16, v[52:53]
	v_dual_sub_nc_u32 v18, 29, v18 :: v_dual_bitop2_b32 v16, 7, v16 bitop3:0x40
; %bb.12353:                            ;   in Loop: Header=BB6_11188 Depth=2
	s_or_b32 exec_lo, exec_lo, s29
	s_delay_alu instid0(VALU_DEP_1) | instskip(NEXT) | instid1(VALU_DEP_2)
	v_dual_lshlrev_b32 v17, 24, v61 :: v_dual_lshlrev_b32 v16, 20, v16
	v_lshl_add_u32 v18, v18, 23, 0x3c000000
	s_delay_alu instid0(VALU_DEP_2) | instskip(NEXT) | instid1(VALU_DEP_1)
	v_and_b32_e32 v17, 0x80000000, v17
	v_or3_b32 v18, v16, v17, v18
.LBB6_12354:                            ;   in Loop: Header=BB6_11188 Depth=2
	s_or_b32 exec_lo, exec_lo, s11
.LBB6_12355:                            ;   in Loop: Header=BB6_11188 Depth=2
	s_delay_alu instid0(SALU_CYCLE_1)
	s_or_b32 exec_lo, exec_lo, s10
.LBB6_12356:                            ;   in Loop: Header=BB6_11188 Depth=2
	s_delay_alu instid0(SALU_CYCLE_1) | instskip(NEXT) | instid1(VALU_DEP_1)
	s_or_b32 exec_lo, exec_lo, s7
	v_add_f32_e32 v16, v19, v18
                                        ; implicit-def: $vgpr101
	s_mov_b32 s7, exec_lo
	s_delay_alu instid0(VALU_DEP_1) | instskip(SKIP_1) | instid1(VALU_DEP_2)
	v_and_b32_e32 v52, 0x7f800000, v16
	v_lshrrev_b32_e32 v17, 24, v16
	v_cmpx_ne_u64_e32 0x7f800000, v[52:53]
	s_xor_b32 s10, exec_lo, s7
	s_cbranch_execz .LBB6_12374
; %bb.12357:                            ;   in Loop: Header=BB6_11188 Depth=2
	v_and_b32_e32 v52, 0x7fffffff, v16
	v_and_b32_e32 v61, 0x80, v17
                                        ; implicit-def: $vgpr101
	s_mov_b32 s7, exec_lo
	s_delay_alu instid0(VALU_DEP_2)
	v_cmpx_gt_u64_e32 0x43e00001, v[52:53]
	s_xor_b32 s11, exec_lo, s7
	s_cbranch_execz .LBB6_12371
; %bb.12358:                            ;   in Loop: Header=BB6_11188 Depth=2
	v_mov_b32_e32 v101, 0
	s_mov_b32 s29, exec_lo
	v_cmpx_ne_u32_e32 0, v16
	s_cbranch_execz .LBB6_12370
; %bb.12359:                            ;   in Loop: Header=BB6_11188 Depth=2
	v_bfe_u32 v101, v16, 23, 8
	v_and_b32_e32 v18, 0x7fffff, v16
	s_delay_alu instid0(VALU_DEP_2) | instskip(NEXT) | instid1(VALU_DEP_2)
	v_cmp_gt_u32_e32 vcc_lo, 0x7a, v101
	v_or_b32_e32 v19, 0x800000, v18
	v_sub_nc_u32_e32 v17, 0x79, v101
	s_delay_alu instid0(VALU_DEP_1) | instskip(SKIP_1) | instid1(VALU_DEP_2)
	v_cndmask_b32_e32 v17, 0, v17, vcc_lo
	v_cmp_eq_u32_e32 vcc_lo, 0, v101
	v_cndmask_b32_e64 v62, v17, 0x78, vcc_lo
	v_cndmask_b32_e32 v52, v19, v18, vcc_lo
	s_delay_alu instid0(VALU_DEP_2) | instskip(NEXT) | instid1(VALU_DEP_1)
	v_dual_add_nc_u32 v16, 20, v62 :: v_dual_add_nc_u32 v63, 19, v62
	v_lshlrev_b64_e64 v[16:17], v16, -1
	s_delay_alu instid0(VALU_DEP_2) | instskip(NEXT) | instid1(VALU_DEP_2)
	v_lshlrev_b64_e64 v[18:19], v63, 1
	v_bfi_b32 v73, v17, 0, 0
	s_delay_alu instid0(VALU_DEP_3) | instskip(SKIP_1) | instid1(VALU_DEP_2)
	v_bfi_b32 v72, v16, 0, v52
	v_lshrrev_b64 v[16:17], v62, v[52:53]
	v_cmp_eq_u64_e64 s7, v[72:73], v[18:19]
	s_delay_alu instid0(VALU_DEP_2)
	v_mov_b64_e32 v[18:19], v[16:17]
	s_and_saveexec_b32 s40, s7
; %bb.12360:                            ;   in Loop: Header=BB6_11188 Depth=2
	v_bfe_u32 v52, v16, 20, 1
	s_delay_alu instid0(VALU_DEP_1) | instskip(NEXT) | instid1(VALU_DEP_1)
	v_add_nc_u64_e32 v[18:19], v[16:17], v[52:53]
	v_add_nc_u64_e32 v[18:19], -1, v[18:19]
; %bb.12361:                            ;   in Loop: Header=BB6_11188 Depth=2
	s_or_b32 exec_lo, exec_lo, s40
	v_add_nc_u32_e32 v17, 0xffffff81, v101
	v_lshrrev_b32_e32 v19, 23, v16
	s_mov_b32 s7, exec_lo
	s_delay_alu instid0(VALU_DEP_2) | instskip(NEXT) | instid1(VALU_DEP_1)
	v_cndmask_b32_e64 v17, v17, 0xffffff82, vcc_lo
	v_add3_u32 v19, v62, v17, v19
	v_and_b32_e32 v17, 0xfffff, v18
                                        ; implicit-def: $vgpr18
	s_delay_alu instid0(VALU_DEP_1) | instskip(NEXT) | instid1(VALU_DEP_1)
	v_dual_add_nc_u32 v101, 6, v19 :: v_dual_add_nc_u32 v52, v17, v16
                                        ; implicit-def: $vgpr16_vgpr17
	v_cmpx_ne_u32_e32 0, v101
	s_xor_b32 s7, exec_lo, s7
; %bb.12362:                            ;   in Loop: Header=BB6_11188 Depth=2
	s_delay_alu instid0(VALU_DEP_2) | instskip(SKIP_1) | instid1(VALU_DEP_1)
	v_cmp_lt_u64_e32 vcc_lo, 0xffffff, v[52:53]
	v_add_nc_u32_e32 v16, 7, v19
	v_cndmask_b32_e32 v18, v101, v16, vcc_lo
	v_cndmask_b32_e64 v16, 0, 1, vcc_lo
	s_delay_alu instid0(VALU_DEP_1)
	v_lshrrev_b64 v[16:17], v16, v[52:53]
; %bb.12363:                            ;   in Loop: Header=BB6_11188 Depth=2
	s_and_not1_saveexec_b32 s7, s7
; %bb.12364:                            ;   in Loop: Header=BB6_11188 Depth=2
	v_mov_b64_e32 v[16:17], v[52:53]
	v_bfe_u32 v18, v52, 23, 1
; %bb.12365:                            ;   in Loop: Header=BB6_11188 Depth=2
	s_or_b32 exec_lo, exec_lo, s7
	s_delay_alu instid0(VALU_DEP_2) | instskip(NEXT) | instid1(VALU_DEP_2)
	v_lshrrev_b64 v[16:17], 20, v[16:17]
	v_cmp_gt_i32_e32 vcc_lo, 16, v18
	v_cmp_ne_u32_e64 s7, 0, v18
                                        ; implicit-def: $vgpr101
	s_delay_alu instid0(VALU_DEP_3) | instskip(NEXT) | instid1(VALU_DEP_1)
	v_dual_cndmask_b32 v17, 0, v17 :: v_dual_cndmask_b32 v16, 7, v16
	v_cmp_ne_u64_e32 vcc_lo, 0, v[16:17]
	s_or_b32 s7, s7, vcc_lo
	s_delay_alu instid0(SALU_CYCLE_1) | instskip(NEXT) | instid1(SALU_CYCLE_1)
	s_and_saveexec_b32 s40, s7
	s_xor_b32 s7, exec_lo, s40
; %bb.12366:                            ;   in Loop: Header=BB6_11188 Depth=2
	v_min_i32_e32 v17, 15, v18
	s_delay_alu instid0(VALU_DEP_1) | instskip(NEXT) | instid1(VALU_DEP_1)
	v_lshl_or_b32 v17, v17, 3, v61
                                        ; implicit-def: $vgpr61
	v_and_or_b32 v101, v16, 7, v17
; %bb.12367:                            ;   in Loop: Header=BB6_11188 Depth=2
	s_and_not1_saveexec_b32 s7, s7
; %bb.12368:                            ;   in Loop: Header=BB6_11188 Depth=2
	v_mov_b32_e32 v101, v61
; %bb.12369:                            ;   in Loop: Header=BB6_11188 Depth=2
	s_or_b32 exec_lo, exec_lo, s7
.LBB6_12370:                            ;   in Loop: Header=BB6_11188 Depth=2
	s_delay_alu instid0(SALU_CYCLE_1)
	s_or_b32 exec_lo, exec_lo, s29
                                        ; implicit-def: $vgpr61
.LBB6_12371:                            ;   in Loop: Header=BB6_11188 Depth=2
	s_and_not1_saveexec_b32 s7, s11
; %bb.12372:                            ;   in Loop: Header=BB6_11188 Depth=2
	v_or_b32_e32 v101, 0x7e, v61
; %bb.12373:                            ;   in Loop: Header=BB6_11188 Depth=2
	s_or_b32 exec_lo, exec_lo, s7
                                        ; implicit-def: $vgpr17
.LBB6_12374:                            ;   in Loop: Header=BB6_11188 Depth=2
	s_and_not1_saveexec_b32 s7, s10
; %bb.12375:                            ;   in Loop: Header=BB6_11188 Depth=2
	v_or_b32_e32 v101, 0x7f, v17
; %bb.12376:                            ;   in Loop: Header=BB6_11188 Depth=2
	s_or_b32 exec_lo, exec_lo, s7
	v_and_b32_e32 v16, 0xff, v99
	v_dual_mov_b32 v18, 0 :: v_dual_mov_b32 v19, 0
	s_mov_b32 s7, exec_lo
	s_delay_alu instid0(VALU_DEP_2)
	v_cmpx_ne_u16_e32 0, v16
	s_cbranch_execz .LBB6_12384
; %bb.12377:                            ;   in Loop: Header=BB6_11188 Depth=2
	v_bfrev_b32_e32 v19, 1
	s_mov_b32 s10, exec_lo
	v_cmpx_ne_u16_e32 0x80, v16
	s_cbranch_execz .LBB6_12383
; %bb.12378:                            ;   in Loop: Header=BB6_11188 Depth=2
	v_and_b32_e32 v17, 0x7f, v99
	v_mov_b32_e32 v19, 0x7f800001
	s_mov_b32 s11, exec_lo
	s_delay_alu instid0(VALU_DEP_2)
	v_cmpx_ne_u32_e32 0x7f, v17
	s_cbranch_execz .LBB6_12382
; %bb.12379:                            ;   in Loop: Header=BB6_11188 Depth=2
	v_dual_lshrrev_b32 v19, 3, v17 :: v_dual_bitop2_b32 v52, 7, v16 bitop3:0x40
	v_cmp_gt_u32_e32 vcc_lo, 8, v17
	s_delay_alu instid0(VALU_DEP_2)
	v_mov_b64_e32 v[16:17], v[52:53]
	s_and_saveexec_b32 s29, vcc_lo
; %bb.12380:                            ;   in Loop: Header=BB6_11188 Depth=2
	v_clz_i32_u32_e32 v16, v52
	s_delay_alu instid0(VALU_DEP_1) | instskip(NEXT) | instid1(VALU_DEP_1)
	v_min_u32_e32 v19, 32, v16
	v_subrev_nc_u32_e32 v16, 28, v19
	s_delay_alu instid0(VALU_DEP_1) | instskip(NEXT) | instid1(VALU_DEP_1)
	v_lshlrev_b64_e32 v[16:17], v16, v[52:53]
	v_dual_sub_nc_u32 v19, 29, v19 :: v_dual_bitop2_b32 v16, 7, v16 bitop3:0x40
; %bb.12381:                            ;   in Loop: Header=BB6_11188 Depth=2
	s_or_b32 exec_lo, exec_lo, s29
	s_delay_alu instid0(VALU_DEP_1) | instskip(NEXT) | instid1(VALU_DEP_2)
	v_dual_lshlrev_b32 v17, 24, v99 :: v_dual_lshlrev_b32 v16, 20, v16
	v_lshl_add_u32 v19, v19, 23, 0x3c000000
	s_delay_alu instid0(VALU_DEP_2) | instskip(NEXT) | instid1(VALU_DEP_1)
	v_and_b32_e32 v17, 0x80000000, v17
	v_or3_b32 v19, v16, v17, v19
.LBB6_12382:                            ;   in Loop: Header=BB6_11188 Depth=2
	s_or_b32 exec_lo, exec_lo, s11
.LBB6_12383:                            ;   in Loop: Header=BB6_11188 Depth=2
	s_delay_alu instid0(SALU_CYCLE_1)
	s_or_b32 exec_lo, exec_lo, s10
.LBB6_12384:                            ;   in Loop: Header=BB6_11188 Depth=2
	s_delay_alu instid0(SALU_CYCLE_1) | instskip(SKIP_3) | instid1(VALU_DEP_1)
	s_or_b32 exec_lo, exec_lo, s7
	s_wait_loadcnt_dscnt 0x1717
	v_and_b32_e32 v16, 0xff, v60
	s_mov_b32 s7, exec_lo
	v_cmpx_ne_u16_e32 0, v16
	s_cbranch_execz .LBB6_12392
; %bb.12385:                            ;   in Loop: Header=BB6_11188 Depth=2
	v_bfrev_b32_e32 v18, 1
	s_mov_b32 s10, exec_lo
	v_cmpx_ne_u16_e32 0x80, v16
	s_cbranch_execz .LBB6_12391
; %bb.12386:                            ;   in Loop: Header=BB6_11188 Depth=2
	v_and_b32_e32 v17, 0x7f, v60
	v_mov_b32_e32 v18, 0x7f800001
	s_mov_b32 s11, exec_lo
	s_delay_alu instid0(VALU_DEP_2)
	v_cmpx_ne_u32_e32 0x7f, v17
	s_cbranch_execz .LBB6_12390
; %bb.12387:                            ;   in Loop: Header=BB6_11188 Depth=2
	v_dual_lshrrev_b32 v18, 3, v17 :: v_dual_bitop2_b32 v52, 7, v16 bitop3:0x40
	v_cmp_gt_u32_e32 vcc_lo, 8, v17
	s_delay_alu instid0(VALU_DEP_2)
	v_mov_b64_e32 v[16:17], v[52:53]
	s_and_saveexec_b32 s29, vcc_lo
; %bb.12388:                            ;   in Loop: Header=BB6_11188 Depth=2
	v_clz_i32_u32_e32 v16, v52
	s_delay_alu instid0(VALU_DEP_1) | instskip(NEXT) | instid1(VALU_DEP_1)
	v_min_u32_e32 v18, 32, v16
	v_subrev_nc_u32_e32 v16, 28, v18
	s_delay_alu instid0(VALU_DEP_1) | instskip(NEXT) | instid1(VALU_DEP_1)
	v_lshlrev_b64_e32 v[16:17], v16, v[52:53]
	v_dual_sub_nc_u32 v18, 29, v18 :: v_dual_bitop2_b32 v16, 7, v16 bitop3:0x40
; %bb.12389:                            ;   in Loop: Header=BB6_11188 Depth=2
	s_or_b32 exec_lo, exec_lo, s29
	v_lshlrev_b32_e32 v17, 24, v60
	s_delay_alu instid0(VALU_DEP_2) | instskip(NEXT) | instid1(VALU_DEP_3)
	v_lshlrev_b32_e32 v16, 20, v16
	v_lshl_add_u32 v18, v18, 23, 0x3c000000
	s_delay_alu instid0(VALU_DEP_3) | instskip(NEXT) | instid1(VALU_DEP_1)
	v_and_b32_e32 v17, 0x80000000, v17
	v_or3_b32 v18, v16, v17, v18
.LBB6_12390:                            ;   in Loop: Header=BB6_11188 Depth=2
	s_or_b32 exec_lo, exec_lo, s11
.LBB6_12391:                            ;   in Loop: Header=BB6_11188 Depth=2
	s_delay_alu instid0(SALU_CYCLE_1)
	s_or_b32 exec_lo, exec_lo, s10
.LBB6_12392:                            ;   in Loop: Header=BB6_11188 Depth=2
	s_delay_alu instid0(SALU_CYCLE_1) | instskip(NEXT) | instid1(VALU_DEP_1)
	s_or_b32 exec_lo, exec_lo, s7
	v_add_f32_e32 v16, v19, v18
                                        ; implicit-def: $vgpr99
	s_mov_b32 s7, exec_lo
	s_delay_alu instid0(VALU_DEP_1) | instskip(SKIP_1) | instid1(VALU_DEP_2)
	v_and_b32_e32 v52, 0x7f800000, v16
	v_lshrrev_b32_e32 v17, 24, v16
	v_cmpx_ne_u64_e32 0x7f800000, v[52:53]
	s_xor_b32 s10, exec_lo, s7
	s_cbranch_execz .LBB6_12410
; %bb.12393:                            ;   in Loop: Header=BB6_11188 Depth=2
	v_and_b32_e32 v52, 0x7fffffff, v16
	v_and_b32_e32 v60, 0x80, v17
                                        ; implicit-def: $vgpr99
	s_mov_b32 s7, exec_lo
	s_delay_alu instid0(VALU_DEP_2)
	v_cmpx_gt_u64_e32 0x43e00001, v[52:53]
	s_xor_b32 s11, exec_lo, s7
	s_cbranch_execz .LBB6_12407
; %bb.12394:                            ;   in Loop: Header=BB6_11188 Depth=2
	v_mov_b32_e32 v99, 0
	s_mov_b32 s29, exec_lo
	v_cmpx_ne_u32_e32 0, v16
	s_cbranch_execz .LBB6_12406
; %bb.12395:                            ;   in Loop: Header=BB6_11188 Depth=2
	v_bfe_u32 v99, v16, 23, 8
	v_and_b32_e32 v18, 0x7fffff, v16
	s_delay_alu instid0(VALU_DEP_2) | instskip(NEXT) | instid1(VALU_DEP_2)
	v_cmp_gt_u32_e32 vcc_lo, 0x7a, v99
	v_or_b32_e32 v19, 0x800000, v18
	v_sub_nc_u32_e32 v17, 0x79, v99
	s_delay_alu instid0(VALU_DEP_1) | instskip(SKIP_1) | instid1(VALU_DEP_2)
	v_cndmask_b32_e32 v17, 0, v17, vcc_lo
	v_cmp_eq_u32_e32 vcc_lo, 0, v99
	v_cndmask_b32_e64 v61, v17, 0x78, vcc_lo
	s_delay_alu instid0(VALU_DEP_1) | instskip(SKIP_1) | instid1(VALU_DEP_2)
	v_dual_cndmask_b32 v52, v19, v18, vcc_lo :: v_dual_add_nc_u32 v16, 20, v61
	v_add_nc_u32_e32 v62, 19, v61
	v_lshlrev_b64_e64 v[16:17], v16, -1
	s_delay_alu instid0(VALU_DEP_2) | instskip(NEXT) | instid1(VALU_DEP_2)
	v_lshlrev_b64_e64 v[18:19], v62, 1
	v_bfi_b32 v63, v17, 0, 0
	s_delay_alu instid0(VALU_DEP_3) | instskip(SKIP_1) | instid1(VALU_DEP_2)
	v_bfi_b32 v62, v16, 0, v52
	v_lshrrev_b64 v[16:17], v61, v[52:53]
	v_cmp_eq_u64_e64 s7, v[62:63], v[18:19]
	s_delay_alu instid0(VALU_DEP_2)
	v_mov_b64_e32 v[18:19], v[16:17]
	s_and_saveexec_b32 s40, s7
; %bb.12396:                            ;   in Loop: Header=BB6_11188 Depth=2
	v_bfe_u32 v52, v16, 20, 1
	s_delay_alu instid0(VALU_DEP_1) | instskip(NEXT) | instid1(VALU_DEP_1)
	v_add_nc_u64_e32 v[18:19], v[16:17], v[52:53]
	v_add_nc_u64_e32 v[18:19], -1, v[18:19]
; %bb.12397:                            ;   in Loop: Header=BB6_11188 Depth=2
	s_or_b32 exec_lo, exec_lo, s40
	v_add_nc_u32_e32 v17, 0xffffff81, v99
	v_lshrrev_b32_e32 v19, 23, v16
	s_mov_b32 s7, exec_lo
	s_delay_alu instid0(VALU_DEP_2) | instskip(NEXT) | instid1(VALU_DEP_1)
	v_cndmask_b32_e64 v17, v17, 0xffffff82, vcc_lo
	v_add3_u32 v19, v61, v17, v19
	v_and_b32_e32 v17, 0xfffff, v18
                                        ; implicit-def: $vgpr18
	s_delay_alu instid0(VALU_DEP_1) | instskip(NEXT) | instid1(VALU_DEP_1)
	v_dual_add_nc_u32 v99, 6, v19 :: v_dual_add_nc_u32 v52, v17, v16
                                        ; implicit-def: $vgpr16_vgpr17
	v_cmpx_ne_u32_e32 0, v99
	s_xor_b32 s7, exec_lo, s7
; %bb.12398:                            ;   in Loop: Header=BB6_11188 Depth=2
	s_delay_alu instid0(VALU_DEP_2) | instskip(SKIP_1) | instid1(VALU_DEP_1)
	v_cmp_lt_u64_e32 vcc_lo, 0xffffff, v[52:53]
	v_add_nc_u32_e32 v16, 7, v19
	v_cndmask_b32_e32 v18, v99, v16, vcc_lo
	v_cndmask_b32_e64 v16, 0, 1, vcc_lo
	s_delay_alu instid0(VALU_DEP_1)
	v_lshrrev_b64 v[16:17], v16, v[52:53]
; %bb.12399:                            ;   in Loop: Header=BB6_11188 Depth=2
	s_and_not1_saveexec_b32 s7, s7
; %bb.12400:                            ;   in Loop: Header=BB6_11188 Depth=2
	v_mov_b64_e32 v[16:17], v[52:53]
	v_bfe_u32 v18, v52, 23, 1
; %bb.12401:                            ;   in Loop: Header=BB6_11188 Depth=2
	s_or_b32 exec_lo, exec_lo, s7
	s_delay_alu instid0(VALU_DEP_2) | instskip(NEXT) | instid1(VALU_DEP_2)
	v_lshrrev_b64 v[16:17], 20, v[16:17]
	v_cmp_gt_i32_e32 vcc_lo, 16, v18
	v_cmp_ne_u32_e64 s7, 0, v18
                                        ; implicit-def: $vgpr99
	s_delay_alu instid0(VALU_DEP_3) | instskip(NEXT) | instid1(VALU_DEP_1)
	v_dual_cndmask_b32 v17, 0, v17 :: v_dual_cndmask_b32 v16, 7, v16
	v_cmp_ne_u64_e32 vcc_lo, 0, v[16:17]
	s_or_b32 s7, s7, vcc_lo
	s_delay_alu instid0(SALU_CYCLE_1) | instskip(NEXT) | instid1(SALU_CYCLE_1)
	s_and_saveexec_b32 s40, s7
	s_xor_b32 s7, exec_lo, s40
; %bb.12402:                            ;   in Loop: Header=BB6_11188 Depth=2
	v_min_i32_e32 v17, 15, v18
	s_delay_alu instid0(VALU_DEP_1) | instskip(NEXT) | instid1(VALU_DEP_1)
	v_lshl_or_b32 v17, v17, 3, v60
                                        ; implicit-def: $vgpr60
	v_and_or_b32 v99, v16, 7, v17
; %bb.12403:                            ;   in Loop: Header=BB6_11188 Depth=2
	s_and_not1_saveexec_b32 s7, s7
; %bb.12404:                            ;   in Loop: Header=BB6_11188 Depth=2
	v_mov_b32_e32 v99, v60
; %bb.12405:                            ;   in Loop: Header=BB6_11188 Depth=2
	s_or_b32 exec_lo, exec_lo, s7
.LBB6_12406:                            ;   in Loop: Header=BB6_11188 Depth=2
	s_delay_alu instid0(SALU_CYCLE_1)
	s_or_b32 exec_lo, exec_lo, s29
                                        ; implicit-def: $vgpr60
.LBB6_12407:                            ;   in Loop: Header=BB6_11188 Depth=2
	s_and_not1_saveexec_b32 s7, s11
; %bb.12408:                            ;   in Loop: Header=BB6_11188 Depth=2
	v_or_b32_e32 v99, 0x7e, v60
; %bb.12409:                            ;   in Loop: Header=BB6_11188 Depth=2
	s_or_b32 exec_lo, exec_lo, s7
                                        ; implicit-def: $vgpr17
.LBB6_12410:                            ;   in Loop: Header=BB6_11188 Depth=2
	s_and_not1_saveexec_b32 s7, s10
; %bb.12411:                            ;   in Loop: Header=BB6_11188 Depth=2
	v_or_b32_e32 v99, 0x7f, v17
; %bb.12412:                            ;   in Loop: Header=BB6_11188 Depth=2
	s_or_b32 exec_lo, exec_lo, s7
	v_and_b32_e32 v16, 0xff, v98
	v_dual_mov_b32 v18, 0 :: v_dual_mov_b32 v19, 0
	s_mov_b32 s7, exec_lo
	s_delay_alu instid0(VALU_DEP_2)
	v_cmpx_ne_u16_e32 0, v16
	s_cbranch_execz .LBB6_12420
; %bb.12413:                            ;   in Loop: Header=BB6_11188 Depth=2
	v_bfrev_b32_e32 v19, 1
	s_mov_b32 s10, exec_lo
	v_cmpx_ne_u16_e32 0x80, v16
	s_cbranch_execz .LBB6_12419
; %bb.12414:                            ;   in Loop: Header=BB6_11188 Depth=2
	v_and_b32_e32 v17, 0x7f, v98
	v_mov_b32_e32 v19, 0x7f800001
	s_mov_b32 s11, exec_lo
	s_delay_alu instid0(VALU_DEP_2)
	v_cmpx_ne_u32_e32 0x7f, v17
	s_cbranch_execz .LBB6_12418
; %bb.12415:                            ;   in Loop: Header=BB6_11188 Depth=2
	v_dual_lshrrev_b32 v19, 3, v17 :: v_dual_bitop2_b32 v52, 7, v16 bitop3:0x40
	v_cmp_gt_u32_e32 vcc_lo, 8, v17
	s_delay_alu instid0(VALU_DEP_2)
	v_mov_b64_e32 v[16:17], v[52:53]
	s_and_saveexec_b32 s29, vcc_lo
; %bb.12416:                            ;   in Loop: Header=BB6_11188 Depth=2
	v_clz_i32_u32_e32 v16, v52
	s_delay_alu instid0(VALU_DEP_1) | instskip(NEXT) | instid1(VALU_DEP_1)
	v_min_u32_e32 v19, 32, v16
	v_subrev_nc_u32_e32 v16, 28, v19
	s_delay_alu instid0(VALU_DEP_1) | instskip(NEXT) | instid1(VALU_DEP_1)
	v_lshlrev_b64_e32 v[16:17], v16, v[52:53]
	v_dual_sub_nc_u32 v19, 29, v19 :: v_dual_bitop2_b32 v16, 7, v16 bitop3:0x40
; %bb.12417:                            ;   in Loop: Header=BB6_11188 Depth=2
	s_or_b32 exec_lo, exec_lo, s29
	s_delay_alu instid0(VALU_DEP_1) | instskip(NEXT) | instid1(VALU_DEP_2)
	v_dual_lshlrev_b32 v17, 24, v98 :: v_dual_lshlrev_b32 v16, 20, v16
	v_lshl_add_u32 v19, v19, 23, 0x3c000000
	s_delay_alu instid0(VALU_DEP_2) | instskip(NEXT) | instid1(VALU_DEP_1)
	v_and_b32_e32 v17, 0x80000000, v17
	v_or3_b32 v19, v16, v17, v19
.LBB6_12418:                            ;   in Loop: Header=BB6_11188 Depth=2
	s_or_b32 exec_lo, exec_lo, s11
.LBB6_12419:                            ;   in Loop: Header=BB6_11188 Depth=2
	s_delay_alu instid0(SALU_CYCLE_1)
	s_or_b32 exec_lo, exec_lo, s10
.LBB6_12420:                            ;   in Loop: Header=BB6_11188 Depth=2
	s_delay_alu instid0(SALU_CYCLE_1) | instskip(SKIP_3) | instid1(VALU_DEP_1)
	s_or_b32 exec_lo, exec_lo, s7
	s_wait_loadcnt_dscnt 0x1616
	v_and_b32_e32 v16, 0xff, v59
	s_mov_b32 s7, exec_lo
	v_cmpx_ne_u16_e32 0, v16
	s_cbranch_execz .LBB6_12428
; %bb.12421:                            ;   in Loop: Header=BB6_11188 Depth=2
	v_bfrev_b32_e32 v18, 1
	s_mov_b32 s10, exec_lo
	v_cmpx_ne_u16_e32 0x80, v16
	s_cbranch_execz .LBB6_12427
; %bb.12422:                            ;   in Loop: Header=BB6_11188 Depth=2
	v_and_b32_e32 v17, 0x7f, v59
	v_mov_b32_e32 v18, 0x7f800001
	s_mov_b32 s11, exec_lo
	s_delay_alu instid0(VALU_DEP_2)
	v_cmpx_ne_u32_e32 0x7f, v17
	s_cbranch_execz .LBB6_12426
; %bb.12423:                            ;   in Loop: Header=BB6_11188 Depth=2
	v_dual_lshrrev_b32 v18, 3, v17 :: v_dual_bitop2_b32 v52, 7, v16 bitop3:0x40
	v_cmp_gt_u32_e32 vcc_lo, 8, v17
	s_delay_alu instid0(VALU_DEP_2)
	v_mov_b64_e32 v[16:17], v[52:53]
	s_and_saveexec_b32 s29, vcc_lo
; %bb.12424:                            ;   in Loop: Header=BB6_11188 Depth=2
	v_clz_i32_u32_e32 v16, v52
	s_delay_alu instid0(VALU_DEP_1) | instskip(NEXT) | instid1(VALU_DEP_1)
	v_min_u32_e32 v18, 32, v16
	v_subrev_nc_u32_e32 v16, 28, v18
	s_delay_alu instid0(VALU_DEP_1) | instskip(NEXT) | instid1(VALU_DEP_1)
	v_lshlrev_b64_e32 v[16:17], v16, v[52:53]
	v_dual_sub_nc_u32 v18, 29, v18 :: v_dual_bitop2_b32 v16, 7, v16 bitop3:0x40
; %bb.12425:                            ;   in Loop: Header=BB6_11188 Depth=2
	s_or_b32 exec_lo, exec_lo, s29
	s_delay_alu instid0(VALU_DEP_1) | instskip(NEXT) | instid1(VALU_DEP_2)
	v_dual_lshlrev_b32 v17, 24, v59 :: v_dual_lshlrev_b32 v16, 20, v16
	v_lshl_add_u32 v18, v18, 23, 0x3c000000
	s_delay_alu instid0(VALU_DEP_2) | instskip(NEXT) | instid1(VALU_DEP_1)
	v_and_b32_e32 v17, 0x80000000, v17
	v_or3_b32 v18, v16, v17, v18
.LBB6_12426:                            ;   in Loop: Header=BB6_11188 Depth=2
	s_or_b32 exec_lo, exec_lo, s11
.LBB6_12427:                            ;   in Loop: Header=BB6_11188 Depth=2
	s_delay_alu instid0(SALU_CYCLE_1)
	s_or_b32 exec_lo, exec_lo, s10
.LBB6_12428:                            ;   in Loop: Header=BB6_11188 Depth=2
	s_delay_alu instid0(SALU_CYCLE_1) | instskip(NEXT) | instid1(VALU_DEP_1)
	s_or_b32 exec_lo, exec_lo, s7
	v_add_f32_e32 v16, v19, v18
                                        ; implicit-def: $vgpr98
	s_mov_b32 s7, exec_lo
	s_delay_alu instid0(VALU_DEP_1) | instskip(SKIP_1) | instid1(VALU_DEP_2)
	v_and_b32_e32 v52, 0x7f800000, v16
	v_lshrrev_b32_e32 v17, 24, v16
	v_cmpx_ne_u64_e32 0x7f800000, v[52:53]
	s_xor_b32 s10, exec_lo, s7
	s_cbranch_execz .LBB6_12446
; %bb.12429:                            ;   in Loop: Header=BB6_11188 Depth=2
	v_and_b32_e32 v52, 0x7fffffff, v16
	v_and_b32_e32 v59, 0x80, v17
                                        ; implicit-def: $vgpr98
	s_mov_b32 s7, exec_lo
	s_delay_alu instid0(VALU_DEP_2)
	v_cmpx_gt_u64_e32 0x43e00001, v[52:53]
	s_xor_b32 s11, exec_lo, s7
	s_cbranch_execz .LBB6_12443
; %bb.12430:                            ;   in Loop: Header=BB6_11188 Depth=2
	v_mov_b32_e32 v98, 0
	s_mov_b32 s29, exec_lo
	v_cmpx_ne_u32_e32 0, v16
	s_cbranch_execz .LBB6_12442
; %bb.12431:                            ;   in Loop: Header=BB6_11188 Depth=2
	v_bfe_u32 v98, v16, 23, 8
	v_and_b32_e32 v18, 0x7fffff, v16
	s_delay_alu instid0(VALU_DEP_2) | instskip(SKIP_1) | instid1(VALU_DEP_3)
	v_sub_nc_u32_e32 v17, 0x79, v98
	v_cmp_gt_u32_e32 vcc_lo, 0x7a, v98
	v_or_b32_e32 v19, 0x800000, v18
	s_delay_alu instid0(VALU_DEP_3) | instskip(SKIP_1) | instid1(VALU_DEP_2)
	v_cndmask_b32_e32 v17, 0, v17, vcc_lo
	v_cmp_eq_u32_e32 vcc_lo, 0, v98
	v_cndmask_b32_e64 v60, v17, 0x78, vcc_lo
	s_delay_alu instid0(VALU_DEP_1) | instskip(SKIP_1) | instid1(VALU_DEP_2)
	v_dual_cndmask_b32 v52, v19, v18 :: v_dual_add_nc_u32 v61, 19, v60
	v_add_nc_u32_e32 v16, 20, v60
	v_lshlrev_b64_e64 v[18:19], v61, 1
	s_delay_alu instid0(VALU_DEP_2) | instskip(NEXT) | instid1(VALU_DEP_1)
	v_lshlrev_b64_e64 v[16:17], v16, -1
	v_bfi_b32 v63, v17, 0, 0
	s_delay_alu instid0(VALU_DEP_2) | instskip(SKIP_1) | instid1(VALU_DEP_2)
	v_bfi_b32 v62, v16, 0, v52
	v_lshrrev_b64 v[16:17], v60, v[52:53]
	v_cmp_eq_u64_e64 s7, v[62:63], v[18:19]
	s_delay_alu instid0(VALU_DEP_2)
	v_mov_b64_e32 v[18:19], v[16:17]
	s_and_saveexec_b32 s40, s7
; %bb.12432:                            ;   in Loop: Header=BB6_11188 Depth=2
	v_bfe_u32 v52, v16, 20, 1
	s_delay_alu instid0(VALU_DEP_1) | instskip(NEXT) | instid1(VALU_DEP_1)
	v_add_nc_u64_e32 v[18:19], v[16:17], v[52:53]
	v_add_nc_u64_e32 v[18:19], -1, v[18:19]
; %bb.12433:                            ;   in Loop: Header=BB6_11188 Depth=2
	s_or_b32 exec_lo, exec_lo, s40
	v_add_nc_u32_e32 v17, 0xffffff81, v98
	v_lshrrev_b32_e32 v19, 23, v16
	s_mov_b32 s7, exec_lo
	s_delay_alu instid0(VALU_DEP_2) | instskip(NEXT) | instid1(VALU_DEP_1)
	v_cndmask_b32_e64 v17, v17, 0xffffff82, vcc_lo
	v_add3_u32 v19, v60, v17, v19
	v_and_b32_e32 v17, 0xfffff, v18
                                        ; implicit-def: $vgpr18
	s_delay_alu instid0(VALU_DEP_1) | instskip(NEXT) | instid1(VALU_DEP_1)
	v_dual_add_nc_u32 v98, 6, v19 :: v_dual_add_nc_u32 v52, v17, v16
                                        ; implicit-def: $vgpr16_vgpr17
	v_cmpx_ne_u32_e32 0, v98
	s_xor_b32 s7, exec_lo, s7
; %bb.12434:                            ;   in Loop: Header=BB6_11188 Depth=2
	s_delay_alu instid0(VALU_DEP_2) | instskip(SKIP_1) | instid1(VALU_DEP_1)
	v_cmp_lt_u64_e32 vcc_lo, 0xffffff, v[52:53]
	v_add_nc_u32_e32 v16, 7, v19
	v_cndmask_b32_e32 v18, v98, v16, vcc_lo
	v_cndmask_b32_e64 v16, 0, 1, vcc_lo
	s_delay_alu instid0(VALU_DEP_1)
	v_lshrrev_b64 v[16:17], v16, v[52:53]
; %bb.12435:                            ;   in Loop: Header=BB6_11188 Depth=2
	s_and_not1_saveexec_b32 s7, s7
; %bb.12436:                            ;   in Loop: Header=BB6_11188 Depth=2
	v_mov_b64_e32 v[16:17], v[52:53]
	v_bfe_u32 v18, v52, 23, 1
; %bb.12437:                            ;   in Loop: Header=BB6_11188 Depth=2
	s_or_b32 exec_lo, exec_lo, s7
	s_delay_alu instid0(VALU_DEP_2) | instskip(NEXT) | instid1(VALU_DEP_2)
	v_lshrrev_b64 v[16:17], 20, v[16:17]
	v_cmp_gt_i32_e32 vcc_lo, 16, v18
	v_cmp_ne_u32_e64 s7, 0, v18
                                        ; implicit-def: $vgpr98
	s_delay_alu instid0(VALU_DEP_3) | instskip(NEXT) | instid1(VALU_DEP_1)
	v_dual_cndmask_b32 v17, 0, v17 :: v_dual_cndmask_b32 v16, 7, v16
	v_cmp_ne_u64_e32 vcc_lo, 0, v[16:17]
	s_or_b32 s7, s7, vcc_lo
	s_delay_alu instid0(SALU_CYCLE_1) | instskip(NEXT) | instid1(SALU_CYCLE_1)
	s_and_saveexec_b32 s40, s7
	s_xor_b32 s7, exec_lo, s40
; %bb.12438:                            ;   in Loop: Header=BB6_11188 Depth=2
	v_min_i32_e32 v17, 15, v18
	s_delay_alu instid0(VALU_DEP_1) | instskip(NEXT) | instid1(VALU_DEP_1)
	v_lshl_or_b32 v17, v17, 3, v59
                                        ; implicit-def: $vgpr59
	v_and_or_b32 v98, v16, 7, v17
; %bb.12439:                            ;   in Loop: Header=BB6_11188 Depth=2
	s_and_not1_saveexec_b32 s7, s7
; %bb.12440:                            ;   in Loop: Header=BB6_11188 Depth=2
	v_mov_b32_e32 v98, v59
; %bb.12441:                            ;   in Loop: Header=BB6_11188 Depth=2
	s_or_b32 exec_lo, exec_lo, s7
.LBB6_12442:                            ;   in Loop: Header=BB6_11188 Depth=2
	s_delay_alu instid0(SALU_CYCLE_1)
	s_or_b32 exec_lo, exec_lo, s29
                                        ; implicit-def: $vgpr59
.LBB6_12443:                            ;   in Loop: Header=BB6_11188 Depth=2
	s_and_not1_saveexec_b32 s7, s11
; %bb.12444:                            ;   in Loop: Header=BB6_11188 Depth=2
	v_or_b32_e32 v98, 0x7e, v59
; %bb.12445:                            ;   in Loop: Header=BB6_11188 Depth=2
	s_or_b32 exec_lo, exec_lo, s7
                                        ; implicit-def: $vgpr17
.LBB6_12446:                            ;   in Loop: Header=BB6_11188 Depth=2
	s_and_not1_saveexec_b32 s7, s10
; %bb.12447:                            ;   in Loop: Header=BB6_11188 Depth=2
	v_or_b32_e32 v98, 0x7f, v17
; %bb.12448:                            ;   in Loop: Header=BB6_11188 Depth=2
	s_or_b32 exec_lo, exec_lo, s7
	v_and_b32_e32 v16, 0xff, v97
	v_dual_mov_b32 v18, 0 :: v_dual_mov_b32 v19, 0
	s_mov_b32 s7, exec_lo
	s_delay_alu instid0(VALU_DEP_2)
	v_cmpx_ne_u16_e32 0, v16
	s_cbranch_execz .LBB6_12456
; %bb.12449:                            ;   in Loop: Header=BB6_11188 Depth=2
	v_bfrev_b32_e32 v19, 1
	s_mov_b32 s10, exec_lo
	v_cmpx_ne_u16_e32 0x80, v16
	s_cbranch_execz .LBB6_12455
; %bb.12450:                            ;   in Loop: Header=BB6_11188 Depth=2
	v_and_b32_e32 v17, 0x7f, v97
	v_mov_b32_e32 v19, 0x7f800001
	s_mov_b32 s11, exec_lo
	s_delay_alu instid0(VALU_DEP_2)
	v_cmpx_ne_u32_e32 0x7f, v17
	s_cbranch_execz .LBB6_12454
; %bb.12451:                            ;   in Loop: Header=BB6_11188 Depth=2
	v_dual_lshrrev_b32 v19, 3, v17 :: v_dual_bitop2_b32 v52, 7, v16 bitop3:0x40
	v_cmp_gt_u32_e32 vcc_lo, 8, v17
	s_delay_alu instid0(VALU_DEP_2)
	v_mov_b64_e32 v[16:17], v[52:53]
	s_and_saveexec_b32 s29, vcc_lo
; %bb.12452:                            ;   in Loop: Header=BB6_11188 Depth=2
	v_clz_i32_u32_e32 v16, v52
	s_delay_alu instid0(VALU_DEP_1) | instskip(NEXT) | instid1(VALU_DEP_1)
	v_min_u32_e32 v19, 32, v16
	v_subrev_nc_u32_e32 v16, 28, v19
	s_delay_alu instid0(VALU_DEP_1) | instskip(NEXT) | instid1(VALU_DEP_1)
	v_lshlrev_b64_e32 v[16:17], v16, v[52:53]
	v_dual_sub_nc_u32 v19, 29, v19 :: v_dual_bitop2_b32 v16, 7, v16 bitop3:0x40
; %bb.12453:                            ;   in Loop: Header=BB6_11188 Depth=2
	s_or_b32 exec_lo, exec_lo, s29
	s_delay_alu instid0(VALU_DEP_1) | instskip(NEXT) | instid1(VALU_DEP_2)
	v_dual_lshlrev_b32 v17, 24, v97 :: v_dual_lshlrev_b32 v16, 20, v16
	v_lshl_add_u32 v19, v19, 23, 0x3c000000
	s_delay_alu instid0(VALU_DEP_2) | instskip(NEXT) | instid1(VALU_DEP_1)
	v_and_b32_e32 v17, 0x80000000, v17
	v_or3_b32 v19, v16, v17, v19
.LBB6_12454:                            ;   in Loop: Header=BB6_11188 Depth=2
	s_or_b32 exec_lo, exec_lo, s11
.LBB6_12455:                            ;   in Loop: Header=BB6_11188 Depth=2
	s_delay_alu instid0(SALU_CYCLE_1)
	s_or_b32 exec_lo, exec_lo, s10
.LBB6_12456:                            ;   in Loop: Header=BB6_11188 Depth=2
	s_delay_alu instid0(SALU_CYCLE_1) | instskip(SKIP_3) | instid1(VALU_DEP_1)
	s_or_b32 exec_lo, exec_lo, s7
	s_wait_loadcnt_dscnt 0x1515
	v_and_b32_e32 v16, 0xff, v58
	s_mov_b32 s7, exec_lo
	v_cmpx_ne_u16_e32 0, v16
	s_cbranch_execz .LBB6_12464
; %bb.12457:                            ;   in Loop: Header=BB6_11188 Depth=2
	v_bfrev_b32_e32 v18, 1
	s_mov_b32 s10, exec_lo
	v_cmpx_ne_u16_e32 0x80, v16
	s_cbranch_execz .LBB6_12463
; %bb.12458:                            ;   in Loop: Header=BB6_11188 Depth=2
	v_and_b32_e32 v17, 0x7f, v58
	v_mov_b32_e32 v18, 0x7f800001
	s_mov_b32 s11, exec_lo
	s_delay_alu instid0(VALU_DEP_2)
	v_cmpx_ne_u32_e32 0x7f, v17
	s_cbranch_execz .LBB6_12462
; %bb.12459:                            ;   in Loop: Header=BB6_11188 Depth=2
	v_dual_lshrrev_b32 v18, 3, v17 :: v_dual_bitop2_b32 v52, 7, v16 bitop3:0x40
	v_cmp_gt_u32_e32 vcc_lo, 8, v17
	s_delay_alu instid0(VALU_DEP_2)
	v_mov_b64_e32 v[16:17], v[52:53]
	s_and_saveexec_b32 s29, vcc_lo
; %bb.12460:                            ;   in Loop: Header=BB6_11188 Depth=2
	v_clz_i32_u32_e32 v16, v52
	s_delay_alu instid0(VALU_DEP_1) | instskip(NEXT) | instid1(VALU_DEP_1)
	v_min_u32_e32 v18, 32, v16
	v_subrev_nc_u32_e32 v16, 28, v18
	s_delay_alu instid0(VALU_DEP_1) | instskip(NEXT) | instid1(VALU_DEP_1)
	v_lshlrev_b64_e32 v[16:17], v16, v[52:53]
	v_dual_sub_nc_u32 v18, 29, v18 :: v_dual_bitop2_b32 v16, 7, v16 bitop3:0x40
; %bb.12461:                            ;   in Loop: Header=BB6_11188 Depth=2
	s_or_b32 exec_lo, exec_lo, s29
	s_delay_alu instid0(VALU_DEP_1) | instskip(NEXT) | instid1(VALU_DEP_2)
	v_dual_lshlrev_b32 v17, 24, v58 :: v_dual_lshlrev_b32 v16, 20, v16
	v_lshl_add_u32 v18, v18, 23, 0x3c000000
	s_delay_alu instid0(VALU_DEP_2) | instskip(NEXT) | instid1(VALU_DEP_1)
	v_and_b32_e32 v17, 0x80000000, v17
	v_or3_b32 v18, v16, v17, v18
.LBB6_12462:                            ;   in Loop: Header=BB6_11188 Depth=2
	s_or_b32 exec_lo, exec_lo, s11
.LBB6_12463:                            ;   in Loop: Header=BB6_11188 Depth=2
	s_delay_alu instid0(SALU_CYCLE_1)
	s_or_b32 exec_lo, exec_lo, s10
.LBB6_12464:                            ;   in Loop: Header=BB6_11188 Depth=2
	s_delay_alu instid0(SALU_CYCLE_1) | instskip(NEXT) | instid1(VALU_DEP_1)
	s_or_b32 exec_lo, exec_lo, s7
	v_add_f32_e32 v16, v19, v18
                                        ; implicit-def: $vgpr97
	s_mov_b32 s7, exec_lo
	s_delay_alu instid0(VALU_DEP_1) | instskip(SKIP_1) | instid1(VALU_DEP_2)
	v_and_b32_e32 v52, 0x7f800000, v16
	v_lshrrev_b32_e32 v17, 24, v16
	v_cmpx_ne_u64_e32 0x7f800000, v[52:53]
	s_xor_b32 s10, exec_lo, s7
	s_cbranch_execz .LBB6_12482
; %bb.12465:                            ;   in Loop: Header=BB6_11188 Depth=2
	v_and_b32_e32 v52, 0x7fffffff, v16
	v_and_b32_e32 v58, 0x80, v17
                                        ; implicit-def: $vgpr97
	s_mov_b32 s7, exec_lo
	s_delay_alu instid0(VALU_DEP_2)
	v_cmpx_gt_u64_e32 0x43e00001, v[52:53]
	s_xor_b32 s11, exec_lo, s7
	s_cbranch_execz .LBB6_12479
; %bb.12466:                            ;   in Loop: Header=BB6_11188 Depth=2
	v_mov_b32_e32 v97, 0
	s_mov_b32 s29, exec_lo
	v_cmpx_ne_u32_e32 0, v16
	s_cbranch_execz .LBB6_12478
; %bb.12467:                            ;   in Loop: Header=BB6_11188 Depth=2
	v_bfe_u32 v97, v16, 23, 8
	v_and_b32_e32 v18, 0x7fffff, v16
	s_delay_alu instid0(VALU_DEP_2) | instskip(NEXT) | instid1(VALU_DEP_2)
	v_cmp_gt_u32_e32 vcc_lo, 0x7a, v97
	v_or_b32_e32 v19, 0x800000, v18
	v_sub_nc_u32_e32 v17, 0x79, v97
	s_delay_alu instid0(VALU_DEP_1) | instskip(SKIP_1) | instid1(VALU_DEP_2)
	v_cndmask_b32_e32 v17, 0, v17, vcc_lo
	v_cmp_eq_u32_e32 vcc_lo, 0, v97
	v_cndmask_b32_e64 v59, v17, 0x78, vcc_lo
	s_delay_alu instid0(VALU_DEP_1) | instskip(SKIP_1) | instid1(VALU_DEP_2)
	v_dual_cndmask_b32 v52, v19, v18, vcc_lo :: v_dual_add_nc_u32 v16, 20, v59
	v_add_nc_u32_e32 v60, 19, v59
	v_lshlrev_b64_e64 v[16:17], v16, -1
	s_delay_alu instid0(VALU_DEP_2) | instskip(NEXT) | instid1(VALU_DEP_2)
	v_lshlrev_b64_e64 v[18:19], v60, 1
	v_bfi_b32 v61, v17, 0, 0
	s_delay_alu instid0(VALU_DEP_3) | instskip(SKIP_1) | instid1(VALU_DEP_2)
	v_bfi_b32 v60, v16, 0, v52
	v_lshrrev_b64 v[16:17], v59, v[52:53]
	v_cmp_eq_u64_e64 s7, v[60:61], v[18:19]
	s_delay_alu instid0(VALU_DEP_2)
	v_mov_b64_e32 v[18:19], v[16:17]
	s_and_saveexec_b32 s40, s7
; %bb.12468:                            ;   in Loop: Header=BB6_11188 Depth=2
	v_bfe_u32 v52, v16, 20, 1
	s_delay_alu instid0(VALU_DEP_1) | instskip(NEXT) | instid1(VALU_DEP_1)
	v_add_nc_u64_e32 v[18:19], v[16:17], v[52:53]
	v_add_nc_u64_e32 v[18:19], -1, v[18:19]
; %bb.12469:                            ;   in Loop: Header=BB6_11188 Depth=2
	s_or_b32 exec_lo, exec_lo, s40
	v_add_nc_u32_e32 v17, 0xffffff81, v97
	v_lshrrev_b32_e32 v19, 23, v16
	s_mov_b32 s7, exec_lo
	s_delay_alu instid0(VALU_DEP_2) | instskip(NEXT) | instid1(VALU_DEP_1)
	v_cndmask_b32_e64 v17, v17, 0xffffff82, vcc_lo
	v_add3_u32 v19, v59, v17, v19
	v_and_b32_e32 v17, 0xfffff, v18
                                        ; implicit-def: $vgpr18
	s_delay_alu instid0(VALU_DEP_1) | instskip(NEXT) | instid1(VALU_DEP_1)
	v_dual_add_nc_u32 v97, 6, v19 :: v_dual_add_nc_u32 v52, v17, v16
                                        ; implicit-def: $vgpr16_vgpr17
	v_cmpx_ne_u32_e32 0, v97
	s_xor_b32 s7, exec_lo, s7
; %bb.12470:                            ;   in Loop: Header=BB6_11188 Depth=2
	s_delay_alu instid0(VALU_DEP_2) | instskip(SKIP_1) | instid1(VALU_DEP_1)
	v_cmp_lt_u64_e32 vcc_lo, 0xffffff, v[52:53]
	v_add_nc_u32_e32 v16, 7, v19
	v_cndmask_b32_e32 v18, v97, v16, vcc_lo
	v_cndmask_b32_e64 v16, 0, 1, vcc_lo
	s_delay_alu instid0(VALU_DEP_1)
	v_lshrrev_b64 v[16:17], v16, v[52:53]
; %bb.12471:                            ;   in Loop: Header=BB6_11188 Depth=2
	s_and_not1_saveexec_b32 s7, s7
; %bb.12472:                            ;   in Loop: Header=BB6_11188 Depth=2
	v_mov_b64_e32 v[16:17], v[52:53]
	v_bfe_u32 v18, v52, 23, 1
; %bb.12473:                            ;   in Loop: Header=BB6_11188 Depth=2
	s_or_b32 exec_lo, exec_lo, s7
	s_delay_alu instid0(VALU_DEP_2) | instskip(NEXT) | instid1(VALU_DEP_2)
	v_lshrrev_b64 v[16:17], 20, v[16:17]
	v_cmp_gt_i32_e32 vcc_lo, 16, v18
	v_cmp_ne_u32_e64 s7, 0, v18
                                        ; implicit-def: $vgpr97
	s_delay_alu instid0(VALU_DEP_3) | instskip(NEXT) | instid1(VALU_DEP_1)
	v_dual_cndmask_b32 v17, 0, v17 :: v_dual_cndmask_b32 v16, 7, v16
	v_cmp_ne_u64_e32 vcc_lo, 0, v[16:17]
	s_or_b32 s7, s7, vcc_lo
	s_delay_alu instid0(SALU_CYCLE_1) | instskip(NEXT) | instid1(SALU_CYCLE_1)
	s_and_saveexec_b32 s40, s7
	s_xor_b32 s7, exec_lo, s40
; %bb.12474:                            ;   in Loop: Header=BB6_11188 Depth=2
	v_min_i32_e32 v17, 15, v18
	s_delay_alu instid0(VALU_DEP_1) | instskip(NEXT) | instid1(VALU_DEP_1)
	v_lshl_or_b32 v17, v17, 3, v58
                                        ; implicit-def: $vgpr58
	v_and_or_b32 v97, v16, 7, v17
; %bb.12475:                            ;   in Loop: Header=BB6_11188 Depth=2
	s_and_not1_saveexec_b32 s7, s7
; %bb.12476:                            ;   in Loop: Header=BB6_11188 Depth=2
	v_mov_b32_e32 v97, v58
; %bb.12477:                            ;   in Loop: Header=BB6_11188 Depth=2
	s_or_b32 exec_lo, exec_lo, s7
.LBB6_12478:                            ;   in Loop: Header=BB6_11188 Depth=2
	s_delay_alu instid0(SALU_CYCLE_1)
	s_or_b32 exec_lo, exec_lo, s29
                                        ; implicit-def: $vgpr58
.LBB6_12479:                            ;   in Loop: Header=BB6_11188 Depth=2
	s_and_not1_saveexec_b32 s7, s11
; %bb.12480:                            ;   in Loop: Header=BB6_11188 Depth=2
	v_or_b32_e32 v97, 0x7e, v58
; %bb.12481:                            ;   in Loop: Header=BB6_11188 Depth=2
	s_or_b32 exec_lo, exec_lo, s7
                                        ; implicit-def: $vgpr17
.LBB6_12482:                            ;   in Loop: Header=BB6_11188 Depth=2
	s_and_not1_saveexec_b32 s7, s10
; %bb.12483:                            ;   in Loop: Header=BB6_11188 Depth=2
	v_or_b32_e32 v97, 0x7f, v17
; %bb.12484:                            ;   in Loop: Header=BB6_11188 Depth=2
	s_or_b32 exec_lo, exec_lo, s7
	v_and_b32_e32 v16, 0xff, v96
	v_dual_mov_b32 v18, 0 :: v_dual_mov_b32 v19, 0
	s_mov_b32 s7, exec_lo
	s_delay_alu instid0(VALU_DEP_2)
	v_cmpx_ne_u16_e32 0, v16
	s_cbranch_execz .LBB6_12492
; %bb.12485:                            ;   in Loop: Header=BB6_11188 Depth=2
	v_bfrev_b32_e32 v19, 1
	s_mov_b32 s10, exec_lo
	v_cmpx_ne_u16_e32 0x80, v16
	s_cbranch_execz .LBB6_12491
; %bb.12486:                            ;   in Loop: Header=BB6_11188 Depth=2
	v_and_b32_e32 v17, 0x7f, v96
	v_mov_b32_e32 v19, 0x7f800001
	s_mov_b32 s11, exec_lo
	s_delay_alu instid0(VALU_DEP_2)
	v_cmpx_ne_u32_e32 0x7f, v17
	s_cbranch_execz .LBB6_12490
; %bb.12487:                            ;   in Loop: Header=BB6_11188 Depth=2
	v_dual_lshrrev_b32 v19, 3, v17 :: v_dual_bitop2_b32 v52, 7, v16 bitop3:0x40
	v_cmp_gt_u32_e32 vcc_lo, 8, v17
	s_delay_alu instid0(VALU_DEP_2)
	v_mov_b64_e32 v[16:17], v[52:53]
	s_and_saveexec_b32 s29, vcc_lo
; %bb.12488:                            ;   in Loop: Header=BB6_11188 Depth=2
	v_clz_i32_u32_e32 v16, v52
	s_delay_alu instid0(VALU_DEP_1) | instskip(NEXT) | instid1(VALU_DEP_1)
	v_min_u32_e32 v19, 32, v16
	v_subrev_nc_u32_e32 v16, 28, v19
	s_delay_alu instid0(VALU_DEP_1) | instskip(NEXT) | instid1(VALU_DEP_1)
	v_lshlrev_b64_e32 v[16:17], v16, v[52:53]
	v_dual_sub_nc_u32 v19, 29, v19 :: v_dual_bitop2_b32 v16, 7, v16 bitop3:0x40
; %bb.12489:                            ;   in Loop: Header=BB6_11188 Depth=2
	s_or_b32 exec_lo, exec_lo, s29
	v_lshlrev_b32_e32 v17, 24, v96
	s_delay_alu instid0(VALU_DEP_2) | instskip(NEXT) | instid1(VALU_DEP_3)
	v_lshlrev_b32_e32 v16, 20, v16
	v_lshl_add_u32 v19, v19, 23, 0x3c000000
	s_delay_alu instid0(VALU_DEP_3) | instskip(NEXT) | instid1(VALU_DEP_1)
	v_and_b32_e32 v17, 0x80000000, v17
	v_or3_b32 v19, v16, v17, v19
.LBB6_12490:                            ;   in Loop: Header=BB6_11188 Depth=2
	s_or_b32 exec_lo, exec_lo, s11
.LBB6_12491:                            ;   in Loop: Header=BB6_11188 Depth=2
	s_delay_alu instid0(SALU_CYCLE_1)
	s_or_b32 exec_lo, exec_lo, s10
.LBB6_12492:                            ;   in Loop: Header=BB6_11188 Depth=2
	s_delay_alu instid0(SALU_CYCLE_1) | instskip(SKIP_3) | instid1(VALU_DEP_1)
	s_or_b32 exec_lo, exec_lo, s7
	s_wait_loadcnt_dscnt 0x1414
	v_and_b32_e32 v16, 0xff, v57
	s_mov_b32 s7, exec_lo
	v_cmpx_ne_u16_e32 0, v16
	s_cbranch_execz .LBB6_12500
; %bb.12493:                            ;   in Loop: Header=BB6_11188 Depth=2
	v_bfrev_b32_e32 v18, 1
	s_mov_b32 s10, exec_lo
	v_cmpx_ne_u16_e32 0x80, v16
	s_cbranch_execz .LBB6_12499
; %bb.12494:                            ;   in Loop: Header=BB6_11188 Depth=2
	v_and_b32_e32 v17, 0x7f, v57
	v_mov_b32_e32 v18, 0x7f800001
	s_mov_b32 s11, exec_lo
	s_delay_alu instid0(VALU_DEP_2)
	v_cmpx_ne_u32_e32 0x7f, v17
	s_cbranch_execz .LBB6_12498
; %bb.12495:                            ;   in Loop: Header=BB6_11188 Depth=2
	v_dual_lshrrev_b32 v18, 3, v17 :: v_dual_bitop2_b32 v52, 7, v16 bitop3:0x40
	v_cmp_gt_u32_e32 vcc_lo, 8, v17
	s_delay_alu instid0(VALU_DEP_2)
	v_mov_b64_e32 v[16:17], v[52:53]
	s_and_saveexec_b32 s29, vcc_lo
; %bb.12496:                            ;   in Loop: Header=BB6_11188 Depth=2
	v_clz_i32_u32_e32 v16, v52
	s_delay_alu instid0(VALU_DEP_1) | instskip(NEXT) | instid1(VALU_DEP_1)
	v_min_u32_e32 v18, 32, v16
	v_subrev_nc_u32_e32 v16, 28, v18
	s_delay_alu instid0(VALU_DEP_1) | instskip(NEXT) | instid1(VALU_DEP_1)
	v_lshlrev_b64_e32 v[16:17], v16, v[52:53]
	v_dual_sub_nc_u32 v18, 29, v18 :: v_dual_bitop2_b32 v16, 7, v16 bitop3:0x40
; %bb.12497:                            ;   in Loop: Header=BB6_11188 Depth=2
	s_or_b32 exec_lo, exec_lo, s29
	s_delay_alu instid0(VALU_DEP_1) | instskip(NEXT) | instid1(VALU_DEP_2)
	v_dual_lshlrev_b32 v17, 24, v57 :: v_dual_lshlrev_b32 v16, 20, v16
	v_lshl_add_u32 v18, v18, 23, 0x3c000000
	s_delay_alu instid0(VALU_DEP_2) | instskip(NEXT) | instid1(VALU_DEP_1)
	v_and_b32_e32 v17, 0x80000000, v17
	v_or3_b32 v18, v16, v17, v18
.LBB6_12498:                            ;   in Loop: Header=BB6_11188 Depth=2
	s_or_b32 exec_lo, exec_lo, s11
.LBB6_12499:                            ;   in Loop: Header=BB6_11188 Depth=2
	s_delay_alu instid0(SALU_CYCLE_1)
	s_or_b32 exec_lo, exec_lo, s10
.LBB6_12500:                            ;   in Loop: Header=BB6_11188 Depth=2
	s_delay_alu instid0(SALU_CYCLE_1) | instskip(NEXT) | instid1(VALU_DEP_1)
	s_or_b32 exec_lo, exec_lo, s7
	v_add_f32_e32 v16, v19, v18
                                        ; implicit-def: $vgpr96
	s_mov_b32 s7, exec_lo
	s_delay_alu instid0(VALU_DEP_1) | instskip(SKIP_1) | instid1(VALU_DEP_2)
	v_and_b32_e32 v52, 0x7f800000, v16
	v_lshrrev_b32_e32 v17, 24, v16
	v_cmpx_ne_u64_e32 0x7f800000, v[52:53]
	s_xor_b32 s10, exec_lo, s7
	s_cbranch_execz .LBB6_12518
; %bb.12501:                            ;   in Loop: Header=BB6_11188 Depth=2
	v_and_b32_e32 v52, 0x7fffffff, v16
	v_and_b32_e32 v57, 0x80, v17
                                        ; implicit-def: $vgpr96
	s_mov_b32 s7, exec_lo
	s_delay_alu instid0(VALU_DEP_2)
	v_cmpx_gt_u64_e32 0x43e00001, v[52:53]
	s_xor_b32 s11, exec_lo, s7
	s_cbranch_execz .LBB6_12515
; %bb.12502:                            ;   in Loop: Header=BB6_11188 Depth=2
	v_mov_b32_e32 v96, 0
	s_mov_b32 s29, exec_lo
	v_cmpx_ne_u32_e32 0, v16
	s_cbranch_execz .LBB6_12514
; %bb.12503:                            ;   in Loop: Header=BB6_11188 Depth=2
	v_bfe_u32 v96, v16, 23, 8
	v_and_b32_e32 v18, 0x7fffff, v16
	s_delay_alu instid0(VALU_DEP_2) | instskip(NEXT) | instid1(VALU_DEP_2)
	v_cmp_gt_u32_e32 vcc_lo, 0x7a, v96
	v_or_b32_e32 v19, 0x800000, v18
	v_sub_nc_u32_e32 v17, 0x79, v96
	s_delay_alu instid0(VALU_DEP_1) | instskip(SKIP_1) | instid1(VALU_DEP_2)
	v_cndmask_b32_e32 v17, 0, v17, vcc_lo
	v_cmp_eq_u32_e32 vcc_lo, 0, v96
	v_cndmask_b32_e64 v58, v17, 0x78, vcc_lo
	v_cndmask_b32_e32 v52, v19, v18, vcc_lo
	s_delay_alu instid0(VALU_DEP_2) | instskip(NEXT) | instid1(VALU_DEP_1)
	v_dual_add_nc_u32 v16, 20, v58 :: v_dual_add_nc_u32 v59, 19, v58
	v_lshlrev_b64_e64 v[16:17], v16, -1
	s_delay_alu instid0(VALU_DEP_2) | instskip(NEXT) | instid1(VALU_DEP_2)
	v_lshlrev_b64_e64 v[18:19], v59, 1
	v_bfi_b32 v61, v17, 0, 0
	s_delay_alu instid0(VALU_DEP_3) | instskip(SKIP_1) | instid1(VALU_DEP_2)
	v_bfi_b32 v60, v16, 0, v52
	v_lshrrev_b64 v[16:17], v58, v[52:53]
	v_cmp_eq_u64_e64 s7, v[60:61], v[18:19]
	s_delay_alu instid0(VALU_DEP_2)
	v_mov_b64_e32 v[18:19], v[16:17]
	s_and_saveexec_b32 s40, s7
; %bb.12504:                            ;   in Loop: Header=BB6_11188 Depth=2
	v_bfe_u32 v52, v16, 20, 1
	s_delay_alu instid0(VALU_DEP_1) | instskip(NEXT) | instid1(VALU_DEP_1)
	v_add_nc_u64_e32 v[18:19], v[16:17], v[52:53]
	v_add_nc_u64_e32 v[18:19], -1, v[18:19]
; %bb.12505:                            ;   in Loop: Header=BB6_11188 Depth=2
	s_or_b32 exec_lo, exec_lo, s40
	v_add_nc_u32_e32 v17, 0xffffff81, v96
	v_lshrrev_b32_e32 v19, 23, v16
	s_mov_b32 s7, exec_lo
	s_delay_alu instid0(VALU_DEP_2) | instskip(NEXT) | instid1(VALU_DEP_1)
	v_cndmask_b32_e64 v17, v17, 0xffffff82, vcc_lo
	v_add3_u32 v19, v58, v17, v19
	v_and_b32_e32 v17, 0xfffff, v18
                                        ; implicit-def: $vgpr18
	s_delay_alu instid0(VALU_DEP_1) | instskip(NEXT) | instid1(VALU_DEP_1)
	v_dual_add_nc_u32 v96, 6, v19 :: v_dual_add_nc_u32 v52, v17, v16
                                        ; implicit-def: $vgpr16_vgpr17
	v_cmpx_ne_u32_e32 0, v96
	s_xor_b32 s7, exec_lo, s7
; %bb.12506:                            ;   in Loop: Header=BB6_11188 Depth=2
	s_delay_alu instid0(VALU_DEP_2) | instskip(SKIP_1) | instid1(VALU_DEP_1)
	v_cmp_lt_u64_e32 vcc_lo, 0xffffff, v[52:53]
	v_add_nc_u32_e32 v16, 7, v19
	v_cndmask_b32_e32 v18, v96, v16, vcc_lo
	v_cndmask_b32_e64 v16, 0, 1, vcc_lo
	s_delay_alu instid0(VALU_DEP_1)
	v_lshrrev_b64 v[16:17], v16, v[52:53]
; %bb.12507:                            ;   in Loop: Header=BB6_11188 Depth=2
	s_and_not1_saveexec_b32 s7, s7
; %bb.12508:                            ;   in Loop: Header=BB6_11188 Depth=2
	v_mov_b64_e32 v[16:17], v[52:53]
	v_bfe_u32 v18, v52, 23, 1
; %bb.12509:                            ;   in Loop: Header=BB6_11188 Depth=2
	s_or_b32 exec_lo, exec_lo, s7
	s_delay_alu instid0(VALU_DEP_2) | instskip(NEXT) | instid1(VALU_DEP_2)
	v_lshrrev_b64 v[16:17], 20, v[16:17]
	v_cmp_gt_i32_e32 vcc_lo, 16, v18
	v_cmp_ne_u32_e64 s7, 0, v18
                                        ; implicit-def: $vgpr96
	s_delay_alu instid0(VALU_DEP_3) | instskip(NEXT) | instid1(VALU_DEP_1)
	v_dual_cndmask_b32 v17, 0, v17 :: v_dual_cndmask_b32 v16, 7, v16
	v_cmp_ne_u64_e32 vcc_lo, 0, v[16:17]
	s_or_b32 s7, s7, vcc_lo
	s_delay_alu instid0(SALU_CYCLE_1) | instskip(NEXT) | instid1(SALU_CYCLE_1)
	s_and_saveexec_b32 s40, s7
	s_xor_b32 s7, exec_lo, s40
; %bb.12510:                            ;   in Loop: Header=BB6_11188 Depth=2
	v_min_i32_e32 v17, 15, v18
	s_delay_alu instid0(VALU_DEP_1) | instskip(NEXT) | instid1(VALU_DEP_1)
	v_lshl_or_b32 v17, v17, 3, v57
                                        ; implicit-def: $vgpr57
	v_and_or_b32 v96, v16, 7, v17
; %bb.12511:                            ;   in Loop: Header=BB6_11188 Depth=2
	s_and_not1_saveexec_b32 s7, s7
; %bb.12512:                            ;   in Loop: Header=BB6_11188 Depth=2
	v_mov_b32_e32 v96, v57
; %bb.12513:                            ;   in Loop: Header=BB6_11188 Depth=2
	s_or_b32 exec_lo, exec_lo, s7
.LBB6_12514:                            ;   in Loop: Header=BB6_11188 Depth=2
	s_delay_alu instid0(SALU_CYCLE_1)
	s_or_b32 exec_lo, exec_lo, s29
                                        ; implicit-def: $vgpr57
.LBB6_12515:                            ;   in Loop: Header=BB6_11188 Depth=2
	s_and_not1_saveexec_b32 s7, s11
; %bb.12516:                            ;   in Loop: Header=BB6_11188 Depth=2
	v_or_b32_e32 v96, 0x7e, v57
; %bb.12517:                            ;   in Loop: Header=BB6_11188 Depth=2
	s_or_b32 exec_lo, exec_lo, s7
                                        ; implicit-def: $vgpr17
.LBB6_12518:                            ;   in Loop: Header=BB6_11188 Depth=2
	s_and_not1_saveexec_b32 s7, s10
; %bb.12519:                            ;   in Loop: Header=BB6_11188 Depth=2
	v_or_b32_e32 v96, 0x7f, v17
; %bb.12520:                            ;   in Loop: Header=BB6_11188 Depth=2
	s_or_b32 exec_lo, exec_lo, s7
	v_and_b32_e32 v16, 0xff, v86
	v_dual_mov_b32 v18, 0 :: v_dual_mov_b32 v19, 0
	s_mov_b32 s7, exec_lo
	s_delay_alu instid0(VALU_DEP_2)
	v_cmpx_ne_u16_e32 0, v16
	s_cbranch_execz .LBB6_12528
; %bb.12521:                            ;   in Loop: Header=BB6_11188 Depth=2
	v_bfrev_b32_e32 v19, 1
	s_mov_b32 s10, exec_lo
	v_cmpx_ne_u16_e32 0x80, v16
	s_cbranch_execz .LBB6_12527
; %bb.12522:                            ;   in Loop: Header=BB6_11188 Depth=2
	v_and_b32_e32 v17, 0x7f, v86
	v_mov_b32_e32 v19, 0x7f800001
	s_mov_b32 s11, exec_lo
	s_delay_alu instid0(VALU_DEP_2)
	v_cmpx_ne_u32_e32 0x7f, v17
	s_cbranch_execz .LBB6_12526
; %bb.12523:                            ;   in Loop: Header=BB6_11188 Depth=2
	v_dual_lshrrev_b32 v19, 3, v17 :: v_dual_bitop2_b32 v52, 7, v16 bitop3:0x40
	v_cmp_gt_u32_e32 vcc_lo, 8, v17
	s_delay_alu instid0(VALU_DEP_2)
	v_mov_b64_e32 v[16:17], v[52:53]
	s_and_saveexec_b32 s29, vcc_lo
; %bb.12524:                            ;   in Loop: Header=BB6_11188 Depth=2
	v_clz_i32_u32_e32 v16, v52
	s_delay_alu instid0(VALU_DEP_1) | instskip(NEXT) | instid1(VALU_DEP_1)
	v_min_u32_e32 v19, 32, v16
	v_subrev_nc_u32_e32 v16, 28, v19
	s_delay_alu instid0(VALU_DEP_1) | instskip(NEXT) | instid1(VALU_DEP_1)
	v_lshlrev_b64_e32 v[16:17], v16, v[52:53]
	v_dual_sub_nc_u32 v19, 29, v19 :: v_dual_bitop2_b32 v16, 7, v16 bitop3:0x40
; %bb.12525:                            ;   in Loop: Header=BB6_11188 Depth=2
	s_or_b32 exec_lo, exec_lo, s29
	s_delay_alu instid0(VALU_DEP_1) | instskip(NEXT) | instid1(VALU_DEP_2)
	v_dual_lshlrev_b32 v17, 24, v86 :: v_dual_lshlrev_b32 v16, 20, v16
	v_lshl_add_u32 v19, v19, 23, 0x3c000000
	s_delay_alu instid0(VALU_DEP_2) | instskip(NEXT) | instid1(VALU_DEP_1)
	v_and_b32_e32 v17, 0x80000000, v17
	v_or3_b32 v19, v16, v17, v19
.LBB6_12526:                            ;   in Loop: Header=BB6_11188 Depth=2
	s_or_b32 exec_lo, exec_lo, s11
.LBB6_12527:                            ;   in Loop: Header=BB6_11188 Depth=2
	s_delay_alu instid0(SALU_CYCLE_1)
	s_or_b32 exec_lo, exec_lo, s10
.LBB6_12528:                            ;   in Loop: Header=BB6_11188 Depth=2
	s_delay_alu instid0(SALU_CYCLE_1) | instskip(SKIP_3) | instid1(VALU_DEP_1)
	s_or_b32 exec_lo, exec_lo, s7
	s_wait_loadcnt_dscnt 0x1313
	v_and_b32_e32 v16, 0xff, v56
	s_mov_b32 s7, exec_lo
	v_cmpx_ne_u16_e32 0, v16
	s_cbranch_execz .LBB6_12536
; %bb.12529:                            ;   in Loop: Header=BB6_11188 Depth=2
	v_bfrev_b32_e32 v18, 1
	s_mov_b32 s10, exec_lo
	v_cmpx_ne_u16_e32 0x80, v16
	s_cbranch_execz .LBB6_12535
; %bb.12530:                            ;   in Loop: Header=BB6_11188 Depth=2
	v_and_b32_e32 v17, 0x7f, v56
	v_mov_b32_e32 v18, 0x7f800001
	s_mov_b32 s11, exec_lo
	s_delay_alu instid0(VALU_DEP_2)
	v_cmpx_ne_u32_e32 0x7f, v17
	s_cbranch_execz .LBB6_12534
; %bb.12531:                            ;   in Loop: Header=BB6_11188 Depth=2
	v_dual_lshrrev_b32 v18, 3, v17 :: v_dual_bitop2_b32 v52, 7, v16 bitop3:0x40
	v_cmp_gt_u32_e32 vcc_lo, 8, v17
	s_delay_alu instid0(VALU_DEP_2)
	v_mov_b64_e32 v[16:17], v[52:53]
	s_and_saveexec_b32 s29, vcc_lo
; %bb.12532:                            ;   in Loop: Header=BB6_11188 Depth=2
	v_clz_i32_u32_e32 v16, v52
	s_delay_alu instid0(VALU_DEP_1) | instskip(NEXT) | instid1(VALU_DEP_1)
	v_min_u32_e32 v18, 32, v16
	v_subrev_nc_u32_e32 v16, 28, v18
	s_delay_alu instid0(VALU_DEP_1) | instskip(NEXT) | instid1(VALU_DEP_1)
	v_lshlrev_b64_e32 v[16:17], v16, v[52:53]
	v_dual_sub_nc_u32 v18, 29, v18 :: v_dual_bitop2_b32 v16, 7, v16 bitop3:0x40
; %bb.12533:                            ;   in Loop: Header=BB6_11188 Depth=2
	s_or_b32 exec_lo, exec_lo, s29
	v_lshlrev_b32_e32 v17, 24, v56
	s_delay_alu instid0(VALU_DEP_2) | instskip(NEXT) | instid1(VALU_DEP_3)
	v_lshlrev_b32_e32 v16, 20, v16
	v_lshl_add_u32 v18, v18, 23, 0x3c000000
	s_delay_alu instid0(VALU_DEP_3) | instskip(NEXT) | instid1(VALU_DEP_1)
	v_and_b32_e32 v17, 0x80000000, v17
	v_or3_b32 v18, v16, v17, v18
.LBB6_12534:                            ;   in Loop: Header=BB6_11188 Depth=2
	s_or_b32 exec_lo, exec_lo, s11
.LBB6_12535:                            ;   in Loop: Header=BB6_11188 Depth=2
	s_delay_alu instid0(SALU_CYCLE_1)
	s_or_b32 exec_lo, exec_lo, s10
.LBB6_12536:                            ;   in Loop: Header=BB6_11188 Depth=2
	s_delay_alu instid0(SALU_CYCLE_1) | instskip(NEXT) | instid1(VALU_DEP_1)
	s_or_b32 exec_lo, exec_lo, s7
	v_add_f32_e32 v16, v19, v18
                                        ; implicit-def: $vgpr86
	s_mov_b32 s7, exec_lo
	s_delay_alu instid0(VALU_DEP_1) | instskip(SKIP_1) | instid1(VALU_DEP_2)
	v_and_b32_e32 v52, 0x7f800000, v16
	v_lshrrev_b32_e32 v17, 24, v16
	v_cmpx_ne_u64_e32 0x7f800000, v[52:53]
	s_xor_b32 s10, exec_lo, s7
	s_cbranch_execz .LBB6_12554
; %bb.12537:                            ;   in Loop: Header=BB6_11188 Depth=2
	v_and_b32_e32 v52, 0x7fffffff, v16
	v_and_b32_e32 v56, 0x80, v17
                                        ; implicit-def: $vgpr86
	s_mov_b32 s7, exec_lo
	s_delay_alu instid0(VALU_DEP_2)
	v_cmpx_gt_u64_e32 0x43e00001, v[52:53]
	s_xor_b32 s11, exec_lo, s7
	s_cbranch_execz .LBB6_12551
; %bb.12538:                            ;   in Loop: Header=BB6_11188 Depth=2
	v_mov_b32_e32 v86, 0
	s_mov_b32 s29, exec_lo
	v_cmpx_ne_u32_e32 0, v16
	s_cbranch_execz .LBB6_12550
; %bb.12539:                            ;   in Loop: Header=BB6_11188 Depth=2
	v_bfe_u32 v86, v16, 23, 8
	v_and_b32_e32 v18, 0x7fffff, v16
	s_delay_alu instid0(VALU_DEP_2) | instskip(SKIP_1) | instid1(VALU_DEP_3)
	v_sub_nc_u32_e32 v17, 0x79, v86
	v_cmp_gt_u32_e32 vcc_lo, 0x7a, v86
	v_or_b32_e32 v19, 0x800000, v18
	s_delay_alu instid0(VALU_DEP_3) | instskip(SKIP_1) | instid1(VALU_DEP_3)
	v_cndmask_b32_e32 v17, 0, v17, vcc_lo
	v_cmp_eq_u32_e32 vcc_lo, 0, v86
	v_cndmask_b32_e32 v52, v19, v18, vcc_lo
	s_delay_alu instid0(VALU_DEP_3) | instskip(NEXT) | instid1(VALU_DEP_1)
	v_cndmask_b32_e64 v57, v17, 0x78, vcc_lo
	v_dual_add_nc_u32 v16, 20, v57 :: v_dual_add_nc_u32 v58, 19, v57
	s_delay_alu instid0(VALU_DEP_1) | instskip(NEXT) | instid1(VALU_DEP_2)
	v_lshlrev_b64_e64 v[16:17], v16, -1
	v_lshlrev_b64_e64 v[18:19], v58, 1
	s_delay_alu instid0(VALU_DEP_2) | instskip(NEXT) | instid1(VALU_DEP_3)
	v_bfi_b32 v59, v17, 0, 0
	v_bfi_b32 v58, v16, 0, v52
	v_lshrrev_b64 v[16:17], v57, v[52:53]
	s_delay_alu instid0(VALU_DEP_2) | instskip(NEXT) | instid1(VALU_DEP_2)
	v_cmp_eq_u64_e64 s7, v[58:59], v[18:19]
	v_mov_b64_e32 v[18:19], v[16:17]
	s_and_saveexec_b32 s40, s7
; %bb.12540:                            ;   in Loop: Header=BB6_11188 Depth=2
	v_bfe_u32 v52, v16, 20, 1
	s_delay_alu instid0(VALU_DEP_1) | instskip(NEXT) | instid1(VALU_DEP_1)
	v_add_nc_u64_e32 v[18:19], v[16:17], v[52:53]
	v_add_nc_u64_e32 v[18:19], -1, v[18:19]
; %bb.12541:                            ;   in Loop: Header=BB6_11188 Depth=2
	s_or_b32 exec_lo, exec_lo, s40
	v_add_nc_u32_e32 v17, 0xffffff81, v86
	v_lshrrev_b32_e32 v19, 23, v16
	s_mov_b32 s7, exec_lo
	s_delay_alu instid0(VALU_DEP_2) | instskip(NEXT) | instid1(VALU_DEP_1)
	v_cndmask_b32_e64 v17, v17, 0xffffff82, vcc_lo
	v_add3_u32 v19, v57, v17, v19
	v_and_b32_e32 v17, 0xfffff, v18
                                        ; implicit-def: $vgpr18
	s_delay_alu instid0(VALU_DEP_1) | instskip(NEXT) | instid1(VALU_DEP_1)
	v_dual_add_nc_u32 v86, 6, v19 :: v_dual_add_nc_u32 v52, v17, v16
                                        ; implicit-def: $vgpr16_vgpr17
	v_cmpx_ne_u32_e32 0, v86
	s_xor_b32 s7, exec_lo, s7
; %bb.12542:                            ;   in Loop: Header=BB6_11188 Depth=2
	s_delay_alu instid0(VALU_DEP_2) | instskip(SKIP_1) | instid1(VALU_DEP_1)
	v_cmp_lt_u64_e32 vcc_lo, 0xffffff, v[52:53]
	v_add_nc_u32_e32 v16, 7, v19
	v_cndmask_b32_e32 v18, v86, v16, vcc_lo
	v_cndmask_b32_e64 v16, 0, 1, vcc_lo
	s_delay_alu instid0(VALU_DEP_1)
	v_lshrrev_b64 v[16:17], v16, v[52:53]
; %bb.12543:                            ;   in Loop: Header=BB6_11188 Depth=2
	s_and_not1_saveexec_b32 s7, s7
; %bb.12544:                            ;   in Loop: Header=BB6_11188 Depth=2
	v_mov_b64_e32 v[16:17], v[52:53]
	v_bfe_u32 v18, v52, 23, 1
; %bb.12545:                            ;   in Loop: Header=BB6_11188 Depth=2
	s_or_b32 exec_lo, exec_lo, s7
	s_delay_alu instid0(VALU_DEP_2) | instskip(NEXT) | instid1(VALU_DEP_2)
	v_lshrrev_b64 v[16:17], 20, v[16:17]
	v_cmp_gt_i32_e32 vcc_lo, 16, v18
	v_cmp_ne_u32_e64 s7, 0, v18
                                        ; implicit-def: $vgpr86
	s_delay_alu instid0(VALU_DEP_3) | instskip(NEXT) | instid1(VALU_DEP_1)
	v_dual_cndmask_b32 v17, 0, v17 :: v_dual_cndmask_b32 v16, 7, v16
	v_cmp_ne_u64_e32 vcc_lo, 0, v[16:17]
	s_or_b32 s7, s7, vcc_lo
	s_delay_alu instid0(SALU_CYCLE_1) | instskip(NEXT) | instid1(SALU_CYCLE_1)
	s_and_saveexec_b32 s40, s7
	s_xor_b32 s7, exec_lo, s40
; %bb.12546:                            ;   in Loop: Header=BB6_11188 Depth=2
	v_min_i32_e32 v17, 15, v18
	s_delay_alu instid0(VALU_DEP_1) | instskip(NEXT) | instid1(VALU_DEP_1)
	v_lshl_or_b32 v17, v17, 3, v56
                                        ; implicit-def: $vgpr56
	v_and_or_b32 v86, v16, 7, v17
; %bb.12547:                            ;   in Loop: Header=BB6_11188 Depth=2
	s_and_not1_saveexec_b32 s7, s7
; %bb.12548:                            ;   in Loop: Header=BB6_11188 Depth=2
	v_mov_b32_e32 v86, v56
; %bb.12549:                            ;   in Loop: Header=BB6_11188 Depth=2
	s_or_b32 exec_lo, exec_lo, s7
.LBB6_12550:                            ;   in Loop: Header=BB6_11188 Depth=2
	s_delay_alu instid0(SALU_CYCLE_1)
	s_or_b32 exec_lo, exec_lo, s29
                                        ; implicit-def: $vgpr56
.LBB6_12551:                            ;   in Loop: Header=BB6_11188 Depth=2
	s_and_not1_saveexec_b32 s7, s11
; %bb.12552:                            ;   in Loop: Header=BB6_11188 Depth=2
	v_or_b32_e32 v86, 0x7e, v56
; %bb.12553:                            ;   in Loop: Header=BB6_11188 Depth=2
	s_or_b32 exec_lo, exec_lo, s7
                                        ; implicit-def: $vgpr17
.LBB6_12554:                            ;   in Loop: Header=BB6_11188 Depth=2
	s_and_not1_saveexec_b32 s7, s10
; %bb.12555:                            ;   in Loop: Header=BB6_11188 Depth=2
	v_or_b32_e32 v86, 0x7f, v17
; %bb.12556:                            ;   in Loop: Header=BB6_11188 Depth=2
	s_or_b32 exec_lo, exec_lo, s7
	v_and_b32_e32 v16, 0xff, v65
	v_dual_mov_b32 v18, 0 :: v_dual_mov_b32 v19, 0
	s_mov_b32 s7, exec_lo
	s_delay_alu instid0(VALU_DEP_2)
	v_cmpx_ne_u16_e32 0, v16
	s_cbranch_execz .LBB6_12564
; %bb.12557:                            ;   in Loop: Header=BB6_11188 Depth=2
	v_bfrev_b32_e32 v19, 1
	s_mov_b32 s10, exec_lo
	v_cmpx_ne_u16_e32 0x80, v16
	s_cbranch_execz .LBB6_12563
; %bb.12558:                            ;   in Loop: Header=BB6_11188 Depth=2
	v_and_b32_e32 v17, 0x7f, v65
	v_mov_b32_e32 v19, 0x7f800001
	s_mov_b32 s11, exec_lo
	s_delay_alu instid0(VALU_DEP_2)
	v_cmpx_ne_u32_e32 0x7f, v17
	s_cbranch_execz .LBB6_12562
; %bb.12559:                            ;   in Loop: Header=BB6_11188 Depth=2
	v_dual_lshrrev_b32 v19, 3, v17 :: v_dual_bitop2_b32 v52, 7, v16 bitop3:0x40
	v_cmp_gt_u32_e32 vcc_lo, 8, v17
	s_delay_alu instid0(VALU_DEP_2)
	v_mov_b64_e32 v[16:17], v[52:53]
	s_and_saveexec_b32 s29, vcc_lo
; %bb.12560:                            ;   in Loop: Header=BB6_11188 Depth=2
	v_clz_i32_u32_e32 v16, v52
	s_delay_alu instid0(VALU_DEP_1) | instskip(NEXT) | instid1(VALU_DEP_1)
	v_min_u32_e32 v19, 32, v16
	v_subrev_nc_u32_e32 v16, 28, v19
	s_delay_alu instid0(VALU_DEP_1) | instskip(NEXT) | instid1(VALU_DEP_1)
	v_lshlrev_b64_e32 v[16:17], v16, v[52:53]
	v_dual_sub_nc_u32 v19, 29, v19 :: v_dual_bitop2_b32 v16, 7, v16 bitop3:0x40
; %bb.12561:                            ;   in Loop: Header=BB6_11188 Depth=2
	s_or_b32 exec_lo, exec_lo, s29
	s_delay_alu instid0(VALU_DEP_1) | instskip(NEXT) | instid1(VALU_DEP_2)
	v_dual_lshlrev_b32 v17, 24, v65 :: v_dual_lshlrev_b32 v16, 20, v16
	v_lshl_add_u32 v19, v19, 23, 0x3c000000
	s_delay_alu instid0(VALU_DEP_2) | instskip(NEXT) | instid1(VALU_DEP_1)
	v_and_b32_e32 v17, 0x80000000, v17
	v_or3_b32 v19, v16, v17, v19
.LBB6_12562:                            ;   in Loop: Header=BB6_11188 Depth=2
	s_or_b32 exec_lo, exec_lo, s11
.LBB6_12563:                            ;   in Loop: Header=BB6_11188 Depth=2
	s_delay_alu instid0(SALU_CYCLE_1)
	s_or_b32 exec_lo, exec_lo, s10
.LBB6_12564:                            ;   in Loop: Header=BB6_11188 Depth=2
	s_delay_alu instid0(SALU_CYCLE_1) | instskip(SKIP_3) | instid1(VALU_DEP_1)
	s_or_b32 exec_lo, exec_lo, s7
	s_wait_loadcnt_dscnt 0x1212
	v_and_b32_e32 v16, 0xff, v47
	s_mov_b32 s7, exec_lo
	v_cmpx_ne_u16_e32 0, v16
	s_cbranch_execz .LBB6_12572
; %bb.12565:                            ;   in Loop: Header=BB6_11188 Depth=2
	v_bfrev_b32_e32 v18, 1
	s_mov_b32 s10, exec_lo
	v_cmpx_ne_u16_e32 0x80, v16
	s_cbranch_execz .LBB6_12571
; %bb.12566:                            ;   in Loop: Header=BB6_11188 Depth=2
	v_and_b32_e32 v17, 0x7f, v47
	v_mov_b32_e32 v18, 0x7f800001
	s_mov_b32 s11, exec_lo
	s_delay_alu instid0(VALU_DEP_2)
	v_cmpx_ne_u32_e32 0x7f, v17
	s_cbranch_execz .LBB6_12570
; %bb.12567:                            ;   in Loop: Header=BB6_11188 Depth=2
	v_dual_lshrrev_b32 v18, 3, v17 :: v_dual_bitop2_b32 v52, 7, v16 bitop3:0x40
	v_cmp_gt_u32_e32 vcc_lo, 8, v17
	s_delay_alu instid0(VALU_DEP_2)
	v_mov_b64_e32 v[16:17], v[52:53]
	s_and_saveexec_b32 s29, vcc_lo
; %bb.12568:                            ;   in Loop: Header=BB6_11188 Depth=2
	v_clz_i32_u32_e32 v16, v52
	s_delay_alu instid0(VALU_DEP_1) | instskip(NEXT) | instid1(VALU_DEP_1)
	v_min_u32_e32 v18, 32, v16
	v_subrev_nc_u32_e32 v16, 28, v18
	s_delay_alu instid0(VALU_DEP_1) | instskip(NEXT) | instid1(VALU_DEP_1)
	v_lshlrev_b64_e32 v[16:17], v16, v[52:53]
	v_dual_sub_nc_u32 v18, 29, v18 :: v_dual_bitop2_b32 v16, 7, v16 bitop3:0x40
; %bb.12569:                            ;   in Loop: Header=BB6_11188 Depth=2
	s_or_b32 exec_lo, exec_lo, s29
	s_delay_alu instid0(VALU_DEP_1) | instskip(NEXT) | instid1(VALU_DEP_2)
	v_dual_lshlrev_b32 v17, 24, v47 :: v_dual_lshlrev_b32 v16, 20, v16
	v_lshl_add_u32 v18, v18, 23, 0x3c000000
	s_delay_alu instid0(VALU_DEP_2) | instskip(NEXT) | instid1(VALU_DEP_1)
	v_and_b32_e32 v17, 0x80000000, v17
	v_or3_b32 v18, v16, v17, v18
.LBB6_12570:                            ;   in Loop: Header=BB6_11188 Depth=2
	s_or_b32 exec_lo, exec_lo, s11
.LBB6_12571:                            ;   in Loop: Header=BB6_11188 Depth=2
	s_delay_alu instid0(SALU_CYCLE_1)
	s_or_b32 exec_lo, exec_lo, s10
.LBB6_12572:                            ;   in Loop: Header=BB6_11188 Depth=2
	s_delay_alu instid0(SALU_CYCLE_1) | instskip(NEXT) | instid1(VALU_DEP_1)
	s_or_b32 exec_lo, exec_lo, s7
	v_add_f32_e32 v16, v19, v18
                                        ; implicit-def: $vgpr65
	s_mov_b32 s7, exec_lo
	s_delay_alu instid0(VALU_DEP_1) | instskip(SKIP_1) | instid1(VALU_DEP_2)
	v_and_b32_e32 v52, 0x7f800000, v16
	v_lshrrev_b32_e32 v17, 24, v16
	v_cmpx_ne_u64_e32 0x7f800000, v[52:53]
	s_xor_b32 s10, exec_lo, s7
	s_cbranch_execz .LBB6_12590
; %bb.12573:                            ;   in Loop: Header=BB6_11188 Depth=2
	v_and_b32_e32 v52, 0x7fffffff, v16
	v_and_b32_e32 v47, 0x80, v17
                                        ; implicit-def: $vgpr65
	s_mov_b32 s7, exec_lo
	s_delay_alu instid0(VALU_DEP_2)
	v_cmpx_gt_u64_e32 0x43e00001, v[52:53]
	s_xor_b32 s11, exec_lo, s7
	s_cbranch_execz .LBB6_12587
; %bb.12574:                            ;   in Loop: Header=BB6_11188 Depth=2
	v_mov_b32_e32 v65, 0
	s_mov_b32 s29, exec_lo
	v_cmpx_ne_u32_e32 0, v16
	s_cbranch_execz .LBB6_12586
; %bb.12575:                            ;   in Loop: Header=BB6_11188 Depth=2
	v_bfe_u32 v65, v16, 23, 8
	v_and_b32_e32 v18, 0x7fffff, v16
	s_delay_alu instid0(VALU_DEP_2) | instskip(NEXT) | instid1(VALU_DEP_2)
	v_cmp_gt_u32_e32 vcc_lo, 0x7a, v65
	v_or_b32_e32 v19, 0x800000, v18
	v_sub_nc_u32_e32 v17, 0x79, v65
	s_delay_alu instid0(VALU_DEP_1) | instskip(SKIP_1) | instid1(VALU_DEP_2)
	v_cndmask_b32_e32 v17, 0, v17, vcc_lo
	v_cmp_eq_u32_e32 vcc_lo, 0, v65
	v_cndmask_b32_e64 v56, v17, 0x78, vcc_lo
	s_delay_alu instid0(VALU_DEP_1) | instskip(SKIP_1) | instid1(VALU_DEP_2)
	v_dual_cndmask_b32 v52, v19, v18, vcc_lo :: v_dual_add_nc_u32 v16, 20, v56
	v_add_nc_u32_e32 v57, 19, v56
	v_lshlrev_b64_e64 v[16:17], v16, -1
	s_delay_alu instid0(VALU_DEP_2) | instskip(NEXT) | instid1(VALU_DEP_2)
	v_lshlrev_b64_e64 v[18:19], v57, 1
	v_bfi_b32 v59, v17, 0, 0
	s_delay_alu instid0(VALU_DEP_3) | instskip(SKIP_1) | instid1(VALU_DEP_2)
	v_bfi_b32 v58, v16, 0, v52
	v_lshrrev_b64 v[16:17], v56, v[52:53]
	v_cmp_eq_u64_e64 s7, v[58:59], v[18:19]
	s_delay_alu instid0(VALU_DEP_2)
	v_mov_b64_e32 v[18:19], v[16:17]
	s_and_saveexec_b32 s40, s7
; %bb.12576:                            ;   in Loop: Header=BB6_11188 Depth=2
	v_bfe_u32 v52, v16, 20, 1
	s_delay_alu instid0(VALU_DEP_1) | instskip(NEXT) | instid1(VALU_DEP_1)
	v_add_nc_u64_e32 v[18:19], v[16:17], v[52:53]
	v_add_nc_u64_e32 v[18:19], -1, v[18:19]
; %bb.12577:                            ;   in Loop: Header=BB6_11188 Depth=2
	s_or_b32 exec_lo, exec_lo, s40
	v_add_nc_u32_e32 v17, 0xffffff81, v65
	v_lshrrev_b32_e32 v19, 23, v16
	s_mov_b32 s7, exec_lo
	s_delay_alu instid0(VALU_DEP_2) | instskip(NEXT) | instid1(VALU_DEP_1)
	v_cndmask_b32_e64 v17, v17, 0xffffff82, vcc_lo
	v_add3_u32 v19, v56, v17, v19
	v_and_b32_e32 v17, 0xfffff, v18
                                        ; implicit-def: $vgpr18
	s_delay_alu instid0(VALU_DEP_1) | instskip(NEXT) | instid1(VALU_DEP_1)
	v_dual_add_nc_u32 v65, 6, v19 :: v_dual_add_nc_u32 v52, v17, v16
                                        ; implicit-def: $vgpr16_vgpr17
	v_cmpx_ne_u32_e32 0, v65
	s_xor_b32 s7, exec_lo, s7
; %bb.12578:                            ;   in Loop: Header=BB6_11188 Depth=2
	s_delay_alu instid0(VALU_DEP_2) | instskip(SKIP_1) | instid1(VALU_DEP_1)
	v_cmp_lt_u64_e32 vcc_lo, 0xffffff, v[52:53]
	v_add_nc_u32_e32 v16, 7, v19
	v_cndmask_b32_e32 v18, v65, v16, vcc_lo
	v_cndmask_b32_e64 v16, 0, 1, vcc_lo
	s_delay_alu instid0(VALU_DEP_1)
	v_lshrrev_b64 v[16:17], v16, v[52:53]
; %bb.12579:                            ;   in Loop: Header=BB6_11188 Depth=2
	s_and_not1_saveexec_b32 s7, s7
; %bb.12580:                            ;   in Loop: Header=BB6_11188 Depth=2
	v_mov_b64_e32 v[16:17], v[52:53]
	v_bfe_u32 v18, v52, 23, 1
; %bb.12581:                            ;   in Loop: Header=BB6_11188 Depth=2
	s_or_b32 exec_lo, exec_lo, s7
	s_delay_alu instid0(VALU_DEP_2) | instskip(NEXT) | instid1(VALU_DEP_2)
	v_lshrrev_b64 v[16:17], 20, v[16:17]
	v_cmp_gt_i32_e32 vcc_lo, 16, v18
	v_cmp_ne_u32_e64 s7, 0, v18
                                        ; implicit-def: $vgpr65
	s_delay_alu instid0(VALU_DEP_3) | instskip(NEXT) | instid1(VALU_DEP_1)
	v_dual_cndmask_b32 v17, 0, v17 :: v_dual_cndmask_b32 v16, 7, v16
	v_cmp_ne_u64_e32 vcc_lo, 0, v[16:17]
	s_or_b32 s7, s7, vcc_lo
	s_delay_alu instid0(SALU_CYCLE_1) | instskip(NEXT) | instid1(SALU_CYCLE_1)
	s_and_saveexec_b32 s40, s7
	s_xor_b32 s7, exec_lo, s40
; %bb.12582:                            ;   in Loop: Header=BB6_11188 Depth=2
	v_min_i32_e32 v17, 15, v18
	s_delay_alu instid0(VALU_DEP_1) | instskip(NEXT) | instid1(VALU_DEP_1)
	v_lshl_or_b32 v17, v17, 3, v47
                                        ; implicit-def: $vgpr47
	v_and_or_b32 v65, v16, 7, v17
; %bb.12583:                            ;   in Loop: Header=BB6_11188 Depth=2
	s_and_not1_saveexec_b32 s7, s7
; %bb.12584:                            ;   in Loop: Header=BB6_11188 Depth=2
	v_mov_b32_e32 v65, v47
; %bb.12585:                            ;   in Loop: Header=BB6_11188 Depth=2
	s_or_b32 exec_lo, exec_lo, s7
.LBB6_12586:                            ;   in Loop: Header=BB6_11188 Depth=2
	s_delay_alu instid0(SALU_CYCLE_1)
	s_or_b32 exec_lo, exec_lo, s29
                                        ; implicit-def: $vgpr47
.LBB6_12587:                            ;   in Loop: Header=BB6_11188 Depth=2
	s_and_not1_saveexec_b32 s7, s11
; %bb.12588:                            ;   in Loop: Header=BB6_11188 Depth=2
	v_or_b32_e32 v65, 0x7e, v47
; %bb.12589:                            ;   in Loop: Header=BB6_11188 Depth=2
	s_or_b32 exec_lo, exec_lo, s7
                                        ; implicit-def: $vgpr17
.LBB6_12590:                            ;   in Loop: Header=BB6_11188 Depth=2
	s_and_not1_saveexec_b32 s7, s10
; %bb.12591:                            ;   in Loop: Header=BB6_11188 Depth=2
	v_or_b32_e32 v65, 0x7f, v17
; %bb.12592:                            ;   in Loop: Header=BB6_11188 Depth=2
	s_or_b32 exec_lo, exec_lo, s7
	v_and_b32_e32 v16, 0xff, v51
	v_dual_mov_b32 v18, 0 :: v_dual_mov_b32 v19, 0
	s_mov_b32 s7, exec_lo
	s_delay_alu instid0(VALU_DEP_2)
	v_cmpx_ne_u16_e32 0, v16
	s_cbranch_execz .LBB6_12600
; %bb.12593:                            ;   in Loop: Header=BB6_11188 Depth=2
	v_bfrev_b32_e32 v19, 1
	s_mov_b32 s10, exec_lo
	v_cmpx_ne_u16_e32 0x80, v16
	s_cbranch_execz .LBB6_12599
; %bb.12594:                            ;   in Loop: Header=BB6_11188 Depth=2
	v_and_b32_e32 v17, 0x7f, v51
	v_mov_b32_e32 v19, 0x7f800001
	s_mov_b32 s11, exec_lo
	s_delay_alu instid0(VALU_DEP_2)
	v_cmpx_ne_u32_e32 0x7f, v17
	s_cbranch_execz .LBB6_12598
; %bb.12595:                            ;   in Loop: Header=BB6_11188 Depth=2
	v_dual_lshrrev_b32 v19, 3, v17 :: v_dual_bitop2_b32 v52, 7, v16 bitop3:0x40
	v_cmp_gt_u32_e32 vcc_lo, 8, v17
	s_delay_alu instid0(VALU_DEP_2)
	v_mov_b64_e32 v[16:17], v[52:53]
	s_and_saveexec_b32 s29, vcc_lo
; %bb.12596:                            ;   in Loop: Header=BB6_11188 Depth=2
	v_clz_i32_u32_e32 v16, v52
	s_delay_alu instid0(VALU_DEP_1) | instskip(NEXT) | instid1(VALU_DEP_1)
	v_min_u32_e32 v19, 32, v16
	v_subrev_nc_u32_e32 v16, 28, v19
	s_delay_alu instid0(VALU_DEP_1) | instskip(NEXT) | instid1(VALU_DEP_1)
	v_lshlrev_b64_e32 v[16:17], v16, v[52:53]
	v_dual_sub_nc_u32 v19, 29, v19 :: v_dual_bitop2_b32 v16, 7, v16 bitop3:0x40
; %bb.12597:                            ;   in Loop: Header=BB6_11188 Depth=2
	s_or_b32 exec_lo, exec_lo, s29
	s_delay_alu instid0(VALU_DEP_1) | instskip(NEXT) | instid1(VALU_DEP_2)
	v_dual_lshlrev_b32 v17, 24, v51 :: v_dual_lshlrev_b32 v16, 20, v16
	v_lshl_add_u32 v19, v19, 23, 0x3c000000
	s_delay_alu instid0(VALU_DEP_2) | instskip(NEXT) | instid1(VALU_DEP_1)
	v_and_b32_e32 v17, 0x80000000, v17
	v_or3_b32 v19, v16, v17, v19
.LBB6_12598:                            ;   in Loop: Header=BB6_11188 Depth=2
	s_or_b32 exec_lo, exec_lo, s11
.LBB6_12599:                            ;   in Loop: Header=BB6_11188 Depth=2
	s_delay_alu instid0(SALU_CYCLE_1)
	s_or_b32 exec_lo, exec_lo, s10
.LBB6_12600:                            ;   in Loop: Header=BB6_11188 Depth=2
	s_delay_alu instid0(SALU_CYCLE_1) | instskip(SKIP_3) | instid1(VALU_DEP_1)
	s_or_b32 exec_lo, exec_lo, s7
	s_wait_loadcnt_dscnt 0x1111
	v_and_b32_e32 v16, 0xff, v46
	s_mov_b32 s7, exec_lo
	v_cmpx_ne_u16_e32 0, v16
	s_cbranch_execz .LBB6_12608
; %bb.12601:                            ;   in Loop: Header=BB6_11188 Depth=2
	v_bfrev_b32_e32 v18, 1
	s_mov_b32 s10, exec_lo
	v_cmpx_ne_u16_e32 0x80, v16
	s_cbranch_execz .LBB6_12607
; %bb.12602:                            ;   in Loop: Header=BB6_11188 Depth=2
	v_and_b32_e32 v17, 0x7f, v46
	v_mov_b32_e32 v18, 0x7f800001
	s_mov_b32 s11, exec_lo
	s_delay_alu instid0(VALU_DEP_2)
	v_cmpx_ne_u32_e32 0x7f, v17
	s_cbranch_execz .LBB6_12606
; %bb.12603:                            ;   in Loop: Header=BB6_11188 Depth=2
	v_dual_lshrrev_b32 v18, 3, v17 :: v_dual_bitop2_b32 v52, 7, v16 bitop3:0x40
	v_cmp_gt_u32_e32 vcc_lo, 8, v17
	s_delay_alu instid0(VALU_DEP_2)
	v_mov_b64_e32 v[16:17], v[52:53]
	s_and_saveexec_b32 s29, vcc_lo
; %bb.12604:                            ;   in Loop: Header=BB6_11188 Depth=2
	v_clz_i32_u32_e32 v16, v52
	s_delay_alu instid0(VALU_DEP_1) | instskip(NEXT) | instid1(VALU_DEP_1)
	v_min_u32_e32 v18, 32, v16
	v_subrev_nc_u32_e32 v16, 28, v18
	s_delay_alu instid0(VALU_DEP_1) | instskip(NEXT) | instid1(VALU_DEP_1)
	v_lshlrev_b64_e32 v[16:17], v16, v[52:53]
	v_dual_sub_nc_u32 v18, 29, v18 :: v_dual_bitop2_b32 v16, 7, v16 bitop3:0x40
; %bb.12605:                            ;   in Loop: Header=BB6_11188 Depth=2
	s_or_b32 exec_lo, exec_lo, s29
	s_delay_alu instid0(VALU_DEP_1) | instskip(NEXT) | instid1(VALU_DEP_2)
	v_dual_lshlrev_b32 v17, 24, v46 :: v_dual_lshlrev_b32 v16, 20, v16
	v_lshl_add_u32 v18, v18, 23, 0x3c000000
	s_delay_alu instid0(VALU_DEP_2) | instskip(NEXT) | instid1(VALU_DEP_1)
	v_and_b32_e32 v17, 0x80000000, v17
	v_or3_b32 v18, v16, v17, v18
.LBB6_12606:                            ;   in Loop: Header=BB6_11188 Depth=2
	s_or_b32 exec_lo, exec_lo, s11
.LBB6_12607:                            ;   in Loop: Header=BB6_11188 Depth=2
	s_delay_alu instid0(SALU_CYCLE_1)
	s_or_b32 exec_lo, exec_lo, s10
.LBB6_12608:                            ;   in Loop: Header=BB6_11188 Depth=2
	s_delay_alu instid0(SALU_CYCLE_1) | instskip(NEXT) | instid1(VALU_DEP_1)
	s_or_b32 exec_lo, exec_lo, s7
	v_add_f32_e32 v16, v19, v18
                                        ; implicit-def: $vgpr51
	s_mov_b32 s7, exec_lo
	s_delay_alu instid0(VALU_DEP_1) | instskip(SKIP_1) | instid1(VALU_DEP_2)
	v_and_b32_e32 v52, 0x7f800000, v16
	v_lshrrev_b32_e32 v17, 24, v16
	v_cmpx_ne_u64_e32 0x7f800000, v[52:53]
	s_xor_b32 s10, exec_lo, s7
	s_cbranch_execz .LBB6_12626
; %bb.12609:                            ;   in Loop: Header=BB6_11188 Depth=2
	v_and_b32_e32 v52, 0x7fffffff, v16
	v_and_b32_e32 v46, 0x80, v17
                                        ; implicit-def: $vgpr51
	s_mov_b32 s7, exec_lo
	s_delay_alu instid0(VALU_DEP_2)
	v_cmpx_gt_u64_e32 0x43e00001, v[52:53]
	s_xor_b32 s11, exec_lo, s7
	s_cbranch_execz .LBB6_12623
; %bb.12610:                            ;   in Loop: Header=BB6_11188 Depth=2
	v_mov_b32_e32 v51, 0
	s_mov_b32 s29, exec_lo
	v_cmpx_ne_u32_e32 0, v16
	s_cbranch_execz .LBB6_12622
; %bb.12611:                            ;   in Loop: Header=BB6_11188 Depth=2
	v_bfe_u32 v51, v16, 23, 8
	v_and_b32_e32 v18, 0x7fffff, v16
	s_delay_alu instid0(VALU_DEP_2) | instskip(NEXT) | instid1(VALU_DEP_2)
	v_cmp_gt_u32_e32 vcc_lo, 0x7a, v51
	v_or_b32_e32 v19, 0x800000, v18
	v_sub_nc_u32_e32 v17, 0x79, v51
	s_delay_alu instid0(VALU_DEP_1) | instskip(SKIP_1) | instid1(VALU_DEP_2)
	v_cndmask_b32_e32 v17, 0, v17, vcc_lo
	v_cmp_eq_u32_e32 vcc_lo, 0, v51
	v_cndmask_b32_e64 v47, v17, 0x78, vcc_lo
	s_delay_alu instid0(VALU_DEP_1) | instskip(SKIP_1) | instid1(VALU_DEP_2)
	v_dual_cndmask_b32 v52, v19, v18, vcc_lo :: v_dual_add_nc_u32 v16, 20, v47
	v_add_nc_u32_e32 v56, 19, v47
	v_lshlrev_b64_e64 v[16:17], v16, -1
	s_delay_alu instid0(VALU_DEP_2) | instskip(NEXT) | instid1(VALU_DEP_2)
	v_lshlrev_b64_e64 v[18:19], v56, 1
	v_bfi_b32 v57, v17, 0, 0
	s_delay_alu instid0(VALU_DEP_3) | instskip(SKIP_1) | instid1(VALU_DEP_2)
	v_bfi_b32 v56, v16, 0, v52
	v_lshrrev_b64 v[16:17], v47, v[52:53]
	v_cmp_eq_u64_e64 s7, v[56:57], v[18:19]
	s_delay_alu instid0(VALU_DEP_2)
	v_mov_b64_e32 v[18:19], v[16:17]
	s_and_saveexec_b32 s40, s7
; %bb.12612:                            ;   in Loop: Header=BB6_11188 Depth=2
	v_bfe_u32 v52, v16, 20, 1
	s_delay_alu instid0(VALU_DEP_1) | instskip(NEXT) | instid1(VALU_DEP_1)
	v_add_nc_u64_e32 v[18:19], v[16:17], v[52:53]
	v_add_nc_u64_e32 v[18:19], -1, v[18:19]
; %bb.12613:                            ;   in Loop: Header=BB6_11188 Depth=2
	s_or_b32 exec_lo, exec_lo, s40
	v_add_nc_u32_e32 v17, 0xffffff81, v51
	v_lshrrev_b32_e32 v19, 23, v16
	s_mov_b32 s7, exec_lo
	s_delay_alu instid0(VALU_DEP_2) | instskip(NEXT) | instid1(VALU_DEP_1)
	v_cndmask_b32_e64 v17, v17, 0xffffff82, vcc_lo
	v_add3_u32 v19, v47, v17, v19
	v_and_b32_e32 v17, 0xfffff, v18
                                        ; implicit-def: $vgpr18
	s_delay_alu instid0(VALU_DEP_1) | instskip(NEXT) | instid1(VALU_DEP_1)
	v_dual_add_nc_u32 v51, 6, v19 :: v_dual_add_nc_u32 v52, v17, v16
                                        ; implicit-def: $vgpr16_vgpr17
	v_cmpx_ne_u32_e32 0, v51
	s_xor_b32 s7, exec_lo, s7
; %bb.12614:                            ;   in Loop: Header=BB6_11188 Depth=2
	s_delay_alu instid0(VALU_DEP_2) | instskip(SKIP_1) | instid1(VALU_DEP_1)
	v_cmp_lt_u64_e32 vcc_lo, 0xffffff, v[52:53]
	v_add_nc_u32_e32 v16, 7, v19
	v_cndmask_b32_e32 v18, v51, v16, vcc_lo
	v_cndmask_b32_e64 v16, 0, 1, vcc_lo
	s_delay_alu instid0(VALU_DEP_1)
	v_lshrrev_b64 v[16:17], v16, v[52:53]
; %bb.12615:                            ;   in Loop: Header=BB6_11188 Depth=2
	s_and_not1_saveexec_b32 s7, s7
; %bb.12616:                            ;   in Loop: Header=BB6_11188 Depth=2
	v_mov_b64_e32 v[16:17], v[52:53]
	v_bfe_u32 v18, v52, 23, 1
; %bb.12617:                            ;   in Loop: Header=BB6_11188 Depth=2
	s_or_b32 exec_lo, exec_lo, s7
	s_delay_alu instid0(VALU_DEP_2) | instskip(NEXT) | instid1(VALU_DEP_2)
	v_lshrrev_b64 v[16:17], 20, v[16:17]
	v_cmp_gt_i32_e32 vcc_lo, 16, v18
	v_cmp_ne_u32_e64 s7, 0, v18
                                        ; implicit-def: $vgpr51
	s_delay_alu instid0(VALU_DEP_3) | instskip(NEXT) | instid1(VALU_DEP_1)
	v_dual_cndmask_b32 v17, 0, v17 :: v_dual_cndmask_b32 v16, 7, v16
	v_cmp_ne_u64_e32 vcc_lo, 0, v[16:17]
	s_or_b32 s7, s7, vcc_lo
	s_delay_alu instid0(SALU_CYCLE_1) | instskip(NEXT) | instid1(SALU_CYCLE_1)
	s_and_saveexec_b32 s40, s7
	s_xor_b32 s7, exec_lo, s40
; %bb.12618:                            ;   in Loop: Header=BB6_11188 Depth=2
	v_min_i32_e32 v17, 15, v18
	s_delay_alu instid0(VALU_DEP_1) | instskip(NEXT) | instid1(VALU_DEP_1)
	v_lshl_or_b32 v17, v17, 3, v46
                                        ; implicit-def: $vgpr46
	v_and_or_b32 v51, v16, 7, v17
; %bb.12619:                            ;   in Loop: Header=BB6_11188 Depth=2
	s_and_not1_saveexec_b32 s7, s7
; %bb.12620:                            ;   in Loop: Header=BB6_11188 Depth=2
	v_mov_b32_e32 v51, v46
; %bb.12621:                            ;   in Loop: Header=BB6_11188 Depth=2
	s_or_b32 exec_lo, exec_lo, s7
.LBB6_12622:                            ;   in Loop: Header=BB6_11188 Depth=2
	s_delay_alu instid0(SALU_CYCLE_1)
	s_or_b32 exec_lo, exec_lo, s29
                                        ; implicit-def: $vgpr46
.LBB6_12623:                            ;   in Loop: Header=BB6_11188 Depth=2
	s_and_not1_saveexec_b32 s7, s11
; %bb.12624:                            ;   in Loop: Header=BB6_11188 Depth=2
	v_or_b32_e32 v51, 0x7e, v46
; %bb.12625:                            ;   in Loop: Header=BB6_11188 Depth=2
	s_or_b32 exec_lo, exec_lo, s7
                                        ; implicit-def: $vgpr17
.LBB6_12626:                            ;   in Loop: Header=BB6_11188 Depth=2
	s_and_not1_saveexec_b32 s7, s10
; %bb.12627:                            ;   in Loop: Header=BB6_11188 Depth=2
	v_or_b32_e32 v51, 0x7f, v17
; %bb.12628:                            ;   in Loop: Header=BB6_11188 Depth=2
	s_or_b32 exec_lo, exec_lo, s7
	v_and_b32_e32 v16, 0xff, v50
	v_dual_mov_b32 v18, 0 :: v_dual_mov_b32 v19, 0
	s_mov_b32 s7, exec_lo
	s_delay_alu instid0(VALU_DEP_2)
	v_cmpx_ne_u16_e32 0, v16
	s_cbranch_execz .LBB6_12636
; %bb.12629:                            ;   in Loop: Header=BB6_11188 Depth=2
	v_bfrev_b32_e32 v19, 1
	s_mov_b32 s10, exec_lo
	v_cmpx_ne_u16_e32 0x80, v16
	s_cbranch_execz .LBB6_12635
; %bb.12630:                            ;   in Loop: Header=BB6_11188 Depth=2
	v_and_b32_e32 v17, 0x7f, v50
	v_mov_b32_e32 v19, 0x7f800001
	s_mov_b32 s11, exec_lo
	s_delay_alu instid0(VALU_DEP_2)
	v_cmpx_ne_u32_e32 0x7f, v17
	s_cbranch_execz .LBB6_12634
; %bb.12631:                            ;   in Loop: Header=BB6_11188 Depth=2
	v_dual_lshrrev_b32 v19, 3, v17 :: v_dual_bitop2_b32 v52, 7, v16 bitop3:0x40
	v_cmp_gt_u32_e32 vcc_lo, 8, v17
	s_delay_alu instid0(VALU_DEP_2)
	v_mov_b64_e32 v[16:17], v[52:53]
	s_and_saveexec_b32 s29, vcc_lo
; %bb.12632:                            ;   in Loop: Header=BB6_11188 Depth=2
	v_clz_i32_u32_e32 v16, v52
	s_delay_alu instid0(VALU_DEP_1) | instskip(NEXT) | instid1(VALU_DEP_1)
	v_min_u32_e32 v19, 32, v16
	v_subrev_nc_u32_e32 v16, 28, v19
	s_delay_alu instid0(VALU_DEP_1) | instskip(NEXT) | instid1(VALU_DEP_1)
	v_lshlrev_b64_e32 v[16:17], v16, v[52:53]
	v_dual_sub_nc_u32 v19, 29, v19 :: v_dual_bitop2_b32 v16, 7, v16 bitop3:0x40
; %bb.12633:                            ;   in Loop: Header=BB6_11188 Depth=2
	s_or_b32 exec_lo, exec_lo, s29
	s_delay_alu instid0(VALU_DEP_1) | instskip(NEXT) | instid1(VALU_DEP_2)
	v_dual_lshlrev_b32 v17, 24, v50 :: v_dual_lshlrev_b32 v16, 20, v16
	v_lshl_add_u32 v19, v19, 23, 0x3c000000
	s_delay_alu instid0(VALU_DEP_2) | instskip(NEXT) | instid1(VALU_DEP_1)
	v_and_b32_e32 v17, 0x80000000, v17
	v_or3_b32 v19, v16, v17, v19
.LBB6_12634:                            ;   in Loop: Header=BB6_11188 Depth=2
	s_or_b32 exec_lo, exec_lo, s11
.LBB6_12635:                            ;   in Loop: Header=BB6_11188 Depth=2
	s_delay_alu instid0(SALU_CYCLE_1)
	s_or_b32 exec_lo, exec_lo, s10
.LBB6_12636:                            ;   in Loop: Header=BB6_11188 Depth=2
	s_delay_alu instid0(SALU_CYCLE_1) | instskip(SKIP_3) | instid1(VALU_DEP_1)
	s_or_b32 exec_lo, exec_lo, s7
	s_wait_loadcnt_dscnt 0x1010
	v_and_b32_e32 v16, 0xff, v45
	s_mov_b32 s7, exec_lo
	v_cmpx_ne_u16_e32 0, v16
	s_cbranch_execz .LBB6_12644
; %bb.12637:                            ;   in Loop: Header=BB6_11188 Depth=2
	v_bfrev_b32_e32 v18, 1
	s_mov_b32 s10, exec_lo
	v_cmpx_ne_u16_e32 0x80, v16
	s_cbranch_execz .LBB6_12643
; %bb.12638:                            ;   in Loop: Header=BB6_11188 Depth=2
	v_and_b32_e32 v17, 0x7f, v45
	v_mov_b32_e32 v18, 0x7f800001
	s_mov_b32 s11, exec_lo
	s_delay_alu instid0(VALU_DEP_2)
	v_cmpx_ne_u32_e32 0x7f, v17
	s_cbranch_execz .LBB6_12642
; %bb.12639:                            ;   in Loop: Header=BB6_11188 Depth=2
	v_dual_lshrrev_b32 v18, 3, v17 :: v_dual_bitop2_b32 v52, 7, v16 bitop3:0x40
	v_cmp_gt_u32_e32 vcc_lo, 8, v17
	s_delay_alu instid0(VALU_DEP_2)
	v_mov_b64_e32 v[16:17], v[52:53]
	s_and_saveexec_b32 s29, vcc_lo
; %bb.12640:                            ;   in Loop: Header=BB6_11188 Depth=2
	v_clz_i32_u32_e32 v16, v52
	s_delay_alu instid0(VALU_DEP_1) | instskip(NEXT) | instid1(VALU_DEP_1)
	v_min_u32_e32 v18, 32, v16
	v_subrev_nc_u32_e32 v16, 28, v18
	s_delay_alu instid0(VALU_DEP_1) | instskip(NEXT) | instid1(VALU_DEP_1)
	v_lshlrev_b64_e32 v[16:17], v16, v[52:53]
	v_dual_sub_nc_u32 v18, 29, v18 :: v_dual_bitop2_b32 v16, 7, v16 bitop3:0x40
; %bb.12641:                            ;   in Loop: Header=BB6_11188 Depth=2
	s_or_b32 exec_lo, exec_lo, s29
	s_delay_alu instid0(VALU_DEP_1) | instskip(NEXT) | instid1(VALU_DEP_2)
	v_dual_lshlrev_b32 v17, 24, v45 :: v_dual_lshlrev_b32 v16, 20, v16
	v_lshl_add_u32 v18, v18, 23, 0x3c000000
	s_delay_alu instid0(VALU_DEP_2) | instskip(NEXT) | instid1(VALU_DEP_1)
	v_and_b32_e32 v17, 0x80000000, v17
	v_or3_b32 v18, v16, v17, v18
.LBB6_12642:                            ;   in Loop: Header=BB6_11188 Depth=2
	s_or_b32 exec_lo, exec_lo, s11
.LBB6_12643:                            ;   in Loop: Header=BB6_11188 Depth=2
	s_delay_alu instid0(SALU_CYCLE_1)
	s_or_b32 exec_lo, exec_lo, s10
.LBB6_12644:                            ;   in Loop: Header=BB6_11188 Depth=2
	s_delay_alu instid0(SALU_CYCLE_1) | instskip(NEXT) | instid1(VALU_DEP_1)
	s_or_b32 exec_lo, exec_lo, s7
	v_add_f32_e32 v16, v19, v18
                                        ; implicit-def: $vgpr50
	s_mov_b32 s7, exec_lo
	s_delay_alu instid0(VALU_DEP_1) | instskip(SKIP_1) | instid1(VALU_DEP_2)
	v_and_b32_e32 v52, 0x7f800000, v16
	v_lshrrev_b32_e32 v17, 24, v16
	v_cmpx_ne_u64_e32 0x7f800000, v[52:53]
	s_xor_b32 s10, exec_lo, s7
	s_cbranch_execz .LBB6_12662
; %bb.12645:                            ;   in Loop: Header=BB6_11188 Depth=2
	v_and_b32_e32 v52, 0x7fffffff, v16
	v_and_b32_e32 v45, 0x80, v17
                                        ; implicit-def: $vgpr50
	s_mov_b32 s7, exec_lo
	s_delay_alu instid0(VALU_DEP_2)
	v_cmpx_gt_u64_e32 0x43e00001, v[52:53]
	s_xor_b32 s11, exec_lo, s7
	s_cbranch_execz .LBB6_12659
; %bb.12646:                            ;   in Loop: Header=BB6_11188 Depth=2
	v_mov_b32_e32 v50, 0
	s_mov_b32 s29, exec_lo
	v_cmpx_ne_u32_e32 0, v16
	s_cbranch_execz .LBB6_12658
; %bb.12647:                            ;   in Loop: Header=BB6_11188 Depth=2
	v_bfe_u32 v50, v16, 23, 8
	v_and_b32_e32 v18, 0x7fffff, v16
	s_delay_alu instid0(VALU_DEP_2) | instskip(SKIP_1) | instid1(VALU_DEP_3)
	v_sub_nc_u32_e32 v17, 0x79, v50
	v_cmp_gt_u32_e32 vcc_lo, 0x7a, v50
	v_or_b32_e32 v19, 0x800000, v18
	s_delay_alu instid0(VALU_DEP_3) | instskip(SKIP_1) | instid1(VALU_DEP_2)
	v_cndmask_b32_e32 v17, 0, v17, vcc_lo
	v_cmp_eq_u32_e32 vcc_lo, 0, v50
	v_cndmask_b32_e64 v46, v17, 0x78, vcc_lo
	s_delay_alu instid0(VALU_DEP_4) | instskip(NEXT) | instid1(VALU_DEP_2)
	v_cndmask_b32_e32 v52, v19, v18, vcc_lo
	v_dual_add_nc_u32 v16, 20, v46 :: v_dual_add_nc_u32 v47, 19, v46
	s_delay_alu instid0(VALU_DEP_1) | instskip(NEXT) | instid1(VALU_DEP_2)
	v_lshlrev_b64_e64 v[16:17], v16, -1
	v_lshlrev_b64_e64 v[18:19], v47, 1
	s_delay_alu instid0(VALU_DEP_2) | instskip(NEXT) | instid1(VALU_DEP_3)
	v_bfi_b32 v57, v17, 0, 0
	v_bfi_b32 v56, v16, 0, v52
	v_lshrrev_b64 v[16:17], v46, v[52:53]
	s_delay_alu instid0(VALU_DEP_2) | instskip(NEXT) | instid1(VALU_DEP_2)
	v_cmp_eq_u64_e64 s7, v[56:57], v[18:19]
	v_mov_b64_e32 v[18:19], v[16:17]
	s_and_saveexec_b32 s40, s7
; %bb.12648:                            ;   in Loop: Header=BB6_11188 Depth=2
	v_bfe_u32 v52, v16, 20, 1
	s_delay_alu instid0(VALU_DEP_1) | instskip(NEXT) | instid1(VALU_DEP_1)
	v_add_nc_u64_e32 v[18:19], v[16:17], v[52:53]
	v_add_nc_u64_e32 v[18:19], -1, v[18:19]
; %bb.12649:                            ;   in Loop: Header=BB6_11188 Depth=2
	s_or_b32 exec_lo, exec_lo, s40
	v_add_nc_u32_e32 v17, 0xffffff81, v50
	v_lshrrev_b32_e32 v19, 23, v16
	s_mov_b32 s7, exec_lo
	s_delay_alu instid0(VALU_DEP_2) | instskip(NEXT) | instid1(VALU_DEP_1)
	v_cndmask_b32_e64 v17, v17, 0xffffff82, vcc_lo
	v_add3_u32 v19, v46, v17, v19
	v_and_b32_e32 v17, 0xfffff, v18
                                        ; implicit-def: $vgpr18
	s_delay_alu instid0(VALU_DEP_1) | instskip(NEXT) | instid1(VALU_DEP_1)
	v_dual_add_nc_u32 v50, 6, v19 :: v_dual_add_nc_u32 v52, v17, v16
                                        ; implicit-def: $vgpr16_vgpr17
	v_cmpx_ne_u32_e32 0, v50
	s_xor_b32 s7, exec_lo, s7
; %bb.12650:                            ;   in Loop: Header=BB6_11188 Depth=2
	s_delay_alu instid0(VALU_DEP_2) | instskip(SKIP_1) | instid1(VALU_DEP_1)
	v_cmp_lt_u64_e32 vcc_lo, 0xffffff, v[52:53]
	v_add_nc_u32_e32 v16, 7, v19
	v_cndmask_b32_e32 v18, v50, v16, vcc_lo
	v_cndmask_b32_e64 v16, 0, 1, vcc_lo
	s_delay_alu instid0(VALU_DEP_1)
	v_lshrrev_b64 v[16:17], v16, v[52:53]
; %bb.12651:                            ;   in Loop: Header=BB6_11188 Depth=2
	s_and_not1_saveexec_b32 s7, s7
; %bb.12652:                            ;   in Loop: Header=BB6_11188 Depth=2
	v_mov_b64_e32 v[16:17], v[52:53]
	v_bfe_u32 v18, v52, 23, 1
; %bb.12653:                            ;   in Loop: Header=BB6_11188 Depth=2
	s_or_b32 exec_lo, exec_lo, s7
	s_delay_alu instid0(VALU_DEP_2) | instskip(NEXT) | instid1(VALU_DEP_2)
	v_lshrrev_b64 v[16:17], 20, v[16:17]
	v_cmp_gt_i32_e32 vcc_lo, 16, v18
	v_cmp_ne_u32_e64 s7, 0, v18
                                        ; implicit-def: $vgpr50
	s_delay_alu instid0(VALU_DEP_3) | instskip(NEXT) | instid1(VALU_DEP_1)
	v_dual_cndmask_b32 v17, 0, v17 :: v_dual_cndmask_b32 v16, 7, v16
	v_cmp_ne_u64_e32 vcc_lo, 0, v[16:17]
	s_or_b32 s7, s7, vcc_lo
	s_delay_alu instid0(SALU_CYCLE_1) | instskip(NEXT) | instid1(SALU_CYCLE_1)
	s_and_saveexec_b32 s40, s7
	s_xor_b32 s7, exec_lo, s40
; %bb.12654:                            ;   in Loop: Header=BB6_11188 Depth=2
	v_min_i32_e32 v17, 15, v18
	s_delay_alu instid0(VALU_DEP_1) | instskip(NEXT) | instid1(VALU_DEP_1)
	v_lshl_or_b32 v17, v17, 3, v45
                                        ; implicit-def: $vgpr45
	v_and_or_b32 v50, v16, 7, v17
; %bb.12655:                            ;   in Loop: Header=BB6_11188 Depth=2
	s_and_not1_saveexec_b32 s7, s7
; %bb.12656:                            ;   in Loop: Header=BB6_11188 Depth=2
	v_mov_b32_e32 v50, v45
; %bb.12657:                            ;   in Loop: Header=BB6_11188 Depth=2
	s_or_b32 exec_lo, exec_lo, s7
.LBB6_12658:                            ;   in Loop: Header=BB6_11188 Depth=2
	s_delay_alu instid0(SALU_CYCLE_1)
	s_or_b32 exec_lo, exec_lo, s29
                                        ; implicit-def: $vgpr45
.LBB6_12659:                            ;   in Loop: Header=BB6_11188 Depth=2
	s_and_not1_saveexec_b32 s7, s11
; %bb.12660:                            ;   in Loop: Header=BB6_11188 Depth=2
	v_or_b32_e32 v50, 0x7e, v45
; %bb.12661:                            ;   in Loop: Header=BB6_11188 Depth=2
	s_or_b32 exec_lo, exec_lo, s7
                                        ; implicit-def: $vgpr17
.LBB6_12662:                            ;   in Loop: Header=BB6_11188 Depth=2
	s_and_not1_saveexec_b32 s7, s10
; %bb.12663:                            ;   in Loop: Header=BB6_11188 Depth=2
	v_or_b32_e32 v50, 0x7f, v17
; %bb.12664:                            ;   in Loop: Header=BB6_11188 Depth=2
	s_or_b32 exec_lo, exec_lo, s7
	v_and_b32_e32 v16, 0xff, v38
	v_dual_mov_b32 v18, 0 :: v_dual_mov_b32 v19, 0
	s_mov_b32 s7, exec_lo
	s_delay_alu instid0(VALU_DEP_2)
	v_cmpx_ne_u16_e32 0, v16
	s_cbranch_execz .LBB6_12672
; %bb.12665:                            ;   in Loop: Header=BB6_11188 Depth=2
	v_bfrev_b32_e32 v19, 1
	s_mov_b32 s10, exec_lo
	v_cmpx_ne_u16_e32 0x80, v16
	s_cbranch_execz .LBB6_12671
; %bb.12666:                            ;   in Loop: Header=BB6_11188 Depth=2
	v_and_b32_e32 v17, 0x7f, v38
	v_mov_b32_e32 v19, 0x7f800001
	s_mov_b32 s11, exec_lo
	s_delay_alu instid0(VALU_DEP_2)
	v_cmpx_ne_u32_e32 0x7f, v17
	s_cbranch_execz .LBB6_12670
; %bb.12667:                            ;   in Loop: Header=BB6_11188 Depth=2
	v_dual_lshrrev_b32 v19, 3, v17 :: v_dual_bitop2_b32 v52, 7, v16 bitop3:0x40
	v_cmp_gt_u32_e32 vcc_lo, 8, v17
	s_delay_alu instid0(VALU_DEP_2)
	v_mov_b64_e32 v[16:17], v[52:53]
	s_and_saveexec_b32 s29, vcc_lo
; %bb.12668:                            ;   in Loop: Header=BB6_11188 Depth=2
	v_clz_i32_u32_e32 v16, v52
	s_delay_alu instid0(VALU_DEP_1) | instskip(NEXT) | instid1(VALU_DEP_1)
	v_min_u32_e32 v19, 32, v16
	v_subrev_nc_u32_e32 v16, 28, v19
	s_delay_alu instid0(VALU_DEP_1) | instskip(NEXT) | instid1(VALU_DEP_1)
	v_lshlrev_b64_e32 v[16:17], v16, v[52:53]
	v_dual_sub_nc_u32 v19, 29, v19 :: v_dual_bitop2_b32 v16, 7, v16 bitop3:0x40
; %bb.12669:                            ;   in Loop: Header=BB6_11188 Depth=2
	s_or_b32 exec_lo, exec_lo, s29
	s_delay_alu instid0(VALU_DEP_1) | instskip(NEXT) | instid1(VALU_DEP_2)
	v_dual_lshlrev_b32 v17, 24, v38 :: v_dual_lshlrev_b32 v16, 20, v16
	v_lshl_add_u32 v19, v19, 23, 0x3c000000
	s_delay_alu instid0(VALU_DEP_2) | instskip(NEXT) | instid1(VALU_DEP_1)
	v_and_b32_e32 v17, 0x80000000, v17
	v_or3_b32 v19, v16, v17, v19
.LBB6_12670:                            ;   in Loop: Header=BB6_11188 Depth=2
	s_or_b32 exec_lo, exec_lo, s11
.LBB6_12671:                            ;   in Loop: Header=BB6_11188 Depth=2
	s_delay_alu instid0(SALU_CYCLE_1)
	s_or_b32 exec_lo, exec_lo, s10
.LBB6_12672:                            ;   in Loop: Header=BB6_11188 Depth=2
	s_delay_alu instid0(SALU_CYCLE_1) | instskip(SKIP_3) | instid1(VALU_DEP_1)
	s_or_b32 exec_lo, exec_lo, s7
	s_wait_loadcnt_dscnt 0xf0f
	v_and_b32_e32 v16, 0xff, v44
	s_mov_b32 s7, exec_lo
	v_cmpx_ne_u16_e32 0, v16
	s_cbranch_execz .LBB6_12680
; %bb.12673:                            ;   in Loop: Header=BB6_11188 Depth=2
	v_bfrev_b32_e32 v18, 1
	s_mov_b32 s10, exec_lo
	v_cmpx_ne_u16_e32 0x80, v16
	s_cbranch_execz .LBB6_12679
; %bb.12674:                            ;   in Loop: Header=BB6_11188 Depth=2
	v_and_b32_e32 v17, 0x7f, v44
	v_mov_b32_e32 v18, 0x7f800001
	s_mov_b32 s11, exec_lo
	s_delay_alu instid0(VALU_DEP_2)
	v_cmpx_ne_u32_e32 0x7f, v17
	s_cbranch_execz .LBB6_12678
; %bb.12675:                            ;   in Loop: Header=BB6_11188 Depth=2
	v_dual_lshrrev_b32 v18, 3, v17 :: v_dual_bitop2_b32 v52, 7, v16 bitop3:0x40
	v_cmp_gt_u32_e32 vcc_lo, 8, v17
	s_delay_alu instid0(VALU_DEP_2)
	v_mov_b64_e32 v[16:17], v[52:53]
	s_and_saveexec_b32 s29, vcc_lo
; %bb.12676:                            ;   in Loop: Header=BB6_11188 Depth=2
	v_clz_i32_u32_e32 v16, v52
	s_delay_alu instid0(VALU_DEP_1) | instskip(NEXT) | instid1(VALU_DEP_1)
	v_min_u32_e32 v18, 32, v16
	v_subrev_nc_u32_e32 v16, 28, v18
	s_delay_alu instid0(VALU_DEP_1) | instskip(NEXT) | instid1(VALU_DEP_1)
	v_lshlrev_b64_e32 v[16:17], v16, v[52:53]
	v_dual_sub_nc_u32 v18, 29, v18 :: v_dual_bitop2_b32 v16, 7, v16 bitop3:0x40
; %bb.12677:                            ;   in Loop: Header=BB6_11188 Depth=2
	s_or_b32 exec_lo, exec_lo, s29
	v_lshlrev_b32_e32 v17, 24, v44
	s_delay_alu instid0(VALU_DEP_2) | instskip(NEXT) | instid1(VALU_DEP_3)
	v_lshlrev_b32_e32 v16, 20, v16
	v_lshl_add_u32 v18, v18, 23, 0x3c000000
	s_delay_alu instid0(VALU_DEP_3) | instskip(NEXT) | instid1(VALU_DEP_1)
	v_and_b32_e32 v17, 0x80000000, v17
	v_or3_b32 v18, v16, v17, v18
.LBB6_12678:                            ;   in Loop: Header=BB6_11188 Depth=2
	s_or_b32 exec_lo, exec_lo, s11
.LBB6_12679:                            ;   in Loop: Header=BB6_11188 Depth=2
	s_delay_alu instid0(SALU_CYCLE_1)
	s_or_b32 exec_lo, exec_lo, s10
.LBB6_12680:                            ;   in Loop: Header=BB6_11188 Depth=2
	s_delay_alu instid0(SALU_CYCLE_1) | instskip(NEXT) | instid1(VALU_DEP_1)
	s_or_b32 exec_lo, exec_lo, s7
	v_add_f32_e32 v16, v19, v18
                                        ; implicit-def: $vgpr38
	s_mov_b32 s7, exec_lo
	s_delay_alu instid0(VALU_DEP_1) | instskip(SKIP_1) | instid1(VALU_DEP_2)
	v_and_b32_e32 v52, 0x7f800000, v16
	v_lshrrev_b32_e32 v17, 24, v16
	v_cmpx_ne_u64_e32 0x7f800000, v[52:53]
	s_xor_b32 s10, exec_lo, s7
	s_cbranch_execz .LBB6_12698
; %bb.12681:                            ;   in Loop: Header=BB6_11188 Depth=2
	v_and_b32_e32 v52, 0x7fffffff, v16
	v_and_b32_e32 v44, 0x80, v17
                                        ; implicit-def: $vgpr38
	s_mov_b32 s7, exec_lo
	s_delay_alu instid0(VALU_DEP_2)
	v_cmpx_gt_u64_e32 0x43e00001, v[52:53]
	s_xor_b32 s11, exec_lo, s7
	s_cbranch_execz .LBB6_12695
; %bb.12682:                            ;   in Loop: Header=BB6_11188 Depth=2
	v_mov_b32_e32 v38, 0
	s_mov_b32 s29, exec_lo
	v_cmpx_ne_u32_e32 0, v16
	s_cbranch_execz .LBB6_12694
; %bb.12683:                            ;   in Loop: Header=BB6_11188 Depth=2
	v_bfe_u32 v38, v16, 23, 8
	v_and_b32_e32 v18, 0x7fffff, v16
	s_delay_alu instid0(VALU_DEP_2) | instskip(SKIP_1) | instid1(VALU_DEP_3)
	v_sub_nc_u32_e32 v17, 0x79, v38
	v_cmp_gt_u32_e32 vcc_lo, 0x7a, v38
	v_or_b32_e32 v19, 0x800000, v18
	s_delay_alu instid0(VALU_DEP_3) | instskip(SKIP_1) | instid1(VALU_DEP_3)
	v_cndmask_b32_e32 v17, 0, v17, vcc_lo
	v_cmp_eq_u32_e32 vcc_lo, 0, v38
	v_cndmask_b32_e32 v52, v19, v18, vcc_lo
	s_delay_alu instid0(VALU_DEP_3) | instskip(NEXT) | instid1(VALU_DEP_1)
	v_cndmask_b32_e64 v45, v17, 0x78, vcc_lo
	v_dual_add_nc_u32 v16, 20, v45 :: v_dual_add_nc_u32 v46, 19, v45
	s_delay_alu instid0(VALU_DEP_1) | instskip(NEXT) | instid1(VALU_DEP_2)
	v_lshlrev_b64_e64 v[16:17], v16, -1
	v_lshlrev_b64_e64 v[18:19], v46, 1
	s_delay_alu instid0(VALU_DEP_2) | instskip(NEXT) | instid1(VALU_DEP_3)
	v_bfi_b32 v47, v17, 0, 0
	v_bfi_b32 v46, v16, 0, v52
	v_lshrrev_b64 v[16:17], v45, v[52:53]
	s_delay_alu instid0(VALU_DEP_2) | instskip(NEXT) | instid1(VALU_DEP_2)
	v_cmp_eq_u64_e64 s7, v[46:47], v[18:19]
	v_mov_b64_e32 v[18:19], v[16:17]
	s_and_saveexec_b32 s40, s7
; %bb.12684:                            ;   in Loop: Header=BB6_11188 Depth=2
	v_bfe_u32 v52, v16, 20, 1
	s_delay_alu instid0(VALU_DEP_1) | instskip(NEXT) | instid1(VALU_DEP_1)
	v_add_nc_u64_e32 v[18:19], v[16:17], v[52:53]
	v_add_nc_u64_e32 v[18:19], -1, v[18:19]
; %bb.12685:                            ;   in Loop: Header=BB6_11188 Depth=2
	s_or_b32 exec_lo, exec_lo, s40
	v_add_nc_u32_e32 v17, 0xffffff81, v38
	v_lshrrev_b32_e32 v19, 23, v16
	s_mov_b32 s7, exec_lo
	s_delay_alu instid0(VALU_DEP_2) | instskip(NEXT) | instid1(VALU_DEP_1)
	v_cndmask_b32_e64 v17, v17, 0xffffff82, vcc_lo
	v_add3_u32 v19, v45, v17, v19
	v_and_b32_e32 v17, 0xfffff, v18
                                        ; implicit-def: $vgpr18
	s_delay_alu instid0(VALU_DEP_1) | instskip(NEXT) | instid1(VALU_DEP_1)
	v_dual_add_nc_u32 v38, 6, v19 :: v_dual_add_nc_u32 v52, v17, v16
                                        ; implicit-def: $vgpr16_vgpr17
	v_cmpx_ne_u32_e32 0, v38
	s_xor_b32 s7, exec_lo, s7
; %bb.12686:                            ;   in Loop: Header=BB6_11188 Depth=2
	s_delay_alu instid0(VALU_DEP_2) | instskip(SKIP_1) | instid1(VALU_DEP_1)
	v_cmp_lt_u64_e32 vcc_lo, 0xffffff, v[52:53]
	v_add_nc_u32_e32 v16, 7, v19
	v_cndmask_b32_e32 v18, v38, v16, vcc_lo
	v_cndmask_b32_e64 v16, 0, 1, vcc_lo
	s_delay_alu instid0(VALU_DEP_1)
	v_lshrrev_b64 v[16:17], v16, v[52:53]
; %bb.12687:                            ;   in Loop: Header=BB6_11188 Depth=2
	s_and_not1_saveexec_b32 s7, s7
; %bb.12688:                            ;   in Loop: Header=BB6_11188 Depth=2
	v_mov_b64_e32 v[16:17], v[52:53]
	v_bfe_u32 v18, v52, 23, 1
; %bb.12689:                            ;   in Loop: Header=BB6_11188 Depth=2
	s_or_b32 exec_lo, exec_lo, s7
	s_delay_alu instid0(VALU_DEP_2) | instskip(NEXT) | instid1(VALU_DEP_2)
	v_lshrrev_b64 v[16:17], 20, v[16:17]
	v_cmp_gt_i32_e32 vcc_lo, 16, v18
	v_cmp_ne_u32_e64 s7, 0, v18
                                        ; implicit-def: $vgpr38
	s_delay_alu instid0(VALU_DEP_3) | instskip(NEXT) | instid1(VALU_DEP_1)
	v_dual_cndmask_b32 v17, 0, v17 :: v_dual_cndmask_b32 v16, 7, v16
	v_cmp_ne_u64_e32 vcc_lo, 0, v[16:17]
	s_or_b32 s7, s7, vcc_lo
	s_delay_alu instid0(SALU_CYCLE_1) | instskip(NEXT) | instid1(SALU_CYCLE_1)
	s_and_saveexec_b32 s40, s7
	s_xor_b32 s7, exec_lo, s40
; %bb.12690:                            ;   in Loop: Header=BB6_11188 Depth=2
	v_min_i32_e32 v17, 15, v18
	s_delay_alu instid0(VALU_DEP_1) | instskip(NEXT) | instid1(VALU_DEP_1)
	v_lshl_or_b32 v17, v17, 3, v44
                                        ; implicit-def: $vgpr44
	v_and_or_b32 v38, v16, 7, v17
; %bb.12691:                            ;   in Loop: Header=BB6_11188 Depth=2
	s_and_not1_saveexec_b32 s7, s7
; %bb.12692:                            ;   in Loop: Header=BB6_11188 Depth=2
	v_mov_b32_e32 v38, v44
; %bb.12693:                            ;   in Loop: Header=BB6_11188 Depth=2
	s_or_b32 exec_lo, exec_lo, s7
.LBB6_12694:                            ;   in Loop: Header=BB6_11188 Depth=2
	s_delay_alu instid0(SALU_CYCLE_1)
	s_or_b32 exec_lo, exec_lo, s29
                                        ; implicit-def: $vgpr44
.LBB6_12695:                            ;   in Loop: Header=BB6_11188 Depth=2
	s_and_not1_saveexec_b32 s7, s11
; %bb.12696:                            ;   in Loop: Header=BB6_11188 Depth=2
	v_or_b32_e32 v38, 0x7e, v44
; %bb.12697:                            ;   in Loop: Header=BB6_11188 Depth=2
	s_or_b32 exec_lo, exec_lo, s7
                                        ; implicit-def: $vgpr17
.LBB6_12698:                            ;   in Loop: Header=BB6_11188 Depth=2
	s_and_not1_saveexec_b32 s7, s10
; %bb.12699:                            ;   in Loop: Header=BB6_11188 Depth=2
	v_or_b32_e32 v38, 0x7f, v17
; %bb.12700:                            ;   in Loop: Header=BB6_11188 Depth=2
	s_or_b32 exec_lo, exec_lo, s7
	v_and_b32_e32 v16, 0xff, v37
	v_dual_mov_b32 v18, 0 :: v_dual_mov_b32 v19, 0
	s_mov_b32 s7, exec_lo
	s_delay_alu instid0(VALU_DEP_2)
	v_cmpx_ne_u16_e32 0, v16
	s_cbranch_execz .LBB6_12708
; %bb.12701:                            ;   in Loop: Header=BB6_11188 Depth=2
	v_bfrev_b32_e32 v19, 1
	s_mov_b32 s10, exec_lo
	v_cmpx_ne_u16_e32 0x80, v16
	s_cbranch_execz .LBB6_12707
; %bb.12702:                            ;   in Loop: Header=BB6_11188 Depth=2
	v_and_b32_e32 v17, 0x7f, v37
	v_mov_b32_e32 v19, 0x7f800001
	s_mov_b32 s11, exec_lo
	s_delay_alu instid0(VALU_DEP_2)
	v_cmpx_ne_u32_e32 0x7f, v17
	s_cbranch_execz .LBB6_12706
; %bb.12703:                            ;   in Loop: Header=BB6_11188 Depth=2
	v_dual_lshrrev_b32 v19, 3, v17 :: v_dual_bitop2_b32 v52, 7, v16 bitop3:0x40
	v_cmp_gt_u32_e32 vcc_lo, 8, v17
	s_delay_alu instid0(VALU_DEP_2)
	v_mov_b64_e32 v[16:17], v[52:53]
	s_and_saveexec_b32 s29, vcc_lo
; %bb.12704:                            ;   in Loop: Header=BB6_11188 Depth=2
	v_clz_i32_u32_e32 v16, v52
	s_delay_alu instid0(VALU_DEP_1) | instskip(NEXT) | instid1(VALU_DEP_1)
	v_min_u32_e32 v19, 32, v16
	v_subrev_nc_u32_e32 v16, 28, v19
	s_delay_alu instid0(VALU_DEP_1) | instskip(NEXT) | instid1(VALU_DEP_1)
	v_lshlrev_b64_e32 v[16:17], v16, v[52:53]
	v_dual_sub_nc_u32 v19, 29, v19 :: v_dual_bitop2_b32 v16, 7, v16 bitop3:0x40
; %bb.12705:                            ;   in Loop: Header=BB6_11188 Depth=2
	s_or_b32 exec_lo, exec_lo, s29
	s_delay_alu instid0(VALU_DEP_1) | instskip(NEXT) | instid1(VALU_DEP_2)
	v_dual_lshlrev_b32 v17, 24, v37 :: v_dual_lshlrev_b32 v16, 20, v16
	v_lshl_add_u32 v19, v19, 23, 0x3c000000
	s_delay_alu instid0(VALU_DEP_2) | instskip(NEXT) | instid1(VALU_DEP_1)
	v_and_b32_e32 v17, 0x80000000, v17
	v_or3_b32 v19, v16, v17, v19
.LBB6_12706:                            ;   in Loop: Header=BB6_11188 Depth=2
	s_or_b32 exec_lo, exec_lo, s11
.LBB6_12707:                            ;   in Loop: Header=BB6_11188 Depth=2
	s_delay_alu instid0(SALU_CYCLE_1)
	s_or_b32 exec_lo, exec_lo, s10
.LBB6_12708:                            ;   in Loop: Header=BB6_11188 Depth=2
	s_delay_alu instid0(SALU_CYCLE_1) | instskip(SKIP_3) | instid1(VALU_DEP_1)
	s_or_b32 exec_lo, exec_lo, s7
	s_wait_loadcnt_dscnt 0xe0e
	v_and_b32_e32 v16, 0xff, v43
	s_mov_b32 s7, exec_lo
	v_cmpx_ne_u16_e32 0, v16
	s_cbranch_execz .LBB6_12716
; %bb.12709:                            ;   in Loop: Header=BB6_11188 Depth=2
	v_bfrev_b32_e32 v18, 1
	s_mov_b32 s10, exec_lo
	v_cmpx_ne_u16_e32 0x80, v16
	s_cbranch_execz .LBB6_12715
; %bb.12710:                            ;   in Loop: Header=BB6_11188 Depth=2
	v_and_b32_e32 v17, 0x7f, v43
	v_mov_b32_e32 v18, 0x7f800001
	s_mov_b32 s11, exec_lo
	s_delay_alu instid0(VALU_DEP_2)
	v_cmpx_ne_u32_e32 0x7f, v17
	s_cbranch_execz .LBB6_12714
; %bb.12711:                            ;   in Loop: Header=BB6_11188 Depth=2
	v_dual_lshrrev_b32 v18, 3, v17 :: v_dual_bitop2_b32 v52, 7, v16 bitop3:0x40
	v_cmp_gt_u32_e32 vcc_lo, 8, v17
	s_delay_alu instid0(VALU_DEP_2)
	v_mov_b64_e32 v[16:17], v[52:53]
	s_and_saveexec_b32 s29, vcc_lo
; %bb.12712:                            ;   in Loop: Header=BB6_11188 Depth=2
	v_clz_i32_u32_e32 v16, v52
	s_delay_alu instid0(VALU_DEP_1) | instskip(NEXT) | instid1(VALU_DEP_1)
	v_min_u32_e32 v18, 32, v16
	v_subrev_nc_u32_e32 v16, 28, v18
	s_delay_alu instid0(VALU_DEP_1) | instskip(NEXT) | instid1(VALU_DEP_1)
	v_lshlrev_b64_e32 v[16:17], v16, v[52:53]
	v_dual_sub_nc_u32 v18, 29, v18 :: v_dual_bitop2_b32 v16, 7, v16 bitop3:0x40
; %bb.12713:                            ;   in Loop: Header=BB6_11188 Depth=2
	s_or_b32 exec_lo, exec_lo, s29
	s_delay_alu instid0(VALU_DEP_1) | instskip(NEXT) | instid1(VALU_DEP_2)
	v_dual_lshlrev_b32 v17, 24, v43 :: v_dual_lshlrev_b32 v16, 20, v16
	v_lshl_add_u32 v18, v18, 23, 0x3c000000
	s_delay_alu instid0(VALU_DEP_2) | instskip(NEXT) | instid1(VALU_DEP_1)
	v_and_b32_e32 v17, 0x80000000, v17
	v_or3_b32 v18, v16, v17, v18
.LBB6_12714:                            ;   in Loop: Header=BB6_11188 Depth=2
	s_or_b32 exec_lo, exec_lo, s11
.LBB6_12715:                            ;   in Loop: Header=BB6_11188 Depth=2
	s_delay_alu instid0(SALU_CYCLE_1)
	s_or_b32 exec_lo, exec_lo, s10
.LBB6_12716:                            ;   in Loop: Header=BB6_11188 Depth=2
	s_delay_alu instid0(SALU_CYCLE_1) | instskip(NEXT) | instid1(VALU_DEP_1)
	s_or_b32 exec_lo, exec_lo, s7
	v_add_f32_e32 v16, v19, v18
                                        ; implicit-def: $vgpr37
	s_mov_b32 s7, exec_lo
	s_delay_alu instid0(VALU_DEP_1) | instskip(SKIP_1) | instid1(VALU_DEP_2)
	v_and_b32_e32 v52, 0x7f800000, v16
	v_lshrrev_b32_e32 v17, 24, v16
	v_cmpx_ne_u64_e32 0x7f800000, v[52:53]
	s_xor_b32 s10, exec_lo, s7
	s_cbranch_execz .LBB6_12734
; %bb.12717:                            ;   in Loop: Header=BB6_11188 Depth=2
	v_and_b32_e32 v52, 0x7fffffff, v16
	v_and_b32_e32 v43, 0x80, v17
                                        ; implicit-def: $vgpr37
	s_mov_b32 s7, exec_lo
	s_delay_alu instid0(VALU_DEP_2)
	v_cmpx_gt_u64_e32 0x43e00001, v[52:53]
	s_xor_b32 s11, exec_lo, s7
	s_cbranch_execz .LBB6_12731
; %bb.12718:                            ;   in Loop: Header=BB6_11188 Depth=2
	v_mov_b32_e32 v37, 0
	s_mov_b32 s29, exec_lo
	v_cmpx_ne_u32_e32 0, v16
	s_cbranch_execz .LBB6_12730
; %bb.12719:                            ;   in Loop: Header=BB6_11188 Depth=2
	v_bfe_u32 v37, v16, 23, 8
	v_and_b32_e32 v18, 0x7fffff, v16
	s_delay_alu instid0(VALU_DEP_2) | instskip(NEXT) | instid1(VALU_DEP_2)
	v_cmp_gt_u32_e32 vcc_lo, 0x7a, v37
	v_or_b32_e32 v19, 0x800000, v18
	v_sub_nc_u32_e32 v17, 0x79, v37
	s_delay_alu instid0(VALU_DEP_1) | instskip(SKIP_1) | instid1(VALU_DEP_2)
	v_cndmask_b32_e32 v17, 0, v17, vcc_lo
	v_cmp_eq_u32_e32 vcc_lo, 0, v37
	v_cndmask_b32_e64 v44, v17, 0x78, vcc_lo
	s_delay_alu instid0(VALU_DEP_1) | instskip(SKIP_1) | instid1(VALU_DEP_2)
	v_dual_cndmask_b32 v52, v19, v18, vcc_lo :: v_dual_add_nc_u32 v16, 20, v44
	v_add_nc_u32_e32 v45, 19, v44
	v_lshlrev_b64_e64 v[16:17], v16, -1
	s_delay_alu instid0(VALU_DEP_2) | instskip(NEXT) | instid1(VALU_DEP_2)
	v_lshlrev_b64_e64 v[18:19], v45, 1
	v_bfi_b32 v47, v17, 0, 0
	s_delay_alu instid0(VALU_DEP_3) | instskip(SKIP_1) | instid1(VALU_DEP_2)
	v_bfi_b32 v46, v16, 0, v52
	v_lshrrev_b64 v[16:17], v44, v[52:53]
	v_cmp_eq_u64_e64 s7, v[46:47], v[18:19]
	s_delay_alu instid0(VALU_DEP_2)
	v_mov_b64_e32 v[18:19], v[16:17]
	s_and_saveexec_b32 s40, s7
; %bb.12720:                            ;   in Loop: Header=BB6_11188 Depth=2
	v_bfe_u32 v52, v16, 20, 1
	s_delay_alu instid0(VALU_DEP_1) | instskip(NEXT) | instid1(VALU_DEP_1)
	v_add_nc_u64_e32 v[18:19], v[16:17], v[52:53]
	v_add_nc_u64_e32 v[18:19], -1, v[18:19]
; %bb.12721:                            ;   in Loop: Header=BB6_11188 Depth=2
	s_or_b32 exec_lo, exec_lo, s40
	v_add_nc_u32_e32 v17, 0xffffff81, v37
	v_lshrrev_b32_e32 v19, 23, v16
	s_mov_b32 s7, exec_lo
	s_delay_alu instid0(VALU_DEP_2) | instskip(NEXT) | instid1(VALU_DEP_1)
	v_cndmask_b32_e64 v17, v17, 0xffffff82, vcc_lo
	v_add3_u32 v19, v44, v17, v19
	v_and_b32_e32 v17, 0xfffff, v18
                                        ; implicit-def: $vgpr18
	s_delay_alu instid0(VALU_DEP_1) | instskip(NEXT) | instid1(VALU_DEP_1)
	v_dual_add_nc_u32 v37, 6, v19 :: v_dual_add_nc_u32 v52, v17, v16
                                        ; implicit-def: $vgpr16_vgpr17
	v_cmpx_ne_u32_e32 0, v37
	s_xor_b32 s7, exec_lo, s7
; %bb.12722:                            ;   in Loop: Header=BB6_11188 Depth=2
	s_delay_alu instid0(VALU_DEP_2) | instskip(SKIP_1) | instid1(VALU_DEP_1)
	v_cmp_lt_u64_e32 vcc_lo, 0xffffff, v[52:53]
	v_add_nc_u32_e32 v16, 7, v19
	v_cndmask_b32_e32 v18, v37, v16, vcc_lo
	v_cndmask_b32_e64 v16, 0, 1, vcc_lo
	s_delay_alu instid0(VALU_DEP_1)
	v_lshrrev_b64 v[16:17], v16, v[52:53]
; %bb.12723:                            ;   in Loop: Header=BB6_11188 Depth=2
	s_and_not1_saveexec_b32 s7, s7
; %bb.12724:                            ;   in Loop: Header=BB6_11188 Depth=2
	v_mov_b64_e32 v[16:17], v[52:53]
	v_bfe_u32 v18, v52, 23, 1
; %bb.12725:                            ;   in Loop: Header=BB6_11188 Depth=2
	s_or_b32 exec_lo, exec_lo, s7
	s_delay_alu instid0(VALU_DEP_2) | instskip(NEXT) | instid1(VALU_DEP_2)
	v_lshrrev_b64 v[16:17], 20, v[16:17]
	v_cmp_gt_i32_e32 vcc_lo, 16, v18
	v_cmp_ne_u32_e64 s7, 0, v18
                                        ; implicit-def: $vgpr37
	s_delay_alu instid0(VALU_DEP_3) | instskip(NEXT) | instid1(VALU_DEP_1)
	v_dual_cndmask_b32 v17, 0, v17 :: v_dual_cndmask_b32 v16, 7, v16
	v_cmp_ne_u64_e32 vcc_lo, 0, v[16:17]
	s_or_b32 s7, s7, vcc_lo
	s_delay_alu instid0(SALU_CYCLE_1) | instskip(NEXT) | instid1(SALU_CYCLE_1)
	s_and_saveexec_b32 s40, s7
	s_xor_b32 s7, exec_lo, s40
; %bb.12726:                            ;   in Loop: Header=BB6_11188 Depth=2
	v_min_i32_e32 v17, 15, v18
	s_delay_alu instid0(VALU_DEP_1) | instskip(NEXT) | instid1(VALU_DEP_1)
	v_lshl_or_b32 v17, v17, 3, v43
                                        ; implicit-def: $vgpr43
	v_and_or_b32 v37, v16, 7, v17
; %bb.12727:                            ;   in Loop: Header=BB6_11188 Depth=2
	s_and_not1_saveexec_b32 s7, s7
; %bb.12728:                            ;   in Loop: Header=BB6_11188 Depth=2
	v_mov_b32_e32 v37, v43
; %bb.12729:                            ;   in Loop: Header=BB6_11188 Depth=2
	s_or_b32 exec_lo, exec_lo, s7
.LBB6_12730:                            ;   in Loop: Header=BB6_11188 Depth=2
	s_delay_alu instid0(SALU_CYCLE_1)
	s_or_b32 exec_lo, exec_lo, s29
                                        ; implicit-def: $vgpr43
.LBB6_12731:                            ;   in Loop: Header=BB6_11188 Depth=2
	s_and_not1_saveexec_b32 s7, s11
; %bb.12732:                            ;   in Loop: Header=BB6_11188 Depth=2
	v_or_b32_e32 v37, 0x7e, v43
; %bb.12733:                            ;   in Loop: Header=BB6_11188 Depth=2
	s_or_b32 exec_lo, exec_lo, s7
                                        ; implicit-def: $vgpr17
.LBB6_12734:                            ;   in Loop: Header=BB6_11188 Depth=2
	s_and_not1_saveexec_b32 s7, s10
; %bb.12735:                            ;   in Loop: Header=BB6_11188 Depth=2
	v_or_b32_e32 v37, 0x7f, v17
; %bb.12736:                            ;   in Loop: Header=BB6_11188 Depth=2
	s_or_b32 exec_lo, exec_lo, s7
	v_and_b32_e32 v16, 0xff, v36
	v_dual_mov_b32 v18, 0 :: v_dual_mov_b32 v19, 0
	s_mov_b32 s7, exec_lo
	s_delay_alu instid0(VALU_DEP_2)
	v_cmpx_ne_u16_e32 0, v16
	s_cbranch_execz .LBB6_12744
; %bb.12737:                            ;   in Loop: Header=BB6_11188 Depth=2
	v_bfrev_b32_e32 v19, 1
	s_mov_b32 s10, exec_lo
	v_cmpx_ne_u16_e32 0x80, v16
	s_cbranch_execz .LBB6_12743
; %bb.12738:                            ;   in Loop: Header=BB6_11188 Depth=2
	v_and_b32_e32 v17, 0x7f, v36
	v_mov_b32_e32 v19, 0x7f800001
	s_mov_b32 s11, exec_lo
	s_delay_alu instid0(VALU_DEP_2)
	v_cmpx_ne_u32_e32 0x7f, v17
	s_cbranch_execz .LBB6_12742
; %bb.12739:                            ;   in Loop: Header=BB6_11188 Depth=2
	v_dual_lshrrev_b32 v19, 3, v17 :: v_dual_bitop2_b32 v52, 7, v16 bitop3:0x40
	v_cmp_gt_u32_e32 vcc_lo, 8, v17
	s_delay_alu instid0(VALU_DEP_2)
	v_mov_b64_e32 v[16:17], v[52:53]
	s_and_saveexec_b32 s29, vcc_lo
; %bb.12740:                            ;   in Loop: Header=BB6_11188 Depth=2
	v_clz_i32_u32_e32 v16, v52
	s_delay_alu instid0(VALU_DEP_1) | instskip(NEXT) | instid1(VALU_DEP_1)
	v_min_u32_e32 v19, 32, v16
	v_subrev_nc_u32_e32 v16, 28, v19
	s_delay_alu instid0(VALU_DEP_1) | instskip(NEXT) | instid1(VALU_DEP_1)
	v_lshlrev_b64_e32 v[16:17], v16, v[52:53]
	v_dual_sub_nc_u32 v19, 29, v19 :: v_dual_bitop2_b32 v16, 7, v16 bitop3:0x40
; %bb.12741:                            ;   in Loop: Header=BB6_11188 Depth=2
	s_or_b32 exec_lo, exec_lo, s29
	v_lshlrev_b32_e32 v17, 24, v36
	s_delay_alu instid0(VALU_DEP_2) | instskip(NEXT) | instid1(VALU_DEP_3)
	v_lshlrev_b32_e32 v16, 20, v16
	v_lshl_add_u32 v19, v19, 23, 0x3c000000
	s_delay_alu instid0(VALU_DEP_3) | instskip(NEXT) | instid1(VALU_DEP_1)
	v_and_b32_e32 v17, 0x80000000, v17
	v_or3_b32 v19, v16, v17, v19
.LBB6_12742:                            ;   in Loop: Header=BB6_11188 Depth=2
	s_or_b32 exec_lo, exec_lo, s11
.LBB6_12743:                            ;   in Loop: Header=BB6_11188 Depth=2
	s_delay_alu instid0(SALU_CYCLE_1)
	s_or_b32 exec_lo, exec_lo, s10
.LBB6_12744:                            ;   in Loop: Header=BB6_11188 Depth=2
	s_delay_alu instid0(SALU_CYCLE_1) | instskip(SKIP_3) | instid1(VALU_DEP_1)
	s_or_b32 exec_lo, exec_lo, s7
	s_wait_loadcnt_dscnt 0xd0d
	v_and_b32_e32 v16, 0xff, v42
	s_mov_b32 s7, exec_lo
	v_cmpx_ne_u16_e32 0, v16
	s_cbranch_execz .LBB6_12752
; %bb.12745:                            ;   in Loop: Header=BB6_11188 Depth=2
	v_bfrev_b32_e32 v18, 1
	s_mov_b32 s10, exec_lo
	v_cmpx_ne_u16_e32 0x80, v16
	s_cbranch_execz .LBB6_12751
; %bb.12746:                            ;   in Loop: Header=BB6_11188 Depth=2
	v_and_b32_e32 v17, 0x7f, v42
	v_mov_b32_e32 v18, 0x7f800001
	s_mov_b32 s11, exec_lo
	s_delay_alu instid0(VALU_DEP_2)
	v_cmpx_ne_u32_e32 0x7f, v17
	s_cbranch_execz .LBB6_12750
; %bb.12747:                            ;   in Loop: Header=BB6_11188 Depth=2
	v_dual_lshrrev_b32 v18, 3, v17 :: v_dual_bitop2_b32 v52, 7, v16 bitop3:0x40
	v_cmp_gt_u32_e32 vcc_lo, 8, v17
	s_delay_alu instid0(VALU_DEP_2)
	v_mov_b64_e32 v[16:17], v[52:53]
	s_and_saveexec_b32 s29, vcc_lo
; %bb.12748:                            ;   in Loop: Header=BB6_11188 Depth=2
	v_clz_i32_u32_e32 v16, v52
	s_delay_alu instid0(VALU_DEP_1) | instskip(NEXT) | instid1(VALU_DEP_1)
	v_min_u32_e32 v18, 32, v16
	v_subrev_nc_u32_e32 v16, 28, v18
	s_delay_alu instid0(VALU_DEP_1) | instskip(NEXT) | instid1(VALU_DEP_1)
	v_lshlrev_b64_e32 v[16:17], v16, v[52:53]
	v_dual_sub_nc_u32 v18, 29, v18 :: v_dual_bitop2_b32 v16, 7, v16 bitop3:0x40
; %bb.12749:                            ;   in Loop: Header=BB6_11188 Depth=2
	s_or_b32 exec_lo, exec_lo, s29
	s_delay_alu instid0(VALU_DEP_1) | instskip(NEXT) | instid1(VALU_DEP_2)
	v_dual_lshlrev_b32 v17, 24, v42 :: v_dual_lshlrev_b32 v16, 20, v16
	v_lshl_add_u32 v18, v18, 23, 0x3c000000
	s_delay_alu instid0(VALU_DEP_2) | instskip(NEXT) | instid1(VALU_DEP_1)
	v_and_b32_e32 v17, 0x80000000, v17
	v_or3_b32 v18, v16, v17, v18
.LBB6_12750:                            ;   in Loop: Header=BB6_11188 Depth=2
	s_or_b32 exec_lo, exec_lo, s11
.LBB6_12751:                            ;   in Loop: Header=BB6_11188 Depth=2
	s_delay_alu instid0(SALU_CYCLE_1)
	s_or_b32 exec_lo, exec_lo, s10
.LBB6_12752:                            ;   in Loop: Header=BB6_11188 Depth=2
	s_delay_alu instid0(SALU_CYCLE_1) | instskip(NEXT) | instid1(VALU_DEP_1)
	s_or_b32 exec_lo, exec_lo, s7
	v_add_f32_e32 v16, v19, v18
                                        ; implicit-def: $vgpr36
	s_mov_b32 s7, exec_lo
	s_delay_alu instid0(VALU_DEP_1) | instskip(SKIP_1) | instid1(VALU_DEP_2)
	v_and_b32_e32 v52, 0x7f800000, v16
	v_lshrrev_b32_e32 v17, 24, v16
	v_cmpx_ne_u64_e32 0x7f800000, v[52:53]
	s_xor_b32 s10, exec_lo, s7
	s_cbranch_execz .LBB6_12770
; %bb.12753:                            ;   in Loop: Header=BB6_11188 Depth=2
	v_and_b32_e32 v52, 0x7fffffff, v16
	v_and_b32_e32 v42, 0x80, v17
                                        ; implicit-def: $vgpr36
	s_mov_b32 s7, exec_lo
	s_delay_alu instid0(VALU_DEP_2)
	v_cmpx_gt_u64_e32 0x43e00001, v[52:53]
	s_xor_b32 s11, exec_lo, s7
	s_cbranch_execz .LBB6_12767
; %bb.12754:                            ;   in Loop: Header=BB6_11188 Depth=2
	v_mov_b32_e32 v36, 0
	s_mov_b32 s29, exec_lo
	v_cmpx_ne_u32_e32 0, v16
	s_cbranch_execz .LBB6_12766
; %bb.12755:                            ;   in Loop: Header=BB6_11188 Depth=2
	v_bfe_u32 v36, v16, 23, 8
	v_and_b32_e32 v18, 0x7fffff, v16
	s_delay_alu instid0(VALU_DEP_2) | instskip(NEXT) | instid1(VALU_DEP_2)
	v_cmp_gt_u32_e32 vcc_lo, 0x7a, v36
	v_or_b32_e32 v19, 0x800000, v18
	v_sub_nc_u32_e32 v17, 0x79, v36
	s_delay_alu instid0(VALU_DEP_1) | instskip(SKIP_1) | instid1(VALU_DEP_2)
	v_cndmask_b32_e32 v17, 0, v17, vcc_lo
	v_cmp_eq_u32_e32 vcc_lo, 0, v36
	v_cndmask_b32_e64 v43, v17, 0x78, vcc_lo
	s_delay_alu instid0(VALU_DEP_1) | instskip(SKIP_1) | instid1(VALU_DEP_2)
	v_dual_cndmask_b32 v52, v19, v18, vcc_lo :: v_dual_add_nc_u32 v16, 20, v43
	v_add_nc_u32_e32 v44, 19, v43
	v_lshlrev_b64_e64 v[16:17], v16, -1
	s_delay_alu instid0(VALU_DEP_2) | instskip(NEXT) | instid1(VALU_DEP_2)
	v_lshlrev_b64_e64 v[18:19], v44, 1
	v_bfi_b32 v45, v17, 0, 0
	s_delay_alu instid0(VALU_DEP_3) | instskip(SKIP_1) | instid1(VALU_DEP_2)
	v_bfi_b32 v44, v16, 0, v52
	v_lshrrev_b64 v[16:17], v43, v[52:53]
	v_cmp_eq_u64_e64 s7, v[44:45], v[18:19]
	s_delay_alu instid0(VALU_DEP_2)
	v_mov_b64_e32 v[18:19], v[16:17]
	s_and_saveexec_b32 s40, s7
; %bb.12756:                            ;   in Loop: Header=BB6_11188 Depth=2
	v_bfe_u32 v52, v16, 20, 1
	s_delay_alu instid0(VALU_DEP_1) | instskip(NEXT) | instid1(VALU_DEP_1)
	v_add_nc_u64_e32 v[18:19], v[16:17], v[52:53]
	v_add_nc_u64_e32 v[18:19], -1, v[18:19]
; %bb.12757:                            ;   in Loop: Header=BB6_11188 Depth=2
	s_or_b32 exec_lo, exec_lo, s40
	v_add_nc_u32_e32 v17, 0xffffff81, v36
	v_lshrrev_b32_e32 v19, 23, v16
	s_mov_b32 s7, exec_lo
	s_delay_alu instid0(VALU_DEP_2) | instskip(NEXT) | instid1(VALU_DEP_1)
	v_cndmask_b32_e64 v17, v17, 0xffffff82, vcc_lo
	v_add3_u32 v19, v43, v17, v19
	v_and_b32_e32 v17, 0xfffff, v18
                                        ; implicit-def: $vgpr18
	s_delay_alu instid0(VALU_DEP_1) | instskip(NEXT) | instid1(VALU_DEP_1)
	v_dual_add_nc_u32 v36, 6, v19 :: v_dual_add_nc_u32 v52, v17, v16
                                        ; implicit-def: $vgpr16_vgpr17
	v_cmpx_ne_u32_e32 0, v36
	s_xor_b32 s7, exec_lo, s7
; %bb.12758:                            ;   in Loop: Header=BB6_11188 Depth=2
	s_delay_alu instid0(VALU_DEP_2) | instskip(SKIP_1) | instid1(VALU_DEP_1)
	v_cmp_lt_u64_e32 vcc_lo, 0xffffff, v[52:53]
	v_add_nc_u32_e32 v16, 7, v19
	v_cndmask_b32_e32 v18, v36, v16, vcc_lo
	v_cndmask_b32_e64 v16, 0, 1, vcc_lo
	s_delay_alu instid0(VALU_DEP_1)
	v_lshrrev_b64 v[16:17], v16, v[52:53]
; %bb.12759:                            ;   in Loop: Header=BB6_11188 Depth=2
	s_and_not1_saveexec_b32 s7, s7
; %bb.12760:                            ;   in Loop: Header=BB6_11188 Depth=2
	v_mov_b64_e32 v[16:17], v[52:53]
	v_bfe_u32 v18, v52, 23, 1
; %bb.12761:                            ;   in Loop: Header=BB6_11188 Depth=2
	s_or_b32 exec_lo, exec_lo, s7
	s_delay_alu instid0(VALU_DEP_2) | instskip(NEXT) | instid1(VALU_DEP_2)
	v_lshrrev_b64 v[16:17], 20, v[16:17]
	v_cmp_gt_i32_e32 vcc_lo, 16, v18
	v_cmp_ne_u32_e64 s7, 0, v18
                                        ; implicit-def: $vgpr36
	s_delay_alu instid0(VALU_DEP_3) | instskip(NEXT) | instid1(VALU_DEP_1)
	v_dual_cndmask_b32 v17, 0, v17 :: v_dual_cndmask_b32 v16, 7, v16
	v_cmp_ne_u64_e32 vcc_lo, 0, v[16:17]
	s_or_b32 s7, s7, vcc_lo
	s_delay_alu instid0(SALU_CYCLE_1) | instskip(NEXT) | instid1(SALU_CYCLE_1)
	s_and_saveexec_b32 s40, s7
	s_xor_b32 s7, exec_lo, s40
; %bb.12762:                            ;   in Loop: Header=BB6_11188 Depth=2
	v_min_i32_e32 v17, 15, v18
	s_delay_alu instid0(VALU_DEP_1) | instskip(NEXT) | instid1(VALU_DEP_1)
	v_lshl_or_b32 v17, v17, 3, v42
                                        ; implicit-def: $vgpr42
	v_and_or_b32 v36, v16, 7, v17
; %bb.12763:                            ;   in Loop: Header=BB6_11188 Depth=2
	s_and_not1_saveexec_b32 s7, s7
; %bb.12764:                            ;   in Loop: Header=BB6_11188 Depth=2
	v_mov_b32_e32 v36, v42
; %bb.12765:                            ;   in Loop: Header=BB6_11188 Depth=2
	s_or_b32 exec_lo, exec_lo, s7
.LBB6_12766:                            ;   in Loop: Header=BB6_11188 Depth=2
	s_delay_alu instid0(SALU_CYCLE_1)
	s_or_b32 exec_lo, exec_lo, s29
                                        ; implicit-def: $vgpr42
.LBB6_12767:                            ;   in Loop: Header=BB6_11188 Depth=2
	s_and_not1_saveexec_b32 s7, s11
; %bb.12768:                            ;   in Loop: Header=BB6_11188 Depth=2
	v_or_b32_e32 v36, 0x7e, v42
; %bb.12769:                            ;   in Loop: Header=BB6_11188 Depth=2
	s_or_b32 exec_lo, exec_lo, s7
                                        ; implicit-def: $vgpr17
.LBB6_12770:                            ;   in Loop: Header=BB6_11188 Depth=2
	s_and_not1_saveexec_b32 s7, s10
; %bb.12771:                            ;   in Loop: Header=BB6_11188 Depth=2
	v_or_b32_e32 v36, 0x7f, v17
; %bb.12772:                            ;   in Loop: Header=BB6_11188 Depth=2
	s_or_b32 exec_lo, exec_lo, s7
	v_and_b32_e32 v16, 0xff, v34
	v_dual_mov_b32 v18, 0 :: v_dual_mov_b32 v19, 0
	s_mov_b32 s7, exec_lo
	s_delay_alu instid0(VALU_DEP_2)
	v_cmpx_ne_u16_e32 0, v16
	s_cbranch_execz .LBB6_12780
; %bb.12773:                            ;   in Loop: Header=BB6_11188 Depth=2
	v_bfrev_b32_e32 v19, 1
	s_mov_b32 s10, exec_lo
	v_cmpx_ne_u16_e32 0x80, v16
	s_cbranch_execz .LBB6_12779
; %bb.12774:                            ;   in Loop: Header=BB6_11188 Depth=2
	v_and_b32_e32 v17, 0x7f, v34
	v_mov_b32_e32 v19, 0x7f800001
	s_mov_b32 s11, exec_lo
	s_delay_alu instid0(VALU_DEP_2)
	v_cmpx_ne_u32_e32 0x7f, v17
	s_cbranch_execz .LBB6_12778
; %bb.12775:                            ;   in Loop: Header=BB6_11188 Depth=2
	v_dual_lshrrev_b32 v19, 3, v17 :: v_dual_bitop2_b32 v52, 7, v16 bitop3:0x40
	v_cmp_gt_u32_e32 vcc_lo, 8, v17
	s_delay_alu instid0(VALU_DEP_2)
	v_mov_b64_e32 v[16:17], v[52:53]
	s_and_saveexec_b32 s29, vcc_lo
; %bb.12776:                            ;   in Loop: Header=BB6_11188 Depth=2
	v_clz_i32_u32_e32 v16, v52
	s_delay_alu instid0(VALU_DEP_1) | instskip(NEXT) | instid1(VALU_DEP_1)
	v_min_u32_e32 v19, 32, v16
	v_subrev_nc_u32_e32 v16, 28, v19
	s_delay_alu instid0(VALU_DEP_1) | instskip(NEXT) | instid1(VALU_DEP_1)
	v_lshlrev_b64_e32 v[16:17], v16, v[52:53]
	v_dual_sub_nc_u32 v19, 29, v19 :: v_dual_bitop2_b32 v16, 7, v16 bitop3:0x40
; %bb.12777:                            ;   in Loop: Header=BB6_11188 Depth=2
	s_or_b32 exec_lo, exec_lo, s29
	s_delay_alu instid0(VALU_DEP_1) | instskip(NEXT) | instid1(VALU_DEP_2)
	v_dual_lshlrev_b32 v17, 24, v34 :: v_dual_lshlrev_b32 v16, 20, v16
	v_lshl_add_u32 v19, v19, 23, 0x3c000000
	s_delay_alu instid0(VALU_DEP_2) | instskip(NEXT) | instid1(VALU_DEP_1)
	v_and_b32_e32 v17, 0x80000000, v17
	v_or3_b32 v19, v16, v17, v19
.LBB6_12778:                            ;   in Loop: Header=BB6_11188 Depth=2
	s_or_b32 exec_lo, exec_lo, s11
.LBB6_12779:                            ;   in Loop: Header=BB6_11188 Depth=2
	s_delay_alu instid0(SALU_CYCLE_1)
	s_or_b32 exec_lo, exec_lo, s10
.LBB6_12780:                            ;   in Loop: Header=BB6_11188 Depth=2
	s_delay_alu instid0(SALU_CYCLE_1) | instskip(SKIP_3) | instid1(VALU_DEP_1)
	s_or_b32 exec_lo, exec_lo, s7
	s_wait_loadcnt_dscnt 0xc0c
	v_and_b32_e32 v16, 0xff, v40
	s_mov_b32 s7, exec_lo
	v_cmpx_ne_u16_e32 0, v16
	s_cbranch_execz .LBB6_12788
; %bb.12781:                            ;   in Loop: Header=BB6_11188 Depth=2
	v_bfrev_b32_e32 v18, 1
	s_mov_b32 s10, exec_lo
	v_cmpx_ne_u16_e32 0x80, v16
	s_cbranch_execz .LBB6_12787
; %bb.12782:                            ;   in Loop: Header=BB6_11188 Depth=2
	v_and_b32_e32 v17, 0x7f, v40
	v_mov_b32_e32 v18, 0x7f800001
	s_mov_b32 s11, exec_lo
	s_delay_alu instid0(VALU_DEP_2)
	v_cmpx_ne_u32_e32 0x7f, v17
	s_cbranch_execz .LBB6_12786
; %bb.12783:                            ;   in Loop: Header=BB6_11188 Depth=2
	v_dual_lshrrev_b32 v18, 3, v17 :: v_dual_bitop2_b32 v52, 7, v16 bitop3:0x40
	v_cmp_gt_u32_e32 vcc_lo, 8, v17
	s_delay_alu instid0(VALU_DEP_2)
	v_mov_b64_e32 v[16:17], v[52:53]
	s_and_saveexec_b32 s29, vcc_lo
; %bb.12784:                            ;   in Loop: Header=BB6_11188 Depth=2
	v_clz_i32_u32_e32 v16, v52
	s_delay_alu instid0(VALU_DEP_1) | instskip(NEXT) | instid1(VALU_DEP_1)
	v_min_u32_e32 v18, 32, v16
	v_subrev_nc_u32_e32 v16, 28, v18
	s_delay_alu instid0(VALU_DEP_1) | instskip(NEXT) | instid1(VALU_DEP_1)
	v_lshlrev_b64_e32 v[16:17], v16, v[52:53]
	v_dual_sub_nc_u32 v18, 29, v18 :: v_dual_bitop2_b32 v16, 7, v16 bitop3:0x40
; %bb.12785:                            ;   in Loop: Header=BB6_11188 Depth=2
	s_or_b32 exec_lo, exec_lo, s29
	v_lshlrev_b32_e32 v17, 24, v40
	s_delay_alu instid0(VALU_DEP_2) | instskip(NEXT) | instid1(VALU_DEP_3)
	v_lshlrev_b32_e32 v16, 20, v16
	v_lshl_add_u32 v18, v18, 23, 0x3c000000
	s_delay_alu instid0(VALU_DEP_3) | instskip(NEXT) | instid1(VALU_DEP_1)
	v_and_b32_e32 v17, 0x80000000, v17
	v_or3_b32 v18, v16, v17, v18
.LBB6_12786:                            ;   in Loop: Header=BB6_11188 Depth=2
	s_or_b32 exec_lo, exec_lo, s11
.LBB6_12787:                            ;   in Loop: Header=BB6_11188 Depth=2
	s_delay_alu instid0(SALU_CYCLE_1)
	s_or_b32 exec_lo, exec_lo, s10
.LBB6_12788:                            ;   in Loop: Header=BB6_11188 Depth=2
	s_delay_alu instid0(SALU_CYCLE_1) | instskip(NEXT) | instid1(VALU_DEP_1)
	s_or_b32 exec_lo, exec_lo, s7
	v_add_f32_e32 v16, v19, v18
                                        ; implicit-def: $vgpr34
	s_mov_b32 s7, exec_lo
	s_delay_alu instid0(VALU_DEP_1) | instskip(SKIP_1) | instid1(VALU_DEP_2)
	v_and_b32_e32 v52, 0x7f800000, v16
	v_lshrrev_b32_e32 v17, 24, v16
	v_cmpx_ne_u64_e32 0x7f800000, v[52:53]
	s_xor_b32 s10, exec_lo, s7
	s_cbranch_execz .LBB6_12806
; %bb.12789:                            ;   in Loop: Header=BB6_11188 Depth=2
	v_and_b32_e32 v52, 0x7fffffff, v16
	v_and_b32_e32 v40, 0x80, v17
                                        ; implicit-def: $vgpr34
	s_mov_b32 s7, exec_lo
	s_delay_alu instid0(VALU_DEP_2)
	v_cmpx_gt_u64_e32 0x43e00001, v[52:53]
	s_xor_b32 s11, exec_lo, s7
	s_cbranch_execz .LBB6_12803
; %bb.12790:                            ;   in Loop: Header=BB6_11188 Depth=2
	v_mov_b32_e32 v34, 0
	s_mov_b32 s29, exec_lo
	v_cmpx_ne_u32_e32 0, v16
	s_cbranch_execz .LBB6_12802
; %bb.12791:                            ;   in Loop: Header=BB6_11188 Depth=2
	v_bfe_u32 v34, v16, 23, 8
	v_and_b32_e32 v18, 0x7fffff, v16
	s_delay_alu instid0(VALU_DEP_2) | instskip(SKIP_1) | instid1(VALU_DEP_3)
	v_sub_nc_u32_e32 v17, 0x79, v34
	v_cmp_gt_u32_e32 vcc_lo, 0x7a, v34
	v_or_b32_e32 v19, 0x800000, v18
	s_delay_alu instid0(VALU_DEP_3) | instskip(SKIP_1) | instid1(VALU_DEP_2)
	v_cndmask_b32_e32 v17, 0, v17, vcc_lo
	v_cmp_eq_u32_e32 vcc_lo, 0, v34
	v_cndmask_b32_e64 v42, v17, 0x78, vcc_lo
	s_delay_alu instid0(VALU_DEP_4) | instskip(NEXT) | instid1(VALU_DEP_2)
	v_cndmask_b32_e32 v52, v19, v18, vcc_lo
	v_dual_add_nc_u32 v16, 20, v42 :: v_dual_add_nc_u32 v43, 19, v42
	s_delay_alu instid0(VALU_DEP_1) | instskip(NEXT) | instid1(VALU_DEP_2)
	v_lshlrev_b64_e64 v[16:17], v16, -1
	v_lshlrev_b64_e64 v[18:19], v43, 1
	s_delay_alu instid0(VALU_DEP_2) | instskip(NEXT) | instid1(VALU_DEP_3)
	v_bfi_b32 v45, v17, 0, 0
	v_bfi_b32 v44, v16, 0, v52
	v_lshrrev_b64 v[16:17], v42, v[52:53]
	s_delay_alu instid0(VALU_DEP_2) | instskip(NEXT) | instid1(VALU_DEP_2)
	v_cmp_eq_u64_e64 s7, v[44:45], v[18:19]
	v_mov_b64_e32 v[18:19], v[16:17]
	s_and_saveexec_b32 s40, s7
; %bb.12792:                            ;   in Loop: Header=BB6_11188 Depth=2
	v_bfe_u32 v52, v16, 20, 1
	s_delay_alu instid0(VALU_DEP_1) | instskip(NEXT) | instid1(VALU_DEP_1)
	v_add_nc_u64_e32 v[18:19], v[16:17], v[52:53]
	v_add_nc_u64_e32 v[18:19], -1, v[18:19]
; %bb.12793:                            ;   in Loop: Header=BB6_11188 Depth=2
	s_or_b32 exec_lo, exec_lo, s40
	v_add_nc_u32_e32 v17, 0xffffff81, v34
	v_lshrrev_b32_e32 v19, 23, v16
	s_mov_b32 s7, exec_lo
	s_delay_alu instid0(VALU_DEP_2) | instskip(NEXT) | instid1(VALU_DEP_1)
	v_cndmask_b32_e64 v17, v17, 0xffffff82, vcc_lo
	v_add3_u32 v19, v42, v17, v19
	v_and_b32_e32 v17, 0xfffff, v18
                                        ; implicit-def: $vgpr18
	s_delay_alu instid0(VALU_DEP_1) | instskip(NEXT) | instid1(VALU_DEP_1)
	v_dual_add_nc_u32 v34, 6, v19 :: v_dual_add_nc_u32 v52, v17, v16
                                        ; implicit-def: $vgpr16_vgpr17
	v_cmpx_ne_u32_e32 0, v34
	s_xor_b32 s7, exec_lo, s7
; %bb.12794:                            ;   in Loop: Header=BB6_11188 Depth=2
	s_delay_alu instid0(VALU_DEP_2) | instskip(SKIP_1) | instid1(VALU_DEP_1)
	v_cmp_lt_u64_e32 vcc_lo, 0xffffff, v[52:53]
	v_add_nc_u32_e32 v16, 7, v19
	v_cndmask_b32_e32 v18, v34, v16, vcc_lo
	v_cndmask_b32_e64 v16, 0, 1, vcc_lo
	s_delay_alu instid0(VALU_DEP_1)
	v_lshrrev_b64 v[16:17], v16, v[52:53]
; %bb.12795:                            ;   in Loop: Header=BB6_11188 Depth=2
	s_and_not1_saveexec_b32 s7, s7
; %bb.12796:                            ;   in Loop: Header=BB6_11188 Depth=2
	v_mov_b64_e32 v[16:17], v[52:53]
	v_bfe_u32 v18, v52, 23, 1
; %bb.12797:                            ;   in Loop: Header=BB6_11188 Depth=2
	s_or_b32 exec_lo, exec_lo, s7
	s_delay_alu instid0(VALU_DEP_2) | instskip(NEXT) | instid1(VALU_DEP_2)
	v_lshrrev_b64 v[16:17], 20, v[16:17]
	v_cmp_gt_i32_e32 vcc_lo, 16, v18
	v_cmp_ne_u32_e64 s7, 0, v18
                                        ; implicit-def: $vgpr34
	s_delay_alu instid0(VALU_DEP_3) | instskip(NEXT) | instid1(VALU_DEP_1)
	v_dual_cndmask_b32 v17, 0, v17 :: v_dual_cndmask_b32 v16, 7, v16
	v_cmp_ne_u64_e32 vcc_lo, 0, v[16:17]
	s_or_b32 s7, s7, vcc_lo
	s_delay_alu instid0(SALU_CYCLE_1) | instskip(NEXT) | instid1(SALU_CYCLE_1)
	s_and_saveexec_b32 s40, s7
	s_xor_b32 s7, exec_lo, s40
; %bb.12798:                            ;   in Loop: Header=BB6_11188 Depth=2
	v_min_i32_e32 v17, 15, v18
	s_delay_alu instid0(VALU_DEP_1) | instskip(NEXT) | instid1(VALU_DEP_1)
	v_lshl_or_b32 v17, v17, 3, v40
                                        ; implicit-def: $vgpr40
	v_and_or_b32 v34, v16, 7, v17
; %bb.12799:                            ;   in Loop: Header=BB6_11188 Depth=2
	s_and_not1_saveexec_b32 s7, s7
; %bb.12800:                            ;   in Loop: Header=BB6_11188 Depth=2
	v_mov_b32_e32 v34, v40
; %bb.12801:                            ;   in Loop: Header=BB6_11188 Depth=2
	s_or_b32 exec_lo, exec_lo, s7
.LBB6_12802:                            ;   in Loop: Header=BB6_11188 Depth=2
	s_delay_alu instid0(SALU_CYCLE_1)
	s_or_b32 exec_lo, exec_lo, s29
                                        ; implicit-def: $vgpr40
.LBB6_12803:                            ;   in Loop: Header=BB6_11188 Depth=2
	s_and_not1_saveexec_b32 s7, s11
; %bb.12804:                            ;   in Loop: Header=BB6_11188 Depth=2
	v_or_b32_e32 v34, 0x7e, v40
; %bb.12805:                            ;   in Loop: Header=BB6_11188 Depth=2
	s_or_b32 exec_lo, exec_lo, s7
                                        ; implicit-def: $vgpr17
.LBB6_12806:                            ;   in Loop: Header=BB6_11188 Depth=2
	s_and_not1_saveexec_b32 s7, s10
; %bb.12807:                            ;   in Loop: Header=BB6_11188 Depth=2
	v_or_b32_e32 v34, 0x7f, v17
; %bb.12808:                            ;   in Loop: Header=BB6_11188 Depth=2
	s_or_b32 exec_lo, exec_lo, s7
	v_and_b32_e32 v16, 0xff, v31
	v_dual_mov_b32 v18, 0 :: v_dual_mov_b32 v19, 0
	s_mov_b32 s7, exec_lo
	s_delay_alu instid0(VALU_DEP_2)
	v_cmpx_ne_u16_e32 0, v16
	s_cbranch_execz .LBB6_12816
; %bb.12809:                            ;   in Loop: Header=BB6_11188 Depth=2
	v_bfrev_b32_e32 v19, 1
	s_mov_b32 s10, exec_lo
	v_cmpx_ne_u16_e32 0x80, v16
	s_cbranch_execz .LBB6_12815
; %bb.12810:                            ;   in Loop: Header=BB6_11188 Depth=2
	v_and_b32_e32 v17, 0x7f, v31
	v_mov_b32_e32 v19, 0x7f800001
	s_mov_b32 s11, exec_lo
	s_delay_alu instid0(VALU_DEP_2)
	v_cmpx_ne_u32_e32 0x7f, v17
	s_cbranch_execz .LBB6_12814
; %bb.12811:                            ;   in Loop: Header=BB6_11188 Depth=2
	v_dual_lshrrev_b32 v19, 3, v17 :: v_dual_bitop2_b32 v52, 7, v16 bitop3:0x40
	v_cmp_gt_u32_e32 vcc_lo, 8, v17
	s_delay_alu instid0(VALU_DEP_2)
	v_mov_b64_e32 v[16:17], v[52:53]
	s_and_saveexec_b32 s29, vcc_lo
; %bb.12812:                            ;   in Loop: Header=BB6_11188 Depth=2
	v_clz_i32_u32_e32 v16, v52
	s_delay_alu instid0(VALU_DEP_1) | instskip(NEXT) | instid1(VALU_DEP_1)
	v_min_u32_e32 v19, 32, v16
	v_subrev_nc_u32_e32 v16, 28, v19
	s_delay_alu instid0(VALU_DEP_1) | instskip(NEXT) | instid1(VALU_DEP_1)
	v_lshlrev_b64_e32 v[16:17], v16, v[52:53]
	v_dual_sub_nc_u32 v19, 29, v19 :: v_dual_bitop2_b32 v16, 7, v16 bitop3:0x40
; %bb.12813:                            ;   in Loop: Header=BB6_11188 Depth=2
	s_or_b32 exec_lo, exec_lo, s29
	s_delay_alu instid0(VALU_DEP_1) | instskip(NEXT) | instid1(VALU_DEP_2)
	v_dual_lshlrev_b32 v17, 24, v31 :: v_dual_lshlrev_b32 v16, 20, v16
	v_lshl_add_u32 v19, v19, 23, 0x3c000000
	s_delay_alu instid0(VALU_DEP_2) | instskip(NEXT) | instid1(VALU_DEP_1)
	v_and_b32_e32 v17, 0x80000000, v17
	v_or3_b32 v19, v16, v17, v19
.LBB6_12814:                            ;   in Loop: Header=BB6_11188 Depth=2
	s_or_b32 exec_lo, exec_lo, s11
.LBB6_12815:                            ;   in Loop: Header=BB6_11188 Depth=2
	s_delay_alu instid0(SALU_CYCLE_1)
	s_or_b32 exec_lo, exec_lo, s10
.LBB6_12816:                            ;   in Loop: Header=BB6_11188 Depth=2
	s_delay_alu instid0(SALU_CYCLE_1) | instskip(SKIP_3) | instid1(VALU_DEP_1)
	s_or_b32 exec_lo, exec_lo, s7
	s_wait_loadcnt_dscnt 0xb0b
	v_and_b32_e32 v16, 0xff, v118
	s_mov_b32 s7, exec_lo
	v_cmpx_ne_u16_e32 0, v16
	s_cbranch_execz .LBB6_12824
; %bb.12817:                            ;   in Loop: Header=BB6_11188 Depth=2
	v_bfrev_b32_e32 v18, 1
	s_mov_b32 s10, exec_lo
	v_cmpx_ne_u16_e32 0x80, v16
	s_cbranch_execz .LBB6_12823
; %bb.12818:                            ;   in Loop: Header=BB6_11188 Depth=2
	v_and_b32_e32 v17, 0x7f, v118
	v_mov_b32_e32 v18, 0x7f800001
	s_mov_b32 s11, exec_lo
	s_delay_alu instid0(VALU_DEP_2)
	v_cmpx_ne_u32_e32 0x7f, v17
	s_cbranch_execz .LBB6_12822
; %bb.12819:                            ;   in Loop: Header=BB6_11188 Depth=2
	v_dual_lshrrev_b32 v18, 3, v17 :: v_dual_bitop2_b32 v52, 7, v16 bitop3:0x40
	v_cmp_gt_u32_e32 vcc_lo, 8, v17
	s_delay_alu instid0(VALU_DEP_2)
	v_mov_b64_e32 v[16:17], v[52:53]
	s_and_saveexec_b32 s29, vcc_lo
; %bb.12820:                            ;   in Loop: Header=BB6_11188 Depth=2
	v_clz_i32_u32_e32 v16, v52
	s_delay_alu instid0(VALU_DEP_1) | instskip(NEXT) | instid1(VALU_DEP_1)
	v_min_u32_e32 v18, 32, v16
	v_subrev_nc_u32_e32 v16, 28, v18
	s_delay_alu instid0(VALU_DEP_1) | instskip(NEXT) | instid1(VALU_DEP_1)
	v_lshlrev_b64_e32 v[16:17], v16, v[52:53]
	v_dual_sub_nc_u32 v18, 29, v18 :: v_dual_bitop2_b32 v16, 7, v16 bitop3:0x40
; %bb.12821:                            ;   in Loop: Header=BB6_11188 Depth=2
	s_or_b32 exec_lo, exec_lo, s29
	s_delay_alu instid0(VALU_DEP_1) | instskip(NEXT) | instid1(VALU_DEP_2)
	v_dual_lshlrev_b32 v17, 24, v118 :: v_dual_lshlrev_b32 v16, 20, v16
	v_lshl_add_u32 v18, v18, 23, 0x3c000000
	s_delay_alu instid0(VALU_DEP_2) | instskip(NEXT) | instid1(VALU_DEP_1)
	v_and_b32_e32 v17, 0x80000000, v17
	v_or3_b32 v18, v16, v17, v18
.LBB6_12822:                            ;   in Loop: Header=BB6_11188 Depth=2
	s_or_b32 exec_lo, exec_lo, s11
.LBB6_12823:                            ;   in Loop: Header=BB6_11188 Depth=2
	s_delay_alu instid0(SALU_CYCLE_1)
	s_or_b32 exec_lo, exec_lo, s10
.LBB6_12824:                            ;   in Loop: Header=BB6_11188 Depth=2
	s_delay_alu instid0(SALU_CYCLE_1) | instskip(NEXT) | instid1(VALU_DEP_1)
	s_or_b32 exec_lo, exec_lo, s7
	v_add_f32_e32 v16, v19, v18
                                        ; implicit-def: $vgpr31
	s_mov_b32 s7, exec_lo
	s_delay_alu instid0(VALU_DEP_1) | instskip(SKIP_1) | instid1(VALU_DEP_2)
	v_and_b32_e32 v52, 0x7f800000, v16
	v_lshrrev_b32_e32 v17, 24, v16
	v_cmpx_ne_u64_e32 0x7f800000, v[52:53]
	s_xor_b32 s10, exec_lo, s7
	s_cbranch_execz .LBB6_12842
; %bb.12825:                            ;   in Loop: Header=BB6_11188 Depth=2
	v_and_b32_e32 v52, 0x7fffffff, v16
	v_and_b32_e32 v118, 0x80, v17
                                        ; implicit-def: $vgpr31
	s_mov_b32 s7, exec_lo
	s_delay_alu instid0(VALU_DEP_2)
	v_cmpx_gt_u64_e32 0x43e00001, v[52:53]
	s_xor_b32 s11, exec_lo, s7
	s_cbranch_execz .LBB6_12839
; %bb.12826:                            ;   in Loop: Header=BB6_11188 Depth=2
	v_mov_b32_e32 v31, 0
	s_mov_b32 s29, exec_lo
	v_cmpx_ne_u32_e32 0, v16
	s_cbranch_execz .LBB6_12838
; %bb.12827:                            ;   in Loop: Header=BB6_11188 Depth=2
	v_bfe_u32 v31, v16, 23, 8
	v_and_b32_e32 v18, 0x7fffff, v16
	s_delay_alu instid0(VALU_DEP_2) | instskip(NEXT) | instid1(VALU_DEP_2)
	v_cmp_gt_u32_e32 vcc_lo, 0x7a, v31
	v_or_b32_e32 v19, 0x800000, v18
	v_sub_nc_u32_e32 v17, 0x79, v31
	s_delay_alu instid0(VALU_DEP_1) | instskip(SKIP_1) | instid1(VALU_DEP_2)
	v_cndmask_b32_e32 v17, 0, v17, vcc_lo
	v_cmp_eq_u32_e32 vcc_lo, 0, v31
	v_cndmask_b32_e64 v40, v17, 0x78, vcc_lo
	s_delay_alu instid0(VALU_DEP_1) | instskip(SKIP_1) | instid1(VALU_DEP_2)
	v_dual_cndmask_b32 v52, v19, v18, vcc_lo :: v_dual_add_nc_u32 v16, 20, v40
	v_add_nc_u32_e32 v42, 19, v40
	v_lshlrev_b64_e64 v[16:17], v16, -1
	s_delay_alu instid0(VALU_DEP_2) | instskip(NEXT) | instid1(VALU_DEP_2)
	v_lshlrev_b64_e64 v[18:19], v42, 1
	v_bfi_b32 v43, v17, 0, 0
	s_delay_alu instid0(VALU_DEP_3) | instskip(SKIP_1) | instid1(VALU_DEP_2)
	v_bfi_b32 v42, v16, 0, v52
	v_lshrrev_b64 v[16:17], v40, v[52:53]
	v_cmp_eq_u64_e64 s7, v[42:43], v[18:19]
	s_delay_alu instid0(VALU_DEP_2)
	v_mov_b64_e32 v[18:19], v[16:17]
	s_and_saveexec_b32 s40, s7
; %bb.12828:                            ;   in Loop: Header=BB6_11188 Depth=2
	v_bfe_u32 v52, v16, 20, 1
	s_delay_alu instid0(VALU_DEP_1) | instskip(NEXT) | instid1(VALU_DEP_1)
	v_add_nc_u64_e32 v[18:19], v[16:17], v[52:53]
	v_add_nc_u64_e32 v[18:19], -1, v[18:19]
; %bb.12829:                            ;   in Loop: Header=BB6_11188 Depth=2
	s_or_b32 exec_lo, exec_lo, s40
	v_add_nc_u32_e32 v17, 0xffffff81, v31
	v_lshrrev_b32_e32 v19, 23, v16
	s_mov_b32 s7, exec_lo
	s_delay_alu instid0(VALU_DEP_2) | instskip(NEXT) | instid1(VALU_DEP_1)
	v_cndmask_b32_e64 v17, v17, 0xffffff82, vcc_lo
	v_add3_u32 v19, v40, v17, v19
	v_and_b32_e32 v17, 0xfffff, v18
                                        ; implicit-def: $vgpr18
	s_delay_alu instid0(VALU_DEP_1) | instskip(NEXT) | instid1(VALU_DEP_1)
	v_dual_add_nc_u32 v31, 6, v19 :: v_dual_add_nc_u32 v52, v17, v16
                                        ; implicit-def: $vgpr16_vgpr17
	v_cmpx_ne_u32_e32 0, v31
	s_xor_b32 s7, exec_lo, s7
; %bb.12830:                            ;   in Loop: Header=BB6_11188 Depth=2
	s_delay_alu instid0(VALU_DEP_2) | instskip(SKIP_1) | instid1(VALU_DEP_1)
	v_cmp_lt_u64_e32 vcc_lo, 0xffffff, v[52:53]
	v_add_nc_u32_e32 v16, 7, v19
	v_cndmask_b32_e32 v18, v31, v16, vcc_lo
	v_cndmask_b32_e64 v16, 0, 1, vcc_lo
	s_delay_alu instid0(VALU_DEP_1)
	v_lshrrev_b64 v[16:17], v16, v[52:53]
; %bb.12831:                            ;   in Loop: Header=BB6_11188 Depth=2
	s_and_not1_saveexec_b32 s7, s7
; %bb.12832:                            ;   in Loop: Header=BB6_11188 Depth=2
	v_mov_b64_e32 v[16:17], v[52:53]
	v_bfe_u32 v18, v52, 23, 1
; %bb.12833:                            ;   in Loop: Header=BB6_11188 Depth=2
	s_or_b32 exec_lo, exec_lo, s7
	s_delay_alu instid0(VALU_DEP_2) | instskip(NEXT) | instid1(VALU_DEP_2)
	v_lshrrev_b64 v[16:17], 20, v[16:17]
	v_cmp_gt_i32_e32 vcc_lo, 16, v18
	v_cmp_ne_u32_e64 s7, 0, v18
                                        ; implicit-def: $vgpr31
	s_delay_alu instid0(VALU_DEP_3) | instskip(NEXT) | instid1(VALU_DEP_1)
	v_dual_cndmask_b32 v17, 0, v17 :: v_dual_cndmask_b32 v16, 7, v16
	v_cmp_ne_u64_e32 vcc_lo, 0, v[16:17]
	s_or_b32 s7, s7, vcc_lo
	s_delay_alu instid0(SALU_CYCLE_1) | instskip(NEXT) | instid1(SALU_CYCLE_1)
	s_and_saveexec_b32 s40, s7
	s_xor_b32 s7, exec_lo, s40
; %bb.12834:                            ;   in Loop: Header=BB6_11188 Depth=2
	v_min_i32_e32 v17, 15, v18
	s_delay_alu instid0(VALU_DEP_1) | instskip(NEXT) | instid1(VALU_DEP_1)
	v_lshl_or_b32 v17, v17, 3, v118
                                        ; implicit-def: $vgpr118
	v_and_or_b32 v31, v16, 7, v17
; %bb.12835:                            ;   in Loop: Header=BB6_11188 Depth=2
	s_and_not1_saveexec_b32 s7, s7
; %bb.12836:                            ;   in Loop: Header=BB6_11188 Depth=2
	v_mov_b32_e32 v31, v118
; %bb.12837:                            ;   in Loop: Header=BB6_11188 Depth=2
	s_or_b32 exec_lo, exec_lo, s7
.LBB6_12838:                            ;   in Loop: Header=BB6_11188 Depth=2
	s_delay_alu instid0(SALU_CYCLE_1)
	s_or_b32 exec_lo, exec_lo, s29
                                        ; implicit-def: $vgpr118
.LBB6_12839:                            ;   in Loop: Header=BB6_11188 Depth=2
	s_and_not1_saveexec_b32 s7, s11
; %bb.12840:                            ;   in Loop: Header=BB6_11188 Depth=2
	v_or_b32_e32 v31, 0x7e, v118
; %bb.12841:                            ;   in Loop: Header=BB6_11188 Depth=2
	s_or_b32 exec_lo, exec_lo, s7
                                        ; implicit-def: $vgpr17
.LBB6_12842:                            ;   in Loop: Header=BB6_11188 Depth=2
	s_and_not1_saveexec_b32 s7, s10
; %bb.12843:                            ;   in Loop: Header=BB6_11188 Depth=2
	v_or_b32_e32 v31, 0x7f, v17
; %bb.12844:                            ;   in Loop: Header=BB6_11188 Depth=2
	s_or_b32 exec_lo, exec_lo, s7
	v_and_b32_e32 v16, 0xff, v29
	v_dual_mov_b32 v18, 0 :: v_dual_mov_b32 v19, 0
	s_mov_b32 s7, exec_lo
	s_delay_alu instid0(VALU_DEP_2)
	v_cmpx_ne_u16_e32 0, v16
	s_cbranch_execz .LBB6_12852
; %bb.12845:                            ;   in Loop: Header=BB6_11188 Depth=2
	v_bfrev_b32_e32 v19, 1
	s_mov_b32 s10, exec_lo
	v_cmpx_ne_u16_e32 0x80, v16
	s_cbranch_execz .LBB6_12851
; %bb.12846:                            ;   in Loop: Header=BB6_11188 Depth=2
	v_and_b32_e32 v17, 0x7f, v29
	v_mov_b32_e32 v19, 0x7f800001
	s_mov_b32 s11, exec_lo
	s_delay_alu instid0(VALU_DEP_2)
	v_cmpx_ne_u32_e32 0x7f, v17
	s_cbranch_execz .LBB6_12850
; %bb.12847:                            ;   in Loop: Header=BB6_11188 Depth=2
	v_dual_lshrrev_b32 v19, 3, v17 :: v_dual_bitop2_b32 v52, 7, v16 bitop3:0x40
	v_cmp_gt_u32_e32 vcc_lo, 8, v17
	s_delay_alu instid0(VALU_DEP_2)
	v_mov_b64_e32 v[16:17], v[52:53]
	s_and_saveexec_b32 s29, vcc_lo
; %bb.12848:                            ;   in Loop: Header=BB6_11188 Depth=2
	v_clz_i32_u32_e32 v16, v52
	s_delay_alu instid0(VALU_DEP_1) | instskip(NEXT) | instid1(VALU_DEP_1)
	v_min_u32_e32 v19, 32, v16
	v_subrev_nc_u32_e32 v16, 28, v19
	s_delay_alu instid0(VALU_DEP_1) | instskip(NEXT) | instid1(VALU_DEP_1)
	v_lshlrev_b64_e32 v[16:17], v16, v[52:53]
	v_dual_sub_nc_u32 v19, 29, v19 :: v_dual_bitop2_b32 v16, 7, v16 bitop3:0x40
; %bb.12849:                            ;   in Loop: Header=BB6_11188 Depth=2
	s_or_b32 exec_lo, exec_lo, s29
	s_delay_alu instid0(VALU_DEP_1) | instskip(NEXT) | instid1(VALU_DEP_2)
	v_dual_lshlrev_b32 v17, 24, v29 :: v_dual_lshlrev_b32 v16, 20, v16
	v_lshl_add_u32 v19, v19, 23, 0x3c000000
	s_delay_alu instid0(VALU_DEP_2) | instskip(NEXT) | instid1(VALU_DEP_1)
	v_and_b32_e32 v17, 0x80000000, v17
	v_or3_b32 v19, v16, v17, v19
.LBB6_12850:                            ;   in Loop: Header=BB6_11188 Depth=2
	s_or_b32 exec_lo, exec_lo, s11
.LBB6_12851:                            ;   in Loop: Header=BB6_11188 Depth=2
	s_delay_alu instid0(SALU_CYCLE_1)
	s_or_b32 exec_lo, exec_lo, s10
.LBB6_12852:                            ;   in Loop: Header=BB6_11188 Depth=2
	s_delay_alu instid0(SALU_CYCLE_1) | instskip(SKIP_3) | instid1(VALU_DEP_1)
	s_or_b32 exec_lo, exec_lo, s7
	s_wait_loadcnt_dscnt 0xa0a
	v_and_b32_e32 v16, 0xff, v117
	s_mov_b32 s7, exec_lo
	v_cmpx_ne_u16_e32 0, v16
	s_cbranch_execz .LBB6_12860
; %bb.12853:                            ;   in Loop: Header=BB6_11188 Depth=2
	v_bfrev_b32_e32 v18, 1
	s_mov_b32 s10, exec_lo
	v_cmpx_ne_u16_e32 0x80, v16
	s_cbranch_execz .LBB6_12859
; %bb.12854:                            ;   in Loop: Header=BB6_11188 Depth=2
	v_and_b32_e32 v17, 0x7f, v117
	v_mov_b32_e32 v18, 0x7f800001
	s_mov_b32 s11, exec_lo
	s_delay_alu instid0(VALU_DEP_2)
	v_cmpx_ne_u32_e32 0x7f, v17
	s_cbranch_execz .LBB6_12858
; %bb.12855:                            ;   in Loop: Header=BB6_11188 Depth=2
	v_dual_lshrrev_b32 v18, 3, v17 :: v_dual_bitop2_b32 v52, 7, v16 bitop3:0x40
	v_cmp_gt_u32_e32 vcc_lo, 8, v17
	s_delay_alu instid0(VALU_DEP_2)
	v_mov_b64_e32 v[16:17], v[52:53]
	s_and_saveexec_b32 s29, vcc_lo
; %bb.12856:                            ;   in Loop: Header=BB6_11188 Depth=2
	v_clz_i32_u32_e32 v16, v52
	s_delay_alu instid0(VALU_DEP_1) | instskip(NEXT) | instid1(VALU_DEP_1)
	v_min_u32_e32 v18, 32, v16
	v_subrev_nc_u32_e32 v16, 28, v18
	s_delay_alu instid0(VALU_DEP_1) | instskip(NEXT) | instid1(VALU_DEP_1)
	v_lshlrev_b64_e32 v[16:17], v16, v[52:53]
	v_dual_sub_nc_u32 v18, 29, v18 :: v_dual_bitop2_b32 v16, 7, v16 bitop3:0x40
; %bb.12857:                            ;   in Loop: Header=BB6_11188 Depth=2
	s_or_b32 exec_lo, exec_lo, s29
	s_delay_alu instid0(VALU_DEP_1) | instskip(NEXT) | instid1(VALU_DEP_2)
	v_dual_lshlrev_b32 v17, 24, v117 :: v_dual_lshlrev_b32 v16, 20, v16
	v_lshl_add_u32 v18, v18, 23, 0x3c000000
	s_delay_alu instid0(VALU_DEP_2) | instskip(NEXT) | instid1(VALU_DEP_1)
	v_and_b32_e32 v17, 0x80000000, v17
	v_or3_b32 v18, v16, v17, v18
.LBB6_12858:                            ;   in Loop: Header=BB6_11188 Depth=2
	s_or_b32 exec_lo, exec_lo, s11
.LBB6_12859:                            ;   in Loop: Header=BB6_11188 Depth=2
	s_delay_alu instid0(SALU_CYCLE_1)
	s_or_b32 exec_lo, exec_lo, s10
.LBB6_12860:                            ;   in Loop: Header=BB6_11188 Depth=2
	s_delay_alu instid0(SALU_CYCLE_1) | instskip(NEXT) | instid1(VALU_DEP_1)
	s_or_b32 exec_lo, exec_lo, s7
	v_add_f32_e32 v16, v19, v18
                                        ; implicit-def: $vgpr29
	s_mov_b32 s7, exec_lo
	s_delay_alu instid0(VALU_DEP_1) | instskip(SKIP_1) | instid1(VALU_DEP_2)
	v_and_b32_e32 v52, 0x7f800000, v16
	v_lshrrev_b32_e32 v17, 24, v16
	v_cmpx_ne_u64_e32 0x7f800000, v[52:53]
	s_xor_b32 s10, exec_lo, s7
	s_cbranch_execz .LBB6_12878
; %bb.12861:                            ;   in Loop: Header=BB6_11188 Depth=2
	v_and_b32_e32 v52, 0x7fffffff, v16
	v_and_b32_e32 v117, 0x80, v17
                                        ; implicit-def: $vgpr29
	s_mov_b32 s7, exec_lo
	s_delay_alu instid0(VALU_DEP_2)
	v_cmpx_gt_u64_e32 0x43e00001, v[52:53]
	s_xor_b32 s11, exec_lo, s7
	s_cbranch_execz .LBB6_12875
; %bb.12862:                            ;   in Loop: Header=BB6_11188 Depth=2
	v_mov_b32_e32 v29, 0
	s_mov_b32 s29, exec_lo
	v_cmpx_ne_u32_e32 0, v16
	s_cbranch_execz .LBB6_12874
; %bb.12863:                            ;   in Loop: Header=BB6_11188 Depth=2
	v_bfe_u32 v29, v16, 23, 8
	v_and_b32_e32 v18, 0x7fffff, v16
	s_delay_alu instid0(VALU_DEP_2) | instskip(NEXT) | instid1(VALU_DEP_2)
	v_cmp_gt_u32_e32 vcc_lo, 0x7a, v29
	v_or_b32_e32 v19, 0x800000, v18
	v_sub_nc_u32_e32 v17, 0x79, v29
	s_delay_alu instid0(VALU_DEP_1) | instskip(SKIP_1) | instid1(VALU_DEP_2)
	v_cndmask_b32_e32 v17, 0, v17, vcc_lo
	v_cmp_eq_u32_e32 vcc_lo, 0, v29
	v_cndmask_b32_e64 v118, v17, 0x78, vcc_lo
	v_cndmask_b32_e32 v52, v19, v18, vcc_lo
	s_delay_alu instid0(VALU_DEP_2) | instskip(NEXT) | instid1(VALU_DEP_1)
	v_dual_add_nc_u32 v16, 20, v118 :: v_dual_add_nc_u32 v40, 19, v118
	v_lshlrev_b64_e64 v[16:17], v16, -1
	s_delay_alu instid0(VALU_DEP_2) | instskip(NEXT) | instid1(VALU_DEP_2)
	v_lshlrev_b64_e64 v[18:19], v40, 1
	v_bfi_b32 v43, v17, 0, 0
	s_delay_alu instid0(VALU_DEP_3) | instskip(SKIP_1) | instid1(VALU_DEP_2)
	v_bfi_b32 v42, v16, 0, v52
	v_lshrrev_b64 v[16:17], v118, v[52:53]
	v_cmp_eq_u64_e64 s7, v[42:43], v[18:19]
	s_delay_alu instid0(VALU_DEP_2)
	v_mov_b64_e32 v[18:19], v[16:17]
	s_and_saveexec_b32 s40, s7
; %bb.12864:                            ;   in Loop: Header=BB6_11188 Depth=2
	v_bfe_u32 v52, v16, 20, 1
	s_delay_alu instid0(VALU_DEP_1) | instskip(NEXT) | instid1(VALU_DEP_1)
	v_add_nc_u64_e32 v[18:19], v[16:17], v[52:53]
	v_add_nc_u64_e32 v[18:19], -1, v[18:19]
; %bb.12865:                            ;   in Loop: Header=BB6_11188 Depth=2
	s_or_b32 exec_lo, exec_lo, s40
	v_add_nc_u32_e32 v17, 0xffffff81, v29
	v_lshrrev_b32_e32 v19, 23, v16
	s_mov_b32 s7, exec_lo
	s_delay_alu instid0(VALU_DEP_2) | instskip(NEXT) | instid1(VALU_DEP_1)
	v_cndmask_b32_e64 v17, v17, 0xffffff82, vcc_lo
	v_add3_u32 v19, v118, v17, v19
	v_and_b32_e32 v17, 0xfffff, v18
                                        ; implicit-def: $vgpr18
	s_delay_alu instid0(VALU_DEP_1) | instskip(NEXT) | instid1(VALU_DEP_1)
	v_dual_add_nc_u32 v29, 6, v19 :: v_dual_add_nc_u32 v52, v17, v16
                                        ; implicit-def: $vgpr16_vgpr17
	v_cmpx_ne_u32_e32 0, v29
	s_xor_b32 s7, exec_lo, s7
; %bb.12866:                            ;   in Loop: Header=BB6_11188 Depth=2
	s_delay_alu instid0(VALU_DEP_2) | instskip(SKIP_1) | instid1(VALU_DEP_1)
	v_cmp_lt_u64_e32 vcc_lo, 0xffffff, v[52:53]
	v_add_nc_u32_e32 v16, 7, v19
	v_cndmask_b32_e32 v18, v29, v16, vcc_lo
	v_cndmask_b32_e64 v16, 0, 1, vcc_lo
	s_delay_alu instid0(VALU_DEP_1)
	v_lshrrev_b64 v[16:17], v16, v[52:53]
; %bb.12867:                            ;   in Loop: Header=BB6_11188 Depth=2
	s_and_not1_saveexec_b32 s7, s7
; %bb.12868:                            ;   in Loop: Header=BB6_11188 Depth=2
	v_mov_b64_e32 v[16:17], v[52:53]
	v_bfe_u32 v18, v52, 23, 1
; %bb.12869:                            ;   in Loop: Header=BB6_11188 Depth=2
	s_or_b32 exec_lo, exec_lo, s7
	s_delay_alu instid0(VALU_DEP_2) | instskip(NEXT) | instid1(VALU_DEP_2)
	v_lshrrev_b64 v[16:17], 20, v[16:17]
	v_cmp_gt_i32_e32 vcc_lo, 16, v18
	v_cmp_ne_u32_e64 s7, 0, v18
                                        ; implicit-def: $vgpr29
	s_delay_alu instid0(VALU_DEP_3) | instskip(NEXT) | instid1(VALU_DEP_1)
	v_dual_cndmask_b32 v17, 0, v17 :: v_dual_cndmask_b32 v16, 7, v16
	v_cmp_ne_u64_e32 vcc_lo, 0, v[16:17]
	s_or_b32 s7, s7, vcc_lo
	s_delay_alu instid0(SALU_CYCLE_1) | instskip(NEXT) | instid1(SALU_CYCLE_1)
	s_and_saveexec_b32 s40, s7
	s_xor_b32 s7, exec_lo, s40
; %bb.12870:                            ;   in Loop: Header=BB6_11188 Depth=2
	v_min_i32_e32 v17, 15, v18
	s_delay_alu instid0(VALU_DEP_1) | instskip(NEXT) | instid1(VALU_DEP_1)
	v_lshl_or_b32 v17, v17, 3, v117
                                        ; implicit-def: $vgpr117
	v_and_or_b32 v29, v16, 7, v17
; %bb.12871:                            ;   in Loop: Header=BB6_11188 Depth=2
	s_and_not1_saveexec_b32 s7, s7
; %bb.12872:                            ;   in Loop: Header=BB6_11188 Depth=2
	v_mov_b32_e32 v29, v117
; %bb.12873:                            ;   in Loop: Header=BB6_11188 Depth=2
	s_or_b32 exec_lo, exec_lo, s7
.LBB6_12874:                            ;   in Loop: Header=BB6_11188 Depth=2
	s_delay_alu instid0(SALU_CYCLE_1)
	s_or_b32 exec_lo, exec_lo, s29
                                        ; implicit-def: $vgpr117
.LBB6_12875:                            ;   in Loop: Header=BB6_11188 Depth=2
	s_and_not1_saveexec_b32 s7, s11
; %bb.12876:                            ;   in Loop: Header=BB6_11188 Depth=2
	v_or_b32_e32 v29, 0x7e, v117
; %bb.12877:                            ;   in Loop: Header=BB6_11188 Depth=2
	s_or_b32 exec_lo, exec_lo, s7
                                        ; implicit-def: $vgpr17
.LBB6_12878:                            ;   in Loop: Header=BB6_11188 Depth=2
	s_and_not1_saveexec_b32 s7, s10
; %bb.12879:                            ;   in Loop: Header=BB6_11188 Depth=2
	v_or_b32_e32 v29, 0x7f, v17
; %bb.12880:                            ;   in Loop: Header=BB6_11188 Depth=2
	s_or_b32 exec_lo, exec_lo, s7
	v_and_b32_e32 v16, 0xff, v28
	v_dual_mov_b32 v18, 0 :: v_dual_mov_b32 v19, 0
	s_mov_b32 s7, exec_lo
	s_delay_alu instid0(VALU_DEP_2)
	v_cmpx_ne_u16_e32 0, v16
	s_cbranch_execz .LBB6_12888
; %bb.12881:                            ;   in Loop: Header=BB6_11188 Depth=2
	v_bfrev_b32_e32 v19, 1
	s_mov_b32 s10, exec_lo
	v_cmpx_ne_u16_e32 0x80, v16
	s_cbranch_execz .LBB6_12887
; %bb.12882:                            ;   in Loop: Header=BB6_11188 Depth=2
	v_and_b32_e32 v17, 0x7f, v28
	v_mov_b32_e32 v19, 0x7f800001
	s_mov_b32 s11, exec_lo
	s_delay_alu instid0(VALU_DEP_2)
	v_cmpx_ne_u32_e32 0x7f, v17
	s_cbranch_execz .LBB6_12886
; %bb.12883:                            ;   in Loop: Header=BB6_11188 Depth=2
	v_dual_lshrrev_b32 v19, 3, v17 :: v_dual_bitop2_b32 v52, 7, v16 bitop3:0x40
	v_cmp_gt_u32_e32 vcc_lo, 8, v17
	s_delay_alu instid0(VALU_DEP_2)
	v_mov_b64_e32 v[16:17], v[52:53]
	s_and_saveexec_b32 s29, vcc_lo
; %bb.12884:                            ;   in Loop: Header=BB6_11188 Depth=2
	v_clz_i32_u32_e32 v16, v52
	s_delay_alu instid0(VALU_DEP_1) | instskip(NEXT) | instid1(VALU_DEP_1)
	v_min_u32_e32 v19, 32, v16
	v_subrev_nc_u32_e32 v16, 28, v19
	s_delay_alu instid0(VALU_DEP_1) | instskip(NEXT) | instid1(VALU_DEP_1)
	v_lshlrev_b64_e32 v[16:17], v16, v[52:53]
	v_dual_sub_nc_u32 v19, 29, v19 :: v_dual_bitop2_b32 v16, 7, v16 bitop3:0x40
; %bb.12885:                            ;   in Loop: Header=BB6_11188 Depth=2
	s_or_b32 exec_lo, exec_lo, s29
	v_lshlrev_b32_e32 v17, 24, v28
	s_delay_alu instid0(VALU_DEP_2) | instskip(NEXT) | instid1(VALU_DEP_3)
	v_lshlrev_b32_e32 v16, 20, v16
	v_lshl_add_u32 v19, v19, 23, 0x3c000000
	s_delay_alu instid0(VALU_DEP_3) | instskip(NEXT) | instid1(VALU_DEP_1)
	v_and_b32_e32 v17, 0x80000000, v17
	v_or3_b32 v19, v16, v17, v19
.LBB6_12886:                            ;   in Loop: Header=BB6_11188 Depth=2
	s_or_b32 exec_lo, exec_lo, s11
.LBB6_12887:                            ;   in Loop: Header=BB6_11188 Depth=2
	s_delay_alu instid0(SALU_CYCLE_1)
	s_or_b32 exec_lo, exec_lo, s10
.LBB6_12888:                            ;   in Loop: Header=BB6_11188 Depth=2
	s_delay_alu instid0(SALU_CYCLE_1) | instskip(SKIP_3) | instid1(VALU_DEP_1)
	s_or_b32 exec_lo, exec_lo, s7
	s_wait_loadcnt_dscnt 0x909
	v_and_b32_e32 v16, 0xff, v116
	s_mov_b32 s7, exec_lo
	v_cmpx_ne_u16_e32 0, v16
	s_cbranch_execz .LBB6_12896
; %bb.12889:                            ;   in Loop: Header=BB6_11188 Depth=2
	v_bfrev_b32_e32 v18, 1
	s_mov_b32 s10, exec_lo
	v_cmpx_ne_u16_e32 0x80, v16
	s_cbranch_execz .LBB6_12895
; %bb.12890:                            ;   in Loop: Header=BB6_11188 Depth=2
	v_and_b32_e32 v17, 0x7f, v116
	v_mov_b32_e32 v18, 0x7f800001
	s_mov_b32 s11, exec_lo
	s_delay_alu instid0(VALU_DEP_2)
	v_cmpx_ne_u32_e32 0x7f, v17
	s_cbranch_execz .LBB6_12894
; %bb.12891:                            ;   in Loop: Header=BB6_11188 Depth=2
	v_dual_lshrrev_b32 v18, 3, v17 :: v_dual_bitop2_b32 v52, 7, v16 bitop3:0x40
	v_cmp_gt_u32_e32 vcc_lo, 8, v17
	s_delay_alu instid0(VALU_DEP_2)
	v_mov_b64_e32 v[16:17], v[52:53]
	s_and_saveexec_b32 s29, vcc_lo
; %bb.12892:                            ;   in Loop: Header=BB6_11188 Depth=2
	v_clz_i32_u32_e32 v16, v52
	s_delay_alu instid0(VALU_DEP_1) | instskip(NEXT) | instid1(VALU_DEP_1)
	v_min_u32_e32 v18, 32, v16
	v_subrev_nc_u32_e32 v16, 28, v18
	s_delay_alu instid0(VALU_DEP_1) | instskip(NEXT) | instid1(VALU_DEP_1)
	v_lshlrev_b64_e32 v[16:17], v16, v[52:53]
	v_dual_sub_nc_u32 v18, 29, v18 :: v_dual_bitop2_b32 v16, 7, v16 bitop3:0x40
; %bb.12893:                            ;   in Loop: Header=BB6_11188 Depth=2
	s_or_b32 exec_lo, exec_lo, s29
	v_lshlrev_b32_e32 v17, 24, v116
	s_delay_alu instid0(VALU_DEP_2) | instskip(NEXT) | instid1(VALU_DEP_3)
	v_lshlrev_b32_e32 v16, 20, v16
	v_lshl_add_u32 v18, v18, 23, 0x3c000000
	s_delay_alu instid0(VALU_DEP_3) | instskip(NEXT) | instid1(VALU_DEP_1)
	v_and_b32_e32 v17, 0x80000000, v17
	v_or3_b32 v18, v16, v17, v18
.LBB6_12894:                            ;   in Loop: Header=BB6_11188 Depth=2
	s_or_b32 exec_lo, exec_lo, s11
.LBB6_12895:                            ;   in Loop: Header=BB6_11188 Depth=2
	s_delay_alu instid0(SALU_CYCLE_1)
	s_or_b32 exec_lo, exec_lo, s10
.LBB6_12896:                            ;   in Loop: Header=BB6_11188 Depth=2
	s_delay_alu instid0(SALU_CYCLE_1) | instskip(NEXT) | instid1(VALU_DEP_1)
	s_or_b32 exec_lo, exec_lo, s7
	v_add_f32_e32 v16, v19, v18
                                        ; implicit-def: $vgpr28
	s_mov_b32 s7, exec_lo
	s_delay_alu instid0(VALU_DEP_1) | instskip(SKIP_1) | instid1(VALU_DEP_2)
	v_and_b32_e32 v52, 0x7f800000, v16
	v_lshrrev_b32_e32 v17, 24, v16
	v_cmpx_ne_u64_e32 0x7f800000, v[52:53]
	s_xor_b32 s10, exec_lo, s7
	s_cbranch_execz .LBB6_12914
; %bb.12897:                            ;   in Loop: Header=BB6_11188 Depth=2
	v_and_b32_e32 v52, 0x7fffffff, v16
	v_and_b32_e32 v116, 0x80, v17
                                        ; implicit-def: $vgpr28
	s_mov_b32 s7, exec_lo
	s_delay_alu instid0(VALU_DEP_2)
	v_cmpx_gt_u64_e32 0x43e00001, v[52:53]
	s_xor_b32 s11, exec_lo, s7
	s_cbranch_execz .LBB6_12911
; %bb.12898:                            ;   in Loop: Header=BB6_11188 Depth=2
	v_mov_b32_e32 v28, 0
	s_mov_b32 s29, exec_lo
	v_cmpx_ne_u32_e32 0, v16
	s_cbranch_execz .LBB6_12910
; %bb.12899:                            ;   in Loop: Header=BB6_11188 Depth=2
	v_bfe_u32 v28, v16, 23, 8
	v_and_b32_e32 v18, 0x7fffff, v16
	s_delay_alu instid0(VALU_DEP_2) | instskip(NEXT) | instid1(VALU_DEP_2)
	v_cmp_gt_u32_e32 vcc_lo, 0x7a, v28
	v_or_b32_e32 v19, 0x800000, v18
	v_sub_nc_u32_e32 v17, 0x79, v28
	s_delay_alu instid0(VALU_DEP_1) | instskip(SKIP_1) | instid1(VALU_DEP_2)
	v_cndmask_b32_e32 v17, 0, v17, vcc_lo
	v_cmp_eq_u32_e32 vcc_lo, 0, v28
	v_cndmask_b32_e64 v117, v17, 0x78, vcc_lo
	s_delay_alu instid0(VALU_DEP_1) | instskip(SKIP_1) | instid1(VALU_DEP_2)
	v_dual_cndmask_b32 v52, v19, v18, vcc_lo :: v_dual_add_nc_u32 v16, 20, v117
	v_add_nc_u32_e32 v118, 19, v117
	v_lshlrev_b64_e64 v[16:17], v16, -1
	s_delay_alu instid0(VALU_DEP_2) | instskip(NEXT) | instid1(VALU_DEP_2)
	v_lshlrev_b64_e64 v[18:19], v118, 1
	v_bfi_b32 v43, v17, 0, 0
	s_delay_alu instid0(VALU_DEP_3) | instskip(SKIP_1) | instid1(VALU_DEP_2)
	v_bfi_b32 v42, v16, 0, v52
	v_lshrrev_b64 v[16:17], v117, v[52:53]
	v_cmp_eq_u64_e64 s7, v[42:43], v[18:19]
	s_delay_alu instid0(VALU_DEP_2)
	v_mov_b64_e32 v[18:19], v[16:17]
	s_and_saveexec_b32 s40, s7
; %bb.12900:                            ;   in Loop: Header=BB6_11188 Depth=2
	v_bfe_u32 v52, v16, 20, 1
	s_delay_alu instid0(VALU_DEP_1) | instskip(NEXT) | instid1(VALU_DEP_1)
	v_add_nc_u64_e32 v[18:19], v[16:17], v[52:53]
	v_add_nc_u64_e32 v[18:19], -1, v[18:19]
; %bb.12901:                            ;   in Loop: Header=BB6_11188 Depth=2
	s_or_b32 exec_lo, exec_lo, s40
	v_add_nc_u32_e32 v17, 0xffffff81, v28
	v_lshrrev_b32_e32 v19, 23, v16
	s_mov_b32 s7, exec_lo
	s_delay_alu instid0(VALU_DEP_2) | instskip(NEXT) | instid1(VALU_DEP_1)
	v_cndmask_b32_e64 v17, v17, 0xffffff82, vcc_lo
	v_add3_u32 v19, v117, v17, v19
	v_and_b32_e32 v17, 0xfffff, v18
                                        ; implicit-def: $vgpr18
	s_delay_alu instid0(VALU_DEP_1) | instskip(NEXT) | instid1(VALU_DEP_1)
	v_dual_add_nc_u32 v28, 6, v19 :: v_dual_add_nc_u32 v52, v17, v16
                                        ; implicit-def: $vgpr16_vgpr17
	v_cmpx_ne_u32_e32 0, v28
	s_xor_b32 s7, exec_lo, s7
; %bb.12902:                            ;   in Loop: Header=BB6_11188 Depth=2
	s_delay_alu instid0(VALU_DEP_2) | instskip(SKIP_1) | instid1(VALU_DEP_1)
	v_cmp_lt_u64_e32 vcc_lo, 0xffffff, v[52:53]
	v_add_nc_u32_e32 v16, 7, v19
	v_cndmask_b32_e32 v18, v28, v16, vcc_lo
	v_cndmask_b32_e64 v16, 0, 1, vcc_lo
	s_delay_alu instid0(VALU_DEP_1)
	v_lshrrev_b64 v[16:17], v16, v[52:53]
; %bb.12903:                            ;   in Loop: Header=BB6_11188 Depth=2
	s_and_not1_saveexec_b32 s7, s7
; %bb.12904:                            ;   in Loop: Header=BB6_11188 Depth=2
	v_mov_b64_e32 v[16:17], v[52:53]
	v_bfe_u32 v18, v52, 23, 1
; %bb.12905:                            ;   in Loop: Header=BB6_11188 Depth=2
	s_or_b32 exec_lo, exec_lo, s7
	s_delay_alu instid0(VALU_DEP_2) | instskip(NEXT) | instid1(VALU_DEP_2)
	v_lshrrev_b64 v[16:17], 20, v[16:17]
	v_cmp_gt_i32_e32 vcc_lo, 16, v18
	v_cmp_ne_u32_e64 s7, 0, v18
                                        ; implicit-def: $vgpr28
	s_delay_alu instid0(VALU_DEP_3) | instskip(NEXT) | instid1(VALU_DEP_1)
	v_dual_cndmask_b32 v17, 0, v17 :: v_dual_cndmask_b32 v16, 7, v16
	v_cmp_ne_u64_e32 vcc_lo, 0, v[16:17]
	s_or_b32 s7, s7, vcc_lo
	s_delay_alu instid0(SALU_CYCLE_1) | instskip(NEXT) | instid1(SALU_CYCLE_1)
	s_and_saveexec_b32 s40, s7
	s_xor_b32 s7, exec_lo, s40
; %bb.12906:                            ;   in Loop: Header=BB6_11188 Depth=2
	v_min_i32_e32 v17, 15, v18
	s_delay_alu instid0(VALU_DEP_1) | instskip(NEXT) | instid1(VALU_DEP_1)
	v_lshl_or_b32 v17, v17, 3, v116
                                        ; implicit-def: $vgpr116
	v_and_or_b32 v28, v16, 7, v17
; %bb.12907:                            ;   in Loop: Header=BB6_11188 Depth=2
	s_and_not1_saveexec_b32 s7, s7
; %bb.12908:                            ;   in Loop: Header=BB6_11188 Depth=2
	v_mov_b32_e32 v28, v116
; %bb.12909:                            ;   in Loop: Header=BB6_11188 Depth=2
	s_or_b32 exec_lo, exec_lo, s7
.LBB6_12910:                            ;   in Loop: Header=BB6_11188 Depth=2
	s_delay_alu instid0(SALU_CYCLE_1)
	s_or_b32 exec_lo, exec_lo, s29
                                        ; implicit-def: $vgpr116
.LBB6_12911:                            ;   in Loop: Header=BB6_11188 Depth=2
	s_and_not1_saveexec_b32 s7, s11
; %bb.12912:                            ;   in Loop: Header=BB6_11188 Depth=2
	v_or_b32_e32 v28, 0x7e, v116
; %bb.12913:                            ;   in Loop: Header=BB6_11188 Depth=2
	s_or_b32 exec_lo, exec_lo, s7
                                        ; implicit-def: $vgpr17
.LBB6_12914:                            ;   in Loop: Header=BB6_11188 Depth=2
	s_and_not1_saveexec_b32 s7, s10
; %bb.12915:                            ;   in Loop: Header=BB6_11188 Depth=2
	v_or_b32_e32 v28, 0x7f, v17
; %bb.12916:                            ;   in Loop: Header=BB6_11188 Depth=2
	s_or_b32 exec_lo, exec_lo, s7
	v_and_b32_e32 v16, 0xff, v27
	v_dual_mov_b32 v18, 0 :: v_dual_mov_b32 v19, 0
	s_mov_b32 s7, exec_lo
	s_delay_alu instid0(VALU_DEP_2)
	v_cmpx_ne_u16_e32 0, v16
	s_cbranch_execz .LBB6_12924
; %bb.12917:                            ;   in Loop: Header=BB6_11188 Depth=2
	v_bfrev_b32_e32 v19, 1
	s_mov_b32 s10, exec_lo
	v_cmpx_ne_u16_e32 0x80, v16
	s_cbranch_execz .LBB6_12923
; %bb.12918:                            ;   in Loop: Header=BB6_11188 Depth=2
	v_and_b32_e32 v17, 0x7f, v27
	v_mov_b32_e32 v19, 0x7f800001
	s_mov_b32 s11, exec_lo
	s_delay_alu instid0(VALU_DEP_2)
	v_cmpx_ne_u32_e32 0x7f, v17
	s_cbranch_execz .LBB6_12922
; %bb.12919:                            ;   in Loop: Header=BB6_11188 Depth=2
	v_dual_lshrrev_b32 v19, 3, v17 :: v_dual_bitop2_b32 v52, 7, v16 bitop3:0x40
	v_cmp_gt_u32_e32 vcc_lo, 8, v17
	s_delay_alu instid0(VALU_DEP_2)
	v_mov_b64_e32 v[16:17], v[52:53]
	s_and_saveexec_b32 s29, vcc_lo
; %bb.12920:                            ;   in Loop: Header=BB6_11188 Depth=2
	v_clz_i32_u32_e32 v16, v52
	s_delay_alu instid0(VALU_DEP_1) | instskip(NEXT) | instid1(VALU_DEP_1)
	v_min_u32_e32 v19, 32, v16
	v_subrev_nc_u32_e32 v16, 28, v19
	s_delay_alu instid0(VALU_DEP_1) | instskip(NEXT) | instid1(VALU_DEP_1)
	v_lshlrev_b64_e32 v[16:17], v16, v[52:53]
	v_dual_sub_nc_u32 v19, 29, v19 :: v_dual_bitop2_b32 v16, 7, v16 bitop3:0x40
; %bb.12921:                            ;   in Loop: Header=BB6_11188 Depth=2
	s_or_b32 exec_lo, exec_lo, s29
	s_delay_alu instid0(VALU_DEP_1) | instskip(NEXT) | instid1(VALU_DEP_2)
	v_dual_lshlrev_b32 v17, 24, v27 :: v_dual_lshlrev_b32 v16, 20, v16
	v_lshl_add_u32 v19, v19, 23, 0x3c000000
	s_delay_alu instid0(VALU_DEP_2) | instskip(NEXT) | instid1(VALU_DEP_1)
	v_and_b32_e32 v17, 0x80000000, v17
	v_or3_b32 v19, v16, v17, v19
.LBB6_12922:                            ;   in Loop: Header=BB6_11188 Depth=2
	s_or_b32 exec_lo, exec_lo, s11
.LBB6_12923:                            ;   in Loop: Header=BB6_11188 Depth=2
	s_delay_alu instid0(SALU_CYCLE_1)
	s_or_b32 exec_lo, exec_lo, s10
.LBB6_12924:                            ;   in Loop: Header=BB6_11188 Depth=2
	s_delay_alu instid0(SALU_CYCLE_1) | instskip(SKIP_3) | instid1(VALU_DEP_1)
	s_or_b32 exec_lo, exec_lo, s7
	s_wait_loadcnt_dscnt 0x808
	v_and_b32_e32 v16, 0xff, v115
	s_mov_b32 s7, exec_lo
	v_cmpx_ne_u16_e32 0, v16
	s_cbranch_execz .LBB6_12932
; %bb.12925:                            ;   in Loop: Header=BB6_11188 Depth=2
	v_bfrev_b32_e32 v18, 1
	s_mov_b32 s10, exec_lo
	v_cmpx_ne_u16_e32 0x80, v16
	s_cbranch_execz .LBB6_12931
; %bb.12926:                            ;   in Loop: Header=BB6_11188 Depth=2
	v_and_b32_e32 v17, 0x7f, v115
	v_mov_b32_e32 v18, 0x7f800001
	s_mov_b32 s11, exec_lo
	s_delay_alu instid0(VALU_DEP_2)
	v_cmpx_ne_u32_e32 0x7f, v17
	s_cbranch_execz .LBB6_12930
; %bb.12927:                            ;   in Loop: Header=BB6_11188 Depth=2
	v_dual_lshrrev_b32 v18, 3, v17 :: v_dual_bitop2_b32 v52, 7, v16 bitop3:0x40
	v_cmp_gt_u32_e32 vcc_lo, 8, v17
	s_delay_alu instid0(VALU_DEP_2)
	v_mov_b64_e32 v[16:17], v[52:53]
	s_and_saveexec_b32 s29, vcc_lo
; %bb.12928:                            ;   in Loop: Header=BB6_11188 Depth=2
	v_clz_i32_u32_e32 v16, v52
	s_delay_alu instid0(VALU_DEP_1) | instskip(NEXT) | instid1(VALU_DEP_1)
	v_min_u32_e32 v18, 32, v16
	v_subrev_nc_u32_e32 v16, 28, v18
	s_delay_alu instid0(VALU_DEP_1) | instskip(NEXT) | instid1(VALU_DEP_1)
	v_lshlrev_b64_e32 v[16:17], v16, v[52:53]
	v_dual_sub_nc_u32 v18, 29, v18 :: v_dual_bitop2_b32 v16, 7, v16 bitop3:0x40
; %bb.12929:                            ;   in Loop: Header=BB6_11188 Depth=2
	s_or_b32 exec_lo, exec_lo, s29
	s_delay_alu instid0(VALU_DEP_1) | instskip(NEXT) | instid1(VALU_DEP_2)
	v_dual_lshlrev_b32 v17, 24, v115 :: v_dual_lshlrev_b32 v16, 20, v16
	v_lshl_add_u32 v18, v18, 23, 0x3c000000
	s_delay_alu instid0(VALU_DEP_2) | instskip(NEXT) | instid1(VALU_DEP_1)
	v_and_b32_e32 v17, 0x80000000, v17
	v_or3_b32 v18, v16, v17, v18
.LBB6_12930:                            ;   in Loop: Header=BB6_11188 Depth=2
	s_or_b32 exec_lo, exec_lo, s11
.LBB6_12931:                            ;   in Loop: Header=BB6_11188 Depth=2
	s_delay_alu instid0(SALU_CYCLE_1)
	s_or_b32 exec_lo, exec_lo, s10
.LBB6_12932:                            ;   in Loop: Header=BB6_11188 Depth=2
	s_delay_alu instid0(SALU_CYCLE_1) | instskip(NEXT) | instid1(VALU_DEP_1)
	s_or_b32 exec_lo, exec_lo, s7
	v_add_f32_e32 v16, v19, v18
                                        ; implicit-def: $vgpr27
	s_mov_b32 s7, exec_lo
	s_delay_alu instid0(VALU_DEP_1) | instskip(SKIP_1) | instid1(VALU_DEP_2)
	v_and_b32_e32 v52, 0x7f800000, v16
	v_lshrrev_b32_e32 v17, 24, v16
	v_cmpx_ne_u64_e32 0x7f800000, v[52:53]
	s_xor_b32 s10, exec_lo, s7
	s_cbranch_execz .LBB6_12950
; %bb.12933:                            ;   in Loop: Header=BB6_11188 Depth=2
	v_and_b32_e32 v52, 0x7fffffff, v16
	v_and_b32_e32 v115, 0x80, v17
                                        ; implicit-def: $vgpr27
	s_mov_b32 s7, exec_lo
	s_delay_alu instid0(VALU_DEP_2)
	v_cmpx_gt_u64_e32 0x43e00001, v[52:53]
	s_xor_b32 s11, exec_lo, s7
	s_cbranch_execz .LBB6_12947
; %bb.12934:                            ;   in Loop: Header=BB6_11188 Depth=2
	v_mov_b32_e32 v27, 0
	s_mov_b32 s29, exec_lo
	v_cmpx_ne_u32_e32 0, v16
	s_cbranch_execz .LBB6_12946
; %bb.12935:                            ;   in Loop: Header=BB6_11188 Depth=2
	v_bfe_u32 v27, v16, 23, 8
	v_and_b32_e32 v18, 0x7fffff, v16
	s_delay_alu instid0(VALU_DEP_2) | instskip(NEXT) | instid1(VALU_DEP_2)
	v_cmp_gt_u32_e32 vcc_lo, 0x7a, v27
	v_or_b32_e32 v19, 0x800000, v18
	v_sub_nc_u32_e32 v17, 0x79, v27
	s_delay_alu instid0(VALU_DEP_1) | instskip(SKIP_1) | instid1(VALU_DEP_2)
	v_cndmask_b32_e32 v17, 0, v17, vcc_lo
	v_cmp_eq_u32_e32 vcc_lo, 0, v27
	v_cndmask_b32_e64 v116, v17, 0x78, vcc_lo
	s_delay_alu instid0(VALU_DEP_1) | instskip(SKIP_1) | instid1(VALU_DEP_2)
	v_dual_cndmask_b32 v52, v19, v18, vcc_lo :: v_dual_add_nc_u32 v16, 20, v116
	v_add_nc_u32_e32 v117, 19, v116
	v_lshlrev_b64_e64 v[16:17], v16, -1
	s_delay_alu instid0(VALU_DEP_2) | instskip(NEXT) | instid1(VALU_DEP_2)
	v_lshlrev_b64_e64 v[18:19], v117, 1
	v_bfi_b32 v43, v17, 0, 0
	s_delay_alu instid0(VALU_DEP_3) | instskip(SKIP_1) | instid1(VALU_DEP_2)
	v_bfi_b32 v42, v16, 0, v52
	v_lshrrev_b64 v[16:17], v116, v[52:53]
	v_cmp_eq_u64_e64 s7, v[42:43], v[18:19]
	s_delay_alu instid0(VALU_DEP_2)
	v_mov_b64_e32 v[18:19], v[16:17]
	s_and_saveexec_b32 s40, s7
; %bb.12936:                            ;   in Loop: Header=BB6_11188 Depth=2
	v_bfe_u32 v52, v16, 20, 1
	s_delay_alu instid0(VALU_DEP_1) | instskip(NEXT) | instid1(VALU_DEP_1)
	v_add_nc_u64_e32 v[18:19], v[16:17], v[52:53]
	v_add_nc_u64_e32 v[18:19], -1, v[18:19]
; %bb.12937:                            ;   in Loop: Header=BB6_11188 Depth=2
	s_or_b32 exec_lo, exec_lo, s40
	v_add_nc_u32_e32 v17, 0xffffff81, v27
	v_lshrrev_b32_e32 v19, 23, v16
	s_mov_b32 s7, exec_lo
	s_delay_alu instid0(VALU_DEP_2) | instskip(NEXT) | instid1(VALU_DEP_1)
	v_cndmask_b32_e64 v17, v17, 0xffffff82, vcc_lo
	v_add3_u32 v19, v116, v17, v19
	v_and_b32_e32 v17, 0xfffff, v18
                                        ; implicit-def: $vgpr18
	s_delay_alu instid0(VALU_DEP_1) | instskip(NEXT) | instid1(VALU_DEP_1)
	v_dual_add_nc_u32 v27, 6, v19 :: v_dual_add_nc_u32 v52, v17, v16
                                        ; implicit-def: $vgpr16_vgpr17
	v_cmpx_ne_u32_e32 0, v27
	s_xor_b32 s7, exec_lo, s7
; %bb.12938:                            ;   in Loop: Header=BB6_11188 Depth=2
	s_delay_alu instid0(VALU_DEP_2) | instskip(SKIP_1) | instid1(VALU_DEP_1)
	v_cmp_lt_u64_e32 vcc_lo, 0xffffff, v[52:53]
	v_add_nc_u32_e32 v16, 7, v19
	v_cndmask_b32_e32 v18, v27, v16, vcc_lo
	v_cndmask_b32_e64 v16, 0, 1, vcc_lo
	s_delay_alu instid0(VALU_DEP_1)
	v_lshrrev_b64 v[16:17], v16, v[52:53]
; %bb.12939:                            ;   in Loop: Header=BB6_11188 Depth=2
	s_and_not1_saveexec_b32 s7, s7
; %bb.12940:                            ;   in Loop: Header=BB6_11188 Depth=2
	v_mov_b64_e32 v[16:17], v[52:53]
	v_bfe_u32 v18, v52, 23, 1
; %bb.12941:                            ;   in Loop: Header=BB6_11188 Depth=2
	s_or_b32 exec_lo, exec_lo, s7
	s_delay_alu instid0(VALU_DEP_2) | instskip(NEXT) | instid1(VALU_DEP_2)
	v_lshrrev_b64 v[16:17], 20, v[16:17]
	v_cmp_gt_i32_e32 vcc_lo, 16, v18
	v_cmp_ne_u32_e64 s7, 0, v18
                                        ; implicit-def: $vgpr27
	s_delay_alu instid0(VALU_DEP_3) | instskip(NEXT) | instid1(VALU_DEP_1)
	v_dual_cndmask_b32 v17, 0, v17 :: v_dual_cndmask_b32 v16, 7, v16
	v_cmp_ne_u64_e32 vcc_lo, 0, v[16:17]
	s_or_b32 s7, s7, vcc_lo
	s_delay_alu instid0(SALU_CYCLE_1) | instskip(NEXT) | instid1(SALU_CYCLE_1)
	s_and_saveexec_b32 s40, s7
	s_xor_b32 s7, exec_lo, s40
; %bb.12942:                            ;   in Loop: Header=BB6_11188 Depth=2
	v_min_i32_e32 v17, 15, v18
	s_delay_alu instid0(VALU_DEP_1) | instskip(NEXT) | instid1(VALU_DEP_1)
	v_lshl_or_b32 v17, v17, 3, v115
                                        ; implicit-def: $vgpr115
	v_and_or_b32 v27, v16, 7, v17
; %bb.12943:                            ;   in Loop: Header=BB6_11188 Depth=2
	s_and_not1_saveexec_b32 s7, s7
; %bb.12944:                            ;   in Loop: Header=BB6_11188 Depth=2
	v_mov_b32_e32 v27, v115
; %bb.12945:                            ;   in Loop: Header=BB6_11188 Depth=2
	s_or_b32 exec_lo, exec_lo, s7
.LBB6_12946:                            ;   in Loop: Header=BB6_11188 Depth=2
	s_delay_alu instid0(SALU_CYCLE_1)
	s_or_b32 exec_lo, exec_lo, s29
                                        ; implicit-def: $vgpr115
.LBB6_12947:                            ;   in Loop: Header=BB6_11188 Depth=2
	s_and_not1_saveexec_b32 s7, s11
; %bb.12948:                            ;   in Loop: Header=BB6_11188 Depth=2
	v_or_b32_e32 v27, 0x7e, v115
; %bb.12949:                            ;   in Loop: Header=BB6_11188 Depth=2
	s_or_b32 exec_lo, exec_lo, s7
                                        ; implicit-def: $vgpr17
.LBB6_12950:                            ;   in Loop: Header=BB6_11188 Depth=2
	s_and_not1_saveexec_b32 s7, s10
; %bb.12951:                            ;   in Loop: Header=BB6_11188 Depth=2
	v_or_b32_e32 v27, 0x7f, v17
; %bb.12952:                            ;   in Loop: Header=BB6_11188 Depth=2
	s_or_b32 exec_lo, exec_lo, s7
	v_and_b32_e32 v16, 0xff, v25
	v_dual_mov_b32 v18, 0 :: v_dual_mov_b32 v19, 0
	s_mov_b32 s7, exec_lo
	s_delay_alu instid0(VALU_DEP_2)
	v_cmpx_ne_u16_e32 0, v16
	s_cbranch_execz .LBB6_12960
; %bb.12953:                            ;   in Loop: Header=BB6_11188 Depth=2
	v_bfrev_b32_e32 v19, 1
	s_mov_b32 s10, exec_lo
	v_cmpx_ne_u16_e32 0x80, v16
	s_cbranch_execz .LBB6_12959
; %bb.12954:                            ;   in Loop: Header=BB6_11188 Depth=2
	v_and_b32_e32 v17, 0x7f, v25
	v_mov_b32_e32 v19, 0x7f800001
	s_mov_b32 s11, exec_lo
	s_delay_alu instid0(VALU_DEP_2)
	v_cmpx_ne_u32_e32 0x7f, v17
	s_cbranch_execz .LBB6_12958
; %bb.12955:                            ;   in Loop: Header=BB6_11188 Depth=2
	v_dual_lshrrev_b32 v19, 3, v17 :: v_dual_bitop2_b32 v52, 7, v16 bitop3:0x40
	v_cmp_gt_u32_e32 vcc_lo, 8, v17
	s_delay_alu instid0(VALU_DEP_2)
	v_mov_b64_e32 v[16:17], v[52:53]
	s_and_saveexec_b32 s29, vcc_lo
; %bb.12956:                            ;   in Loop: Header=BB6_11188 Depth=2
	v_clz_i32_u32_e32 v16, v52
	s_delay_alu instid0(VALU_DEP_1) | instskip(NEXT) | instid1(VALU_DEP_1)
	v_min_u32_e32 v19, 32, v16
	v_subrev_nc_u32_e32 v16, 28, v19
	s_delay_alu instid0(VALU_DEP_1) | instskip(NEXT) | instid1(VALU_DEP_1)
	v_lshlrev_b64_e32 v[16:17], v16, v[52:53]
	v_dual_sub_nc_u32 v19, 29, v19 :: v_dual_bitop2_b32 v16, 7, v16 bitop3:0x40
; %bb.12957:                            ;   in Loop: Header=BB6_11188 Depth=2
	s_or_b32 exec_lo, exec_lo, s29
	s_delay_alu instid0(VALU_DEP_1) | instskip(NEXT) | instid1(VALU_DEP_2)
	v_dual_lshlrev_b32 v17, 24, v25 :: v_dual_lshlrev_b32 v16, 20, v16
	v_lshl_add_u32 v19, v19, 23, 0x3c000000
	s_delay_alu instid0(VALU_DEP_2) | instskip(NEXT) | instid1(VALU_DEP_1)
	v_and_b32_e32 v17, 0x80000000, v17
	v_or3_b32 v19, v16, v17, v19
.LBB6_12958:                            ;   in Loop: Header=BB6_11188 Depth=2
	s_or_b32 exec_lo, exec_lo, s11
.LBB6_12959:                            ;   in Loop: Header=BB6_11188 Depth=2
	s_delay_alu instid0(SALU_CYCLE_1)
	s_or_b32 exec_lo, exec_lo, s10
.LBB6_12960:                            ;   in Loop: Header=BB6_11188 Depth=2
	s_delay_alu instid0(SALU_CYCLE_1) | instskip(SKIP_3) | instid1(VALU_DEP_1)
	s_or_b32 exec_lo, exec_lo, s7
	s_wait_loadcnt_dscnt 0x707
	v_and_b32_e32 v16, 0xff, v114
	s_mov_b32 s7, exec_lo
	v_cmpx_ne_u16_e32 0, v16
	s_cbranch_execz .LBB6_12968
; %bb.12961:                            ;   in Loop: Header=BB6_11188 Depth=2
	v_bfrev_b32_e32 v18, 1
	s_mov_b32 s10, exec_lo
	v_cmpx_ne_u16_e32 0x80, v16
	s_cbranch_execz .LBB6_12967
; %bb.12962:                            ;   in Loop: Header=BB6_11188 Depth=2
	v_and_b32_e32 v17, 0x7f, v114
	v_mov_b32_e32 v18, 0x7f800001
	s_mov_b32 s11, exec_lo
	s_delay_alu instid0(VALU_DEP_2)
	v_cmpx_ne_u32_e32 0x7f, v17
	s_cbranch_execz .LBB6_12966
; %bb.12963:                            ;   in Loop: Header=BB6_11188 Depth=2
	v_dual_lshrrev_b32 v18, 3, v17 :: v_dual_bitop2_b32 v52, 7, v16 bitop3:0x40
	v_cmp_gt_u32_e32 vcc_lo, 8, v17
	s_delay_alu instid0(VALU_DEP_2)
	v_mov_b64_e32 v[16:17], v[52:53]
	s_and_saveexec_b32 s29, vcc_lo
; %bb.12964:                            ;   in Loop: Header=BB6_11188 Depth=2
	v_clz_i32_u32_e32 v16, v52
	s_delay_alu instid0(VALU_DEP_1) | instskip(NEXT) | instid1(VALU_DEP_1)
	v_min_u32_e32 v18, 32, v16
	v_subrev_nc_u32_e32 v16, 28, v18
	s_delay_alu instid0(VALU_DEP_1) | instskip(NEXT) | instid1(VALU_DEP_1)
	v_lshlrev_b64_e32 v[16:17], v16, v[52:53]
	v_dual_sub_nc_u32 v18, 29, v18 :: v_dual_bitop2_b32 v16, 7, v16 bitop3:0x40
; %bb.12965:                            ;   in Loop: Header=BB6_11188 Depth=2
	s_or_b32 exec_lo, exec_lo, s29
	s_delay_alu instid0(VALU_DEP_1) | instskip(NEXT) | instid1(VALU_DEP_2)
	v_dual_lshlrev_b32 v17, 24, v114 :: v_dual_lshlrev_b32 v16, 20, v16
	v_lshl_add_u32 v18, v18, 23, 0x3c000000
	s_delay_alu instid0(VALU_DEP_2) | instskip(NEXT) | instid1(VALU_DEP_1)
	v_and_b32_e32 v17, 0x80000000, v17
	v_or3_b32 v18, v16, v17, v18
.LBB6_12966:                            ;   in Loop: Header=BB6_11188 Depth=2
	s_or_b32 exec_lo, exec_lo, s11
.LBB6_12967:                            ;   in Loop: Header=BB6_11188 Depth=2
	s_delay_alu instid0(SALU_CYCLE_1)
	s_or_b32 exec_lo, exec_lo, s10
.LBB6_12968:                            ;   in Loop: Header=BB6_11188 Depth=2
	s_delay_alu instid0(SALU_CYCLE_1) | instskip(NEXT) | instid1(VALU_DEP_1)
	s_or_b32 exec_lo, exec_lo, s7
	v_add_f32_e32 v16, v19, v18
                                        ; implicit-def: $vgpr25
	s_mov_b32 s7, exec_lo
	s_delay_alu instid0(VALU_DEP_1) | instskip(SKIP_1) | instid1(VALU_DEP_2)
	v_and_b32_e32 v52, 0x7f800000, v16
	v_lshrrev_b32_e32 v17, 24, v16
	v_cmpx_ne_u64_e32 0x7f800000, v[52:53]
	s_xor_b32 s10, exec_lo, s7
	s_cbranch_execz .LBB6_12986
; %bb.12969:                            ;   in Loop: Header=BB6_11188 Depth=2
	v_and_b32_e32 v52, 0x7fffffff, v16
	v_and_b32_e32 v114, 0x80, v17
                                        ; implicit-def: $vgpr25
	s_mov_b32 s7, exec_lo
	s_delay_alu instid0(VALU_DEP_2)
	v_cmpx_gt_u64_e32 0x43e00001, v[52:53]
	s_xor_b32 s11, exec_lo, s7
	s_cbranch_execz .LBB6_12983
; %bb.12970:                            ;   in Loop: Header=BB6_11188 Depth=2
	v_mov_b32_e32 v25, 0
	s_mov_b32 s29, exec_lo
	v_cmpx_ne_u32_e32 0, v16
	s_cbranch_execz .LBB6_12982
; %bb.12971:                            ;   in Loop: Header=BB6_11188 Depth=2
	v_bfe_u32 v25, v16, 23, 8
	v_and_b32_e32 v18, 0x7fffff, v16
	s_delay_alu instid0(VALU_DEP_2) | instskip(NEXT) | instid1(VALU_DEP_2)
	v_cmp_gt_u32_e32 vcc_lo, 0x7a, v25
	v_or_b32_e32 v19, 0x800000, v18
	v_sub_nc_u32_e32 v17, 0x79, v25
	s_delay_alu instid0(VALU_DEP_1) | instskip(SKIP_1) | instid1(VALU_DEP_2)
	v_cndmask_b32_e32 v17, 0, v17, vcc_lo
	v_cmp_eq_u32_e32 vcc_lo, 0, v25
	v_cndmask_b32_e64 v115, v17, 0x78, vcc_lo
	s_delay_alu instid0(VALU_DEP_1) | instskip(SKIP_1) | instid1(VALU_DEP_2)
	v_dual_cndmask_b32 v52, v19, v18, vcc_lo :: v_dual_add_nc_u32 v16, 20, v115
	v_add_nc_u32_e32 v116, 19, v115
	v_lshlrev_b64_e64 v[16:17], v16, -1
	s_delay_alu instid0(VALU_DEP_2) | instskip(NEXT) | instid1(VALU_DEP_2)
	v_lshlrev_b64_e64 v[18:19], v116, 1
	v_bfi_b32 v117, v17, 0, 0
	s_delay_alu instid0(VALU_DEP_3) | instskip(SKIP_1) | instid1(VALU_DEP_2)
	v_bfi_b32 v116, v16, 0, v52
	v_lshrrev_b64 v[16:17], v115, v[52:53]
	v_cmp_eq_u64_e64 s7, v[116:117], v[18:19]
	s_delay_alu instid0(VALU_DEP_2)
	v_mov_b64_e32 v[18:19], v[16:17]
	s_and_saveexec_b32 s40, s7
; %bb.12972:                            ;   in Loop: Header=BB6_11188 Depth=2
	v_bfe_u32 v52, v16, 20, 1
	s_delay_alu instid0(VALU_DEP_1) | instskip(NEXT) | instid1(VALU_DEP_1)
	v_add_nc_u64_e32 v[18:19], v[16:17], v[52:53]
	v_add_nc_u64_e32 v[18:19], -1, v[18:19]
; %bb.12973:                            ;   in Loop: Header=BB6_11188 Depth=2
	s_or_b32 exec_lo, exec_lo, s40
	v_add_nc_u32_e32 v17, 0xffffff81, v25
	v_lshrrev_b32_e32 v19, 23, v16
	s_mov_b32 s7, exec_lo
	s_delay_alu instid0(VALU_DEP_2) | instskip(NEXT) | instid1(VALU_DEP_1)
	v_cndmask_b32_e64 v17, v17, 0xffffff82, vcc_lo
	v_add3_u32 v19, v115, v17, v19
	v_and_b32_e32 v17, 0xfffff, v18
                                        ; implicit-def: $vgpr18
	s_delay_alu instid0(VALU_DEP_1) | instskip(NEXT) | instid1(VALU_DEP_1)
	v_dual_add_nc_u32 v25, 6, v19 :: v_dual_add_nc_u32 v52, v17, v16
                                        ; implicit-def: $vgpr16_vgpr17
	v_cmpx_ne_u32_e32 0, v25
	s_xor_b32 s7, exec_lo, s7
; %bb.12974:                            ;   in Loop: Header=BB6_11188 Depth=2
	s_delay_alu instid0(VALU_DEP_2) | instskip(SKIP_1) | instid1(VALU_DEP_1)
	v_cmp_lt_u64_e32 vcc_lo, 0xffffff, v[52:53]
	v_add_nc_u32_e32 v16, 7, v19
	v_cndmask_b32_e32 v18, v25, v16, vcc_lo
	v_cndmask_b32_e64 v16, 0, 1, vcc_lo
	s_delay_alu instid0(VALU_DEP_1)
	v_lshrrev_b64 v[16:17], v16, v[52:53]
; %bb.12975:                            ;   in Loop: Header=BB6_11188 Depth=2
	s_and_not1_saveexec_b32 s7, s7
; %bb.12976:                            ;   in Loop: Header=BB6_11188 Depth=2
	v_mov_b64_e32 v[16:17], v[52:53]
	v_bfe_u32 v18, v52, 23, 1
; %bb.12977:                            ;   in Loop: Header=BB6_11188 Depth=2
	s_or_b32 exec_lo, exec_lo, s7
	s_delay_alu instid0(VALU_DEP_2) | instskip(NEXT) | instid1(VALU_DEP_2)
	v_lshrrev_b64 v[16:17], 20, v[16:17]
	v_cmp_gt_i32_e32 vcc_lo, 16, v18
	v_cmp_ne_u32_e64 s7, 0, v18
                                        ; implicit-def: $vgpr25
	s_delay_alu instid0(VALU_DEP_3) | instskip(NEXT) | instid1(VALU_DEP_1)
	v_dual_cndmask_b32 v17, 0, v17 :: v_dual_cndmask_b32 v16, 7, v16
	v_cmp_ne_u64_e32 vcc_lo, 0, v[16:17]
	s_or_b32 s7, s7, vcc_lo
	s_delay_alu instid0(SALU_CYCLE_1) | instskip(NEXT) | instid1(SALU_CYCLE_1)
	s_and_saveexec_b32 s40, s7
	s_xor_b32 s7, exec_lo, s40
; %bb.12978:                            ;   in Loop: Header=BB6_11188 Depth=2
	v_min_i32_e32 v17, 15, v18
	s_delay_alu instid0(VALU_DEP_1) | instskip(NEXT) | instid1(VALU_DEP_1)
	v_lshl_or_b32 v17, v17, 3, v114
                                        ; implicit-def: $vgpr114
	v_and_or_b32 v25, v16, 7, v17
; %bb.12979:                            ;   in Loop: Header=BB6_11188 Depth=2
	s_and_not1_saveexec_b32 s7, s7
; %bb.12980:                            ;   in Loop: Header=BB6_11188 Depth=2
	v_mov_b32_e32 v25, v114
; %bb.12981:                            ;   in Loop: Header=BB6_11188 Depth=2
	s_or_b32 exec_lo, exec_lo, s7
.LBB6_12982:                            ;   in Loop: Header=BB6_11188 Depth=2
	s_delay_alu instid0(SALU_CYCLE_1)
	s_or_b32 exec_lo, exec_lo, s29
                                        ; implicit-def: $vgpr114
.LBB6_12983:                            ;   in Loop: Header=BB6_11188 Depth=2
	s_and_not1_saveexec_b32 s7, s11
; %bb.12984:                            ;   in Loop: Header=BB6_11188 Depth=2
	v_or_b32_e32 v25, 0x7e, v114
; %bb.12985:                            ;   in Loop: Header=BB6_11188 Depth=2
	s_or_b32 exec_lo, exec_lo, s7
                                        ; implicit-def: $vgpr17
.LBB6_12986:                            ;   in Loop: Header=BB6_11188 Depth=2
	s_and_not1_saveexec_b32 s7, s10
; %bb.12987:                            ;   in Loop: Header=BB6_11188 Depth=2
	v_or_b32_e32 v25, 0x7f, v17
; %bb.12988:                            ;   in Loop: Header=BB6_11188 Depth=2
	s_or_b32 exec_lo, exec_lo, s7
	v_and_b32_e32 v16, 0xff, v24
	v_dual_mov_b32 v18, 0 :: v_dual_mov_b32 v19, 0
	s_mov_b32 s7, exec_lo
	s_delay_alu instid0(VALU_DEP_2)
	v_cmpx_ne_u16_e32 0, v16
	s_cbranch_execz .LBB6_12996
; %bb.12989:                            ;   in Loop: Header=BB6_11188 Depth=2
	v_bfrev_b32_e32 v19, 1
	s_mov_b32 s10, exec_lo
	v_cmpx_ne_u16_e32 0x80, v16
	s_cbranch_execz .LBB6_12995
; %bb.12990:                            ;   in Loop: Header=BB6_11188 Depth=2
	v_and_b32_e32 v17, 0x7f, v24
	v_mov_b32_e32 v19, 0x7f800001
	s_mov_b32 s11, exec_lo
	s_delay_alu instid0(VALU_DEP_2)
	v_cmpx_ne_u32_e32 0x7f, v17
	s_cbranch_execz .LBB6_12994
; %bb.12991:                            ;   in Loop: Header=BB6_11188 Depth=2
	v_dual_lshrrev_b32 v19, 3, v17 :: v_dual_bitop2_b32 v52, 7, v16 bitop3:0x40
	v_cmp_gt_u32_e32 vcc_lo, 8, v17
	s_delay_alu instid0(VALU_DEP_2)
	v_mov_b64_e32 v[16:17], v[52:53]
	s_and_saveexec_b32 s29, vcc_lo
; %bb.12992:                            ;   in Loop: Header=BB6_11188 Depth=2
	v_clz_i32_u32_e32 v16, v52
	s_delay_alu instid0(VALU_DEP_1) | instskip(NEXT) | instid1(VALU_DEP_1)
	v_min_u32_e32 v19, 32, v16
	v_subrev_nc_u32_e32 v16, 28, v19
	s_delay_alu instid0(VALU_DEP_1) | instskip(NEXT) | instid1(VALU_DEP_1)
	v_lshlrev_b64_e32 v[16:17], v16, v[52:53]
	v_dual_sub_nc_u32 v19, 29, v19 :: v_dual_bitop2_b32 v16, 7, v16 bitop3:0x40
; %bb.12993:                            ;   in Loop: Header=BB6_11188 Depth=2
	s_or_b32 exec_lo, exec_lo, s29
	v_lshlrev_b32_e32 v17, 24, v24
	s_delay_alu instid0(VALU_DEP_2) | instskip(NEXT) | instid1(VALU_DEP_3)
	v_lshlrev_b32_e32 v16, 20, v16
	v_lshl_add_u32 v19, v19, 23, 0x3c000000
	s_delay_alu instid0(VALU_DEP_3) | instskip(NEXT) | instid1(VALU_DEP_1)
	v_and_b32_e32 v17, 0x80000000, v17
	v_or3_b32 v19, v16, v17, v19
.LBB6_12994:                            ;   in Loop: Header=BB6_11188 Depth=2
	s_or_b32 exec_lo, exec_lo, s11
.LBB6_12995:                            ;   in Loop: Header=BB6_11188 Depth=2
	s_delay_alu instid0(SALU_CYCLE_1)
	s_or_b32 exec_lo, exec_lo, s10
.LBB6_12996:                            ;   in Loop: Header=BB6_11188 Depth=2
	s_delay_alu instid0(SALU_CYCLE_1) | instskip(SKIP_3) | instid1(VALU_DEP_1)
	s_or_b32 exec_lo, exec_lo, s7
	s_wait_loadcnt_dscnt 0x606
	v_and_b32_e32 v16, 0xff, v113
	s_mov_b32 s7, exec_lo
	v_cmpx_ne_u16_e32 0, v16
	s_cbranch_execz .LBB6_13004
; %bb.12997:                            ;   in Loop: Header=BB6_11188 Depth=2
	v_bfrev_b32_e32 v18, 1
	s_mov_b32 s10, exec_lo
	v_cmpx_ne_u16_e32 0x80, v16
	s_cbranch_execz .LBB6_13003
; %bb.12998:                            ;   in Loop: Header=BB6_11188 Depth=2
	v_and_b32_e32 v17, 0x7f, v113
	v_mov_b32_e32 v18, 0x7f800001
	s_mov_b32 s11, exec_lo
	s_delay_alu instid0(VALU_DEP_2)
	v_cmpx_ne_u32_e32 0x7f, v17
	s_cbranch_execz .LBB6_13002
; %bb.12999:                            ;   in Loop: Header=BB6_11188 Depth=2
	v_dual_lshrrev_b32 v18, 3, v17 :: v_dual_bitop2_b32 v52, 7, v16 bitop3:0x40
	v_cmp_gt_u32_e32 vcc_lo, 8, v17
	s_delay_alu instid0(VALU_DEP_2)
	v_mov_b64_e32 v[16:17], v[52:53]
	s_and_saveexec_b32 s29, vcc_lo
; %bb.13000:                            ;   in Loop: Header=BB6_11188 Depth=2
	v_clz_i32_u32_e32 v16, v52
	s_delay_alu instid0(VALU_DEP_1) | instskip(NEXT) | instid1(VALU_DEP_1)
	v_min_u32_e32 v18, 32, v16
	v_subrev_nc_u32_e32 v16, 28, v18
	s_delay_alu instid0(VALU_DEP_1) | instskip(NEXT) | instid1(VALU_DEP_1)
	v_lshlrev_b64_e32 v[16:17], v16, v[52:53]
	v_dual_sub_nc_u32 v18, 29, v18 :: v_dual_bitop2_b32 v16, 7, v16 bitop3:0x40
; %bb.13001:                            ;   in Loop: Header=BB6_11188 Depth=2
	s_or_b32 exec_lo, exec_lo, s29
	s_delay_alu instid0(VALU_DEP_1) | instskip(NEXT) | instid1(VALU_DEP_2)
	v_dual_lshlrev_b32 v17, 24, v113 :: v_dual_lshlrev_b32 v16, 20, v16
	v_lshl_add_u32 v18, v18, 23, 0x3c000000
	s_delay_alu instid0(VALU_DEP_2) | instskip(NEXT) | instid1(VALU_DEP_1)
	v_and_b32_e32 v17, 0x80000000, v17
	v_or3_b32 v18, v16, v17, v18
.LBB6_13002:                            ;   in Loop: Header=BB6_11188 Depth=2
	s_or_b32 exec_lo, exec_lo, s11
.LBB6_13003:                            ;   in Loop: Header=BB6_11188 Depth=2
	s_delay_alu instid0(SALU_CYCLE_1)
	s_or_b32 exec_lo, exec_lo, s10
.LBB6_13004:                            ;   in Loop: Header=BB6_11188 Depth=2
	s_delay_alu instid0(SALU_CYCLE_1) | instskip(NEXT) | instid1(VALU_DEP_1)
	s_or_b32 exec_lo, exec_lo, s7
	v_add_f32_e32 v16, v19, v18
                                        ; implicit-def: $vgpr24
	s_mov_b32 s7, exec_lo
	s_delay_alu instid0(VALU_DEP_1) | instskip(SKIP_1) | instid1(VALU_DEP_2)
	v_and_b32_e32 v52, 0x7f800000, v16
	v_lshrrev_b32_e32 v17, 24, v16
	v_cmpx_ne_u64_e32 0x7f800000, v[52:53]
	s_xor_b32 s10, exec_lo, s7
	s_cbranch_execz .LBB6_13022
; %bb.13005:                            ;   in Loop: Header=BB6_11188 Depth=2
	v_and_b32_e32 v52, 0x7fffffff, v16
	v_and_b32_e32 v113, 0x80, v17
                                        ; implicit-def: $vgpr24
	s_mov_b32 s7, exec_lo
	s_delay_alu instid0(VALU_DEP_2)
	v_cmpx_gt_u64_e32 0x43e00001, v[52:53]
	s_xor_b32 s11, exec_lo, s7
	s_cbranch_execz .LBB6_13019
; %bb.13006:                            ;   in Loop: Header=BB6_11188 Depth=2
	v_mov_b32_e32 v24, 0
	s_mov_b32 s29, exec_lo
	v_cmpx_ne_u32_e32 0, v16
	s_cbranch_execz .LBB6_13018
; %bb.13007:                            ;   in Loop: Header=BB6_11188 Depth=2
	v_bfe_u32 v24, v16, 23, 8
	v_and_b32_e32 v18, 0x7fffff, v16
	s_delay_alu instid0(VALU_DEP_2) | instskip(NEXT) | instid1(VALU_DEP_2)
	v_cmp_gt_u32_e32 vcc_lo, 0x7a, v24
	v_or_b32_e32 v19, 0x800000, v18
	v_sub_nc_u32_e32 v17, 0x79, v24
	s_delay_alu instid0(VALU_DEP_1) | instskip(SKIP_1) | instid1(VALU_DEP_2)
	v_cndmask_b32_e32 v17, 0, v17, vcc_lo
	v_cmp_eq_u32_e32 vcc_lo, 0, v24
	v_cndmask_b32_e64 v114, v17, 0x78, vcc_lo
	v_cndmask_b32_e32 v52, v19, v18, vcc_lo
	s_delay_alu instid0(VALU_DEP_2) | instskip(NEXT) | instid1(VALU_DEP_1)
	v_dual_add_nc_u32 v16, 20, v114 :: v_dual_add_nc_u32 v115, 19, v114
	v_lshlrev_b64_e64 v[16:17], v16, -1
	s_delay_alu instid0(VALU_DEP_2) | instskip(NEXT) | instid1(VALU_DEP_2)
	v_lshlrev_b64_e64 v[18:19], v115, 1
	v_bfi_b32 v117, v17, 0, 0
	s_delay_alu instid0(VALU_DEP_3) | instskip(SKIP_1) | instid1(VALU_DEP_2)
	v_bfi_b32 v116, v16, 0, v52
	v_lshrrev_b64 v[16:17], v114, v[52:53]
	v_cmp_eq_u64_e64 s7, v[116:117], v[18:19]
	s_delay_alu instid0(VALU_DEP_2)
	v_mov_b64_e32 v[18:19], v[16:17]
	s_and_saveexec_b32 s40, s7
; %bb.13008:                            ;   in Loop: Header=BB6_11188 Depth=2
	v_bfe_u32 v52, v16, 20, 1
	s_delay_alu instid0(VALU_DEP_1) | instskip(NEXT) | instid1(VALU_DEP_1)
	v_add_nc_u64_e32 v[18:19], v[16:17], v[52:53]
	v_add_nc_u64_e32 v[18:19], -1, v[18:19]
; %bb.13009:                            ;   in Loop: Header=BB6_11188 Depth=2
	s_or_b32 exec_lo, exec_lo, s40
	v_add_nc_u32_e32 v17, 0xffffff81, v24
	v_lshrrev_b32_e32 v19, 23, v16
	s_mov_b32 s7, exec_lo
	s_delay_alu instid0(VALU_DEP_2) | instskip(NEXT) | instid1(VALU_DEP_1)
	v_cndmask_b32_e64 v17, v17, 0xffffff82, vcc_lo
	v_add3_u32 v19, v114, v17, v19
	v_and_b32_e32 v17, 0xfffff, v18
                                        ; implicit-def: $vgpr18
	s_delay_alu instid0(VALU_DEP_1) | instskip(NEXT) | instid1(VALU_DEP_1)
	v_dual_add_nc_u32 v24, 6, v19 :: v_dual_add_nc_u32 v52, v17, v16
                                        ; implicit-def: $vgpr16_vgpr17
	v_cmpx_ne_u32_e32 0, v24
	s_xor_b32 s7, exec_lo, s7
; %bb.13010:                            ;   in Loop: Header=BB6_11188 Depth=2
	s_delay_alu instid0(VALU_DEP_2) | instskip(SKIP_1) | instid1(VALU_DEP_1)
	v_cmp_lt_u64_e32 vcc_lo, 0xffffff, v[52:53]
	v_add_nc_u32_e32 v16, 7, v19
	v_cndmask_b32_e32 v18, v24, v16, vcc_lo
	v_cndmask_b32_e64 v16, 0, 1, vcc_lo
	s_delay_alu instid0(VALU_DEP_1)
	v_lshrrev_b64 v[16:17], v16, v[52:53]
; %bb.13011:                            ;   in Loop: Header=BB6_11188 Depth=2
	s_and_not1_saveexec_b32 s7, s7
; %bb.13012:                            ;   in Loop: Header=BB6_11188 Depth=2
	v_mov_b64_e32 v[16:17], v[52:53]
	v_bfe_u32 v18, v52, 23, 1
; %bb.13013:                            ;   in Loop: Header=BB6_11188 Depth=2
	s_or_b32 exec_lo, exec_lo, s7
	s_delay_alu instid0(VALU_DEP_2) | instskip(NEXT) | instid1(VALU_DEP_2)
	v_lshrrev_b64 v[16:17], 20, v[16:17]
	v_cmp_gt_i32_e32 vcc_lo, 16, v18
	v_cmp_ne_u32_e64 s7, 0, v18
                                        ; implicit-def: $vgpr24
	s_delay_alu instid0(VALU_DEP_3) | instskip(NEXT) | instid1(VALU_DEP_1)
	v_dual_cndmask_b32 v17, 0, v17 :: v_dual_cndmask_b32 v16, 7, v16
	v_cmp_ne_u64_e32 vcc_lo, 0, v[16:17]
	s_or_b32 s7, s7, vcc_lo
	s_delay_alu instid0(SALU_CYCLE_1) | instskip(NEXT) | instid1(SALU_CYCLE_1)
	s_and_saveexec_b32 s40, s7
	s_xor_b32 s7, exec_lo, s40
; %bb.13014:                            ;   in Loop: Header=BB6_11188 Depth=2
	v_min_i32_e32 v17, 15, v18
	s_delay_alu instid0(VALU_DEP_1) | instskip(NEXT) | instid1(VALU_DEP_1)
	v_lshl_or_b32 v17, v17, 3, v113
                                        ; implicit-def: $vgpr113
	v_and_or_b32 v24, v16, 7, v17
; %bb.13015:                            ;   in Loop: Header=BB6_11188 Depth=2
	s_and_not1_saveexec_b32 s7, s7
; %bb.13016:                            ;   in Loop: Header=BB6_11188 Depth=2
	v_mov_b32_e32 v24, v113
; %bb.13017:                            ;   in Loop: Header=BB6_11188 Depth=2
	s_or_b32 exec_lo, exec_lo, s7
.LBB6_13018:                            ;   in Loop: Header=BB6_11188 Depth=2
	s_delay_alu instid0(SALU_CYCLE_1)
	s_or_b32 exec_lo, exec_lo, s29
                                        ; implicit-def: $vgpr113
.LBB6_13019:                            ;   in Loop: Header=BB6_11188 Depth=2
	s_and_not1_saveexec_b32 s7, s11
; %bb.13020:                            ;   in Loop: Header=BB6_11188 Depth=2
	v_or_b32_e32 v24, 0x7e, v113
; %bb.13021:                            ;   in Loop: Header=BB6_11188 Depth=2
	s_or_b32 exec_lo, exec_lo, s7
                                        ; implicit-def: $vgpr17
.LBB6_13022:                            ;   in Loop: Header=BB6_11188 Depth=2
	s_and_not1_saveexec_b32 s7, s10
; %bb.13023:                            ;   in Loop: Header=BB6_11188 Depth=2
	v_or_b32_e32 v24, 0x7f, v17
; %bb.13024:                            ;   in Loop: Header=BB6_11188 Depth=2
	s_or_b32 exec_lo, exec_lo, s7
	v_and_b32_e32 v16, 0xff, v9
	v_dual_mov_b32 v18, 0 :: v_dual_mov_b32 v19, 0
	s_mov_b32 s7, exec_lo
	s_delay_alu instid0(VALU_DEP_2)
	v_cmpx_ne_u16_e32 0, v16
	s_cbranch_execz .LBB6_13032
; %bb.13025:                            ;   in Loop: Header=BB6_11188 Depth=2
	v_bfrev_b32_e32 v19, 1
	s_mov_b32 s10, exec_lo
	v_cmpx_ne_u16_e32 0x80, v16
	s_cbranch_execz .LBB6_13031
; %bb.13026:                            ;   in Loop: Header=BB6_11188 Depth=2
	v_and_b32_e32 v17, 0x7f, v9
	v_mov_b32_e32 v19, 0x7f800001
	s_mov_b32 s11, exec_lo
	s_delay_alu instid0(VALU_DEP_2)
	v_cmpx_ne_u32_e32 0x7f, v17
	s_cbranch_execz .LBB6_13030
; %bb.13027:                            ;   in Loop: Header=BB6_11188 Depth=2
	v_dual_lshrrev_b32 v19, 3, v17 :: v_dual_bitop2_b32 v52, 7, v16 bitop3:0x40
	v_cmp_gt_u32_e32 vcc_lo, 8, v17
	s_delay_alu instid0(VALU_DEP_2)
	v_mov_b64_e32 v[16:17], v[52:53]
	s_and_saveexec_b32 s29, vcc_lo
; %bb.13028:                            ;   in Loop: Header=BB6_11188 Depth=2
	v_clz_i32_u32_e32 v16, v52
	s_delay_alu instid0(VALU_DEP_1) | instskip(NEXT) | instid1(VALU_DEP_1)
	v_min_u32_e32 v19, 32, v16
	v_subrev_nc_u32_e32 v16, 28, v19
	s_delay_alu instid0(VALU_DEP_1) | instskip(NEXT) | instid1(VALU_DEP_1)
	v_lshlrev_b64_e32 v[16:17], v16, v[52:53]
	v_dual_sub_nc_u32 v19, 29, v19 :: v_dual_bitop2_b32 v16, 7, v16 bitop3:0x40
; %bb.13029:                            ;   in Loop: Header=BB6_11188 Depth=2
	s_or_b32 exec_lo, exec_lo, s29
	s_delay_alu instid0(VALU_DEP_1) | instskip(NEXT) | instid1(VALU_DEP_2)
	v_dual_lshlrev_b32 v9, 24, v9 :: v_dual_lshlrev_b32 v16, 20, v16
	v_lshl_add_u32 v17, v19, 23, 0x3c000000
	s_delay_alu instid0(VALU_DEP_2) | instskip(NEXT) | instid1(VALU_DEP_1)
	v_and_b32_e32 v9, 0x80000000, v9
	v_or3_b32 v19, v16, v9, v17
.LBB6_13030:                            ;   in Loop: Header=BB6_11188 Depth=2
	s_or_b32 exec_lo, exec_lo, s11
.LBB6_13031:                            ;   in Loop: Header=BB6_11188 Depth=2
	s_delay_alu instid0(SALU_CYCLE_1)
	s_or_b32 exec_lo, exec_lo, s10
.LBB6_13032:                            ;   in Loop: Header=BB6_11188 Depth=2
	s_delay_alu instid0(SALU_CYCLE_1) | instskip(SKIP_3) | instid1(VALU_DEP_1)
	s_or_b32 exec_lo, exec_lo, s7
	s_wait_loadcnt_dscnt 0x505
	v_and_b32_e32 v9, 0xff, v102
	s_mov_b32 s7, exec_lo
	v_cmpx_ne_u16_e32 0, v9
	s_cbranch_execz .LBB6_13040
; %bb.13033:                            ;   in Loop: Header=BB6_11188 Depth=2
	v_bfrev_b32_e32 v18, 1
	s_mov_b32 s10, exec_lo
	v_cmpx_ne_u16_e32 0x80, v9
	s_cbranch_execz .LBB6_13039
; %bb.13034:                            ;   in Loop: Header=BB6_11188 Depth=2
	v_and_b32_e32 v16, 0x7f, v102
	v_mov_b32_e32 v18, 0x7f800001
	s_mov_b32 s11, exec_lo
	s_delay_alu instid0(VALU_DEP_2)
	v_cmpx_ne_u32_e32 0x7f, v16
	s_cbranch_execz .LBB6_13038
; %bb.13035:                            ;   in Loop: Header=BB6_11188 Depth=2
	v_dual_lshrrev_b32 v9, 3, v16 :: v_dual_bitop2_b32 v52, 7, v9 bitop3:0x40
	v_cmp_gt_u32_e32 vcc_lo, 8, v16
	s_delay_alu instid0(VALU_DEP_2)
	v_mov_b64_e32 v[16:17], v[52:53]
	s_and_saveexec_b32 s29, vcc_lo
; %bb.13036:                            ;   in Loop: Header=BB6_11188 Depth=2
	v_clz_i32_u32_e32 v9, v52
	s_delay_alu instid0(VALU_DEP_1) | instskip(NEXT) | instid1(VALU_DEP_1)
	v_min_u32_e32 v9, 32, v9
	v_subrev_nc_u32_e32 v16, 28, v9
	s_delay_alu instid0(VALU_DEP_1) | instskip(NEXT) | instid1(VALU_DEP_1)
	v_lshlrev_b64_e32 v[16:17], v16, v[52:53]
	v_dual_sub_nc_u32 v9, 29, v9 :: v_dual_bitop2_b32 v16, 7, v16 bitop3:0x40
; %bb.13037:                            ;   in Loop: Header=BB6_11188 Depth=2
	s_or_b32 exec_lo, exec_lo, s29
	s_delay_alu instid0(VALU_DEP_1) | instskip(NEXT) | instid1(VALU_DEP_2)
	v_dual_lshlrev_b32 v17, 24, v102 :: v_dual_lshlrev_b32 v16, 20, v16
	v_lshl_add_u32 v9, v9, 23, 0x3c000000
	s_delay_alu instid0(VALU_DEP_2) | instskip(NEXT) | instid1(VALU_DEP_1)
	v_and_b32_e32 v17, 0x80000000, v17
	v_or3_b32 v18, v16, v17, v9
.LBB6_13038:                            ;   in Loop: Header=BB6_11188 Depth=2
	s_or_b32 exec_lo, exec_lo, s11
.LBB6_13039:                            ;   in Loop: Header=BB6_11188 Depth=2
	s_delay_alu instid0(SALU_CYCLE_1)
	s_or_b32 exec_lo, exec_lo, s10
.LBB6_13040:                            ;   in Loop: Header=BB6_11188 Depth=2
	s_delay_alu instid0(SALU_CYCLE_1) | instskip(NEXT) | instid1(VALU_DEP_1)
	s_or_b32 exec_lo, exec_lo, s7
	v_add_f32_e32 v16, v19, v18
                                        ; implicit-def: $vgpr9
	s_mov_b32 s7, exec_lo
	s_delay_alu instid0(VALU_DEP_1) | instskip(SKIP_1) | instid1(VALU_DEP_2)
	v_and_b32_e32 v52, 0x7f800000, v16
	v_lshrrev_b32_e32 v17, 24, v16
	v_cmpx_ne_u64_e32 0x7f800000, v[52:53]
	s_xor_b32 s10, exec_lo, s7
	s_cbranch_execz .LBB6_13058
; %bb.13041:                            ;   in Loop: Header=BB6_11188 Depth=2
	v_and_b32_e32 v52, 0x7fffffff, v16
	v_and_b32_e32 v102, 0x80, v17
                                        ; implicit-def: $vgpr9
	s_mov_b32 s7, exec_lo
	s_delay_alu instid0(VALU_DEP_2)
	v_cmpx_gt_u64_e32 0x43e00001, v[52:53]
	s_xor_b32 s11, exec_lo, s7
	s_cbranch_execz .LBB6_13055
; %bb.13042:                            ;   in Loop: Header=BB6_11188 Depth=2
	v_mov_b32_e32 v9, 0
	s_mov_b32 s29, exec_lo
	v_cmpx_ne_u32_e32 0, v16
	s_cbranch_execz .LBB6_13054
; %bb.13043:                            ;   in Loop: Header=BB6_11188 Depth=2
	v_bfe_u32 v9, v16, 23, 8
	v_and_b32_e32 v18, 0x7fffff, v16
	s_delay_alu instid0(VALU_DEP_2) | instskip(NEXT) | instid1(VALU_DEP_2)
	v_cmp_gt_u32_e32 vcc_lo, 0x7a, v9
	v_or_b32_e32 v19, 0x800000, v18
	v_sub_nc_u32_e32 v17, 0x79, v9
	s_delay_alu instid0(VALU_DEP_1) | instskip(SKIP_1) | instid1(VALU_DEP_2)
	v_cndmask_b32_e32 v17, 0, v17, vcc_lo
	v_cmp_eq_u32_e32 vcc_lo, 0, v9
	v_cndmask_b32_e64 v113, v17, 0x78, vcc_lo
	s_delay_alu instid0(VALU_DEP_1) | instskip(SKIP_1) | instid1(VALU_DEP_2)
	v_dual_cndmask_b32 v52, v19, v18, vcc_lo :: v_dual_add_nc_u32 v16, 20, v113
	v_add_nc_u32_e32 v114, 19, v113
	v_lshlrev_b64_e64 v[16:17], v16, -1
	s_delay_alu instid0(VALU_DEP_2) | instskip(NEXT) | instid1(VALU_DEP_2)
	v_lshlrev_b64_e64 v[18:19], v114, 1
	v_bfi_b32 v115, v17, 0, 0
	s_delay_alu instid0(VALU_DEP_3) | instskip(SKIP_1) | instid1(VALU_DEP_2)
	v_bfi_b32 v114, v16, 0, v52
	v_lshrrev_b64 v[16:17], v113, v[52:53]
	v_cmp_eq_u64_e64 s7, v[114:115], v[18:19]
	s_delay_alu instid0(VALU_DEP_2)
	v_mov_b64_e32 v[18:19], v[16:17]
	s_and_saveexec_b32 s40, s7
; %bb.13044:                            ;   in Loop: Header=BB6_11188 Depth=2
	v_bfe_u32 v52, v16, 20, 1
	s_delay_alu instid0(VALU_DEP_1) | instskip(NEXT) | instid1(VALU_DEP_1)
	v_add_nc_u64_e32 v[18:19], v[16:17], v[52:53]
	v_add_nc_u64_e32 v[18:19], -1, v[18:19]
; %bb.13045:                            ;   in Loop: Header=BB6_11188 Depth=2
	s_or_b32 exec_lo, exec_lo, s40
	v_add_nc_u32_e32 v9, 0xffffff81, v9
	v_lshrrev_b32_e32 v17, 23, v16
	s_mov_b32 s7, exec_lo
	s_delay_alu instid0(VALU_DEP_2) | instskip(NEXT) | instid1(VALU_DEP_1)
	v_cndmask_b32_e64 v9, v9, 0xffffff82, vcc_lo
	v_add3_u32 v9, v113, v9, v17
	v_and_b32_e32 v17, 0xfffff, v18
                                        ; implicit-def: $vgpr18
	s_delay_alu instid0(VALU_DEP_1) | instskip(NEXT) | instid1(VALU_DEP_1)
	v_dual_add_nc_u32 v19, 6, v9 :: v_dual_add_nc_u32 v52, v17, v16
                                        ; implicit-def: $vgpr16_vgpr17
	v_cmpx_ne_u32_e32 0, v19
	s_xor_b32 s7, exec_lo, s7
; %bb.13046:                            ;   in Loop: Header=BB6_11188 Depth=2
	s_delay_alu instid0(VALU_DEP_2) | instskip(SKIP_1) | instid1(VALU_DEP_1)
	v_cmp_lt_u64_e32 vcc_lo, 0xffffff, v[52:53]
	v_add_nc_u32_e32 v9, 7, v9
	v_cndmask_b32_e32 v18, v19, v9, vcc_lo
	v_cndmask_b32_e64 v9, 0, 1, vcc_lo
	s_delay_alu instid0(VALU_DEP_1)
	v_lshrrev_b64 v[16:17], v9, v[52:53]
; %bb.13047:                            ;   in Loop: Header=BB6_11188 Depth=2
	s_and_not1_saveexec_b32 s7, s7
; %bb.13048:                            ;   in Loop: Header=BB6_11188 Depth=2
	v_mov_b64_e32 v[16:17], v[52:53]
	v_bfe_u32 v18, v52, 23, 1
; %bb.13049:                            ;   in Loop: Header=BB6_11188 Depth=2
	s_or_b32 exec_lo, exec_lo, s7
	s_delay_alu instid0(VALU_DEP_2) | instskip(NEXT) | instid1(VALU_DEP_2)
	v_lshrrev_b64 v[16:17], 20, v[16:17]
	v_cmp_gt_i32_e32 vcc_lo, 16, v18
	v_cmp_ne_u32_e64 s7, 0, v18
                                        ; implicit-def: $vgpr9
	s_delay_alu instid0(VALU_DEP_3) | instskip(NEXT) | instid1(VALU_DEP_1)
	v_dual_cndmask_b32 v17, 0, v17 :: v_dual_cndmask_b32 v16, 7, v16
	v_cmp_ne_u64_e32 vcc_lo, 0, v[16:17]
	s_or_b32 s7, s7, vcc_lo
	s_delay_alu instid0(SALU_CYCLE_1) | instskip(NEXT) | instid1(SALU_CYCLE_1)
	s_and_saveexec_b32 s40, s7
	s_xor_b32 s7, exec_lo, s40
; %bb.13050:                            ;   in Loop: Header=BB6_11188 Depth=2
	v_min_i32_e32 v9, 15, v18
	s_delay_alu instid0(VALU_DEP_1) | instskip(NEXT) | instid1(VALU_DEP_1)
	v_lshl_or_b32 v9, v9, 3, v102
                                        ; implicit-def: $vgpr102
	v_and_or_b32 v9, v16, 7, v9
; %bb.13051:                            ;   in Loop: Header=BB6_11188 Depth=2
	s_and_not1_saveexec_b32 s7, s7
; %bb.13052:                            ;   in Loop: Header=BB6_11188 Depth=2
	v_mov_b32_e32 v9, v102
; %bb.13053:                            ;   in Loop: Header=BB6_11188 Depth=2
	s_or_b32 exec_lo, exec_lo, s7
.LBB6_13054:                            ;   in Loop: Header=BB6_11188 Depth=2
	s_delay_alu instid0(SALU_CYCLE_1)
	s_or_b32 exec_lo, exec_lo, s29
                                        ; implicit-def: $vgpr102
.LBB6_13055:                            ;   in Loop: Header=BB6_11188 Depth=2
	s_and_not1_saveexec_b32 s7, s11
; %bb.13056:                            ;   in Loop: Header=BB6_11188 Depth=2
	v_or_b32_e32 v9, 0x7e, v102
; %bb.13057:                            ;   in Loop: Header=BB6_11188 Depth=2
	s_or_b32 exec_lo, exec_lo, s7
                                        ; implicit-def: $vgpr17
.LBB6_13058:                            ;   in Loop: Header=BB6_11188 Depth=2
	s_and_not1_saveexec_b32 s7, s10
; %bb.13059:                            ;   in Loop: Header=BB6_11188 Depth=2
	v_or_b32_e32 v9, 0x7f, v17
; %bb.13060:                            ;   in Loop: Header=BB6_11188 Depth=2
	s_or_b32 exec_lo, exec_lo, s7
	v_and_b32_e32 v16, 0xff, v8
	v_dual_mov_b32 v18, 0 :: v_dual_mov_b32 v19, 0
	s_mov_b32 s7, exec_lo
	s_delay_alu instid0(VALU_DEP_2)
	v_cmpx_ne_u16_e32 0, v16
	s_cbranch_execz .LBB6_13068
; %bb.13061:                            ;   in Loop: Header=BB6_11188 Depth=2
	v_bfrev_b32_e32 v19, 1
	s_mov_b32 s10, exec_lo
	v_cmpx_ne_u16_e32 0x80, v16
	s_cbranch_execz .LBB6_13067
; %bb.13062:                            ;   in Loop: Header=BB6_11188 Depth=2
	v_and_b32_e32 v17, 0x7f, v8
	v_mov_b32_e32 v19, 0x7f800001
	s_mov_b32 s11, exec_lo
	s_delay_alu instid0(VALU_DEP_2)
	v_cmpx_ne_u32_e32 0x7f, v17
	s_cbranch_execz .LBB6_13066
; %bb.13063:                            ;   in Loop: Header=BB6_11188 Depth=2
	v_dual_lshrrev_b32 v19, 3, v17 :: v_dual_bitop2_b32 v52, 7, v16 bitop3:0x40
	v_cmp_gt_u32_e32 vcc_lo, 8, v17
	s_delay_alu instid0(VALU_DEP_2)
	v_mov_b64_e32 v[16:17], v[52:53]
	s_and_saveexec_b32 s29, vcc_lo
; %bb.13064:                            ;   in Loop: Header=BB6_11188 Depth=2
	v_clz_i32_u32_e32 v16, v52
	s_delay_alu instid0(VALU_DEP_1) | instskip(NEXT) | instid1(VALU_DEP_1)
	v_min_u32_e32 v19, 32, v16
	v_subrev_nc_u32_e32 v16, 28, v19
	s_delay_alu instid0(VALU_DEP_1) | instskip(NEXT) | instid1(VALU_DEP_1)
	v_lshlrev_b64_e32 v[16:17], v16, v[52:53]
	v_dual_sub_nc_u32 v19, 29, v19 :: v_dual_bitop2_b32 v16, 7, v16 bitop3:0x40
; %bb.13065:                            ;   in Loop: Header=BB6_11188 Depth=2
	s_or_b32 exec_lo, exec_lo, s29
	v_lshlrev_b32_e32 v8, 24, v8
	s_delay_alu instid0(VALU_DEP_2) | instskip(NEXT) | instid1(VALU_DEP_3)
	v_lshlrev_b32_e32 v16, 20, v16
	v_lshl_add_u32 v17, v19, 23, 0x3c000000
	s_delay_alu instid0(VALU_DEP_3) | instskip(NEXT) | instid1(VALU_DEP_1)
	v_and_b32_e32 v8, 0x80000000, v8
	v_or3_b32 v19, v16, v8, v17
.LBB6_13066:                            ;   in Loop: Header=BB6_11188 Depth=2
	s_or_b32 exec_lo, exec_lo, s11
.LBB6_13067:                            ;   in Loop: Header=BB6_11188 Depth=2
	s_delay_alu instid0(SALU_CYCLE_1)
	s_or_b32 exec_lo, exec_lo, s10
.LBB6_13068:                            ;   in Loop: Header=BB6_11188 Depth=2
	s_delay_alu instid0(SALU_CYCLE_1) | instskip(SKIP_3) | instid1(VALU_DEP_1)
	s_or_b32 exec_lo, exec_lo, s7
	s_wait_loadcnt_dscnt 0x404
	v_and_b32_e32 v8, 0xff, v87
	s_mov_b32 s7, exec_lo
	v_cmpx_ne_u16_e32 0, v8
	s_cbranch_execz .LBB6_13076
; %bb.13069:                            ;   in Loop: Header=BB6_11188 Depth=2
	v_bfrev_b32_e32 v18, 1
	s_mov_b32 s10, exec_lo
	v_cmpx_ne_u16_e32 0x80, v8
	s_cbranch_execz .LBB6_13075
; %bb.13070:                            ;   in Loop: Header=BB6_11188 Depth=2
	v_and_b32_e32 v16, 0x7f, v87
	v_mov_b32_e32 v18, 0x7f800001
	s_mov_b32 s11, exec_lo
	s_delay_alu instid0(VALU_DEP_2)
	v_cmpx_ne_u32_e32 0x7f, v16
	s_cbranch_execz .LBB6_13074
; %bb.13071:                            ;   in Loop: Header=BB6_11188 Depth=2
	v_and_b32_e32 v52, 7, v8
	v_lshrrev_b32_e32 v8, 3, v16
	v_cmp_gt_u32_e32 vcc_lo, 8, v16
	s_delay_alu instid0(VALU_DEP_3)
	v_mov_b64_e32 v[16:17], v[52:53]
	s_and_saveexec_b32 s29, vcc_lo
; %bb.13072:                            ;   in Loop: Header=BB6_11188 Depth=2
	v_clz_i32_u32_e32 v8, v52
	s_delay_alu instid0(VALU_DEP_1) | instskip(NEXT) | instid1(VALU_DEP_1)
	v_min_u32_e32 v8, 32, v8
	v_subrev_nc_u32_e32 v16, 28, v8
	v_sub_nc_u32_e32 v8, 29, v8
	s_delay_alu instid0(VALU_DEP_2) | instskip(NEXT) | instid1(VALU_DEP_1)
	v_lshlrev_b64_e32 v[16:17], v16, v[52:53]
	v_and_b32_e32 v16, 7, v16
; %bb.13073:                            ;   in Loop: Header=BB6_11188 Depth=2
	s_or_b32 exec_lo, exec_lo, s29
	s_delay_alu instid0(VALU_DEP_1) | instskip(SKIP_1) | instid1(VALU_DEP_2)
	v_dual_lshlrev_b32 v17, 24, v87 :: v_dual_lshlrev_b32 v16, 20, v16
	v_lshl_add_u32 v8, v8, 23, 0x3c000000
	v_and_b32_e32 v17, 0x80000000, v17
	s_delay_alu instid0(VALU_DEP_1)
	v_or3_b32 v18, v16, v17, v8
.LBB6_13074:                            ;   in Loop: Header=BB6_11188 Depth=2
	s_or_b32 exec_lo, exec_lo, s11
.LBB6_13075:                            ;   in Loop: Header=BB6_11188 Depth=2
	s_delay_alu instid0(SALU_CYCLE_1)
	s_or_b32 exec_lo, exec_lo, s10
.LBB6_13076:                            ;   in Loop: Header=BB6_11188 Depth=2
	s_delay_alu instid0(SALU_CYCLE_1) | instskip(NEXT) | instid1(VALU_DEP_1)
	s_or_b32 exec_lo, exec_lo, s7
	v_add_f32_e32 v16, v19, v18
                                        ; implicit-def: $vgpr8
	s_mov_b32 s7, exec_lo
	s_delay_alu instid0(VALU_DEP_1) | instskip(SKIP_1) | instid1(VALU_DEP_2)
	v_and_b32_e32 v52, 0x7f800000, v16
	v_lshrrev_b32_e32 v17, 24, v16
	v_cmpx_ne_u64_e32 0x7f800000, v[52:53]
	s_xor_b32 s10, exec_lo, s7
	s_cbranch_execz .LBB6_13094
; %bb.13077:                            ;   in Loop: Header=BB6_11188 Depth=2
	v_and_b32_e32 v52, 0x7fffffff, v16
	v_and_b32_e32 v87, 0x80, v17
                                        ; implicit-def: $vgpr8
	s_mov_b32 s7, exec_lo
	s_delay_alu instid0(VALU_DEP_2)
	v_cmpx_gt_u64_e32 0x43e00001, v[52:53]
	s_xor_b32 s11, exec_lo, s7
	s_cbranch_execz .LBB6_13091
; %bb.13078:                            ;   in Loop: Header=BB6_11188 Depth=2
	v_mov_b32_e32 v8, 0
	s_mov_b32 s29, exec_lo
	v_cmpx_ne_u32_e32 0, v16
	s_cbranch_execz .LBB6_13090
; %bb.13079:                            ;   in Loop: Header=BB6_11188 Depth=2
	v_bfe_u32 v8, v16, 23, 8
	v_and_b32_e32 v18, 0x7fffff, v16
	s_delay_alu instid0(VALU_DEP_2) | instskip(NEXT) | instid1(VALU_DEP_2)
	v_cmp_gt_u32_e32 vcc_lo, 0x7a, v8
	v_or_b32_e32 v19, 0x800000, v18
	v_sub_nc_u32_e32 v17, 0x79, v8
	s_delay_alu instid0(VALU_DEP_1) | instskip(SKIP_1) | instid1(VALU_DEP_2)
	v_cndmask_b32_e32 v17, 0, v17, vcc_lo
	v_cmp_eq_u32_e32 vcc_lo, 0, v8
	v_cndmask_b32_e64 v102, v17, 0x78, vcc_lo
	v_cndmask_b32_e32 v52, v19, v18, vcc_lo
	s_delay_alu instid0(VALU_DEP_2) | instskip(NEXT) | instid1(VALU_DEP_1)
	v_dual_add_nc_u32 v16, 20, v102 :: v_dual_add_nc_u32 v113, 19, v102
	v_lshlrev_b64_e64 v[16:17], v16, -1
	s_delay_alu instid0(VALU_DEP_2) | instskip(NEXT) | instid1(VALU_DEP_2)
	v_lshlrev_b64_e64 v[18:19], v113, 1
	v_bfi_b32 v115, v17, 0, 0
	s_delay_alu instid0(VALU_DEP_3) | instskip(SKIP_1) | instid1(VALU_DEP_2)
	v_bfi_b32 v114, v16, 0, v52
	v_lshrrev_b64 v[16:17], v102, v[52:53]
	v_cmp_eq_u64_e64 s7, v[114:115], v[18:19]
	s_delay_alu instid0(VALU_DEP_2)
	v_mov_b64_e32 v[18:19], v[16:17]
	s_and_saveexec_b32 s40, s7
; %bb.13080:                            ;   in Loop: Header=BB6_11188 Depth=2
	v_bfe_u32 v52, v16, 20, 1
	s_delay_alu instid0(VALU_DEP_1) | instskip(NEXT) | instid1(VALU_DEP_1)
	v_add_nc_u64_e32 v[18:19], v[16:17], v[52:53]
	v_add_nc_u64_e32 v[18:19], -1, v[18:19]
; %bb.13081:                            ;   in Loop: Header=BB6_11188 Depth=2
	s_or_b32 exec_lo, exec_lo, s40
	v_add_nc_u32_e32 v8, 0xffffff81, v8
	v_lshrrev_b32_e32 v17, 23, v16
	s_mov_b32 s7, exec_lo
	s_delay_alu instid0(VALU_DEP_2) | instskip(NEXT) | instid1(VALU_DEP_1)
	v_cndmask_b32_e64 v8, v8, 0xffffff82, vcc_lo
	v_add3_u32 v8, v102, v8, v17
	v_and_b32_e32 v17, 0xfffff, v18
                                        ; implicit-def: $vgpr18
	s_delay_alu instid0(VALU_DEP_2) | instskip(NEXT) | instid1(VALU_DEP_2)
	v_add_nc_u32_e32 v19, 6, v8
	v_add_nc_u32_e32 v52, v17, v16
                                        ; implicit-def: $vgpr16_vgpr17
	s_delay_alu instid0(VALU_DEP_2)
	v_cmpx_ne_u32_e32 0, v19
	s_xor_b32 s7, exec_lo, s7
; %bb.13082:                            ;   in Loop: Header=BB6_11188 Depth=2
	s_delay_alu instid0(VALU_DEP_2) | instskip(SKIP_1) | instid1(VALU_DEP_1)
	v_cmp_lt_u64_e32 vcc_lo, 0xffffff, v[52:53]
	v_add_nc_u32_e32 v8, 7, v8
	v_cndmask_b32_e32 v18, v19, v8, vcc_lo
	v_cndmask_b32_e64 v8, 0, 1, vcc_lo
	s_delay_alu instid0(VALU_DEP_1)
	v_lshrrev_b64 v[16:17], v8, v[52:53]
; %bb.13083:                            ;   in Loop: Header=BB6_11188 Depth=2
	s_and_not1_saveexec_b32 s7, s7
; %bb.13084:                            ;   in Loop: Header=BB6_11188 Depth=2
	v_mov_b64_e32 v[16:17], v[52:53]
	v_bfe_u32 v18, v52, 23, 1
; %bb.13085:                            ;   in Loop: Header=BB6_11188 Depth=2
	s_or_b32 exec_lo, exec_lo, s7
	s_delay_alu instid0(VALU_DEP_2) | instskip(NEXT) | instid1(VALU_DEP_2)
	v_lshrrev_b64 v[16:17], 20, v[16:17]
	v_cmp_gt_i32_e32 vcc_lo, 16, v18
	v_cmp_ne_u32_e64 s7, 0, v18
                                        ; implicit-def: $vgpr8
	s_delay_alu instid0(VALU_DEP_3) | instskip(NEXT) | instid1(VALU_DEP_1)
	v_dual_cndmask_b32 v17, 0, v17 :: v_dual_cndmask_b32 v16, 7, v16
	v_cmp_ne_u64_e32 vcc_lo, 0, v[16:17]
	s_or_b32 s7, s7, vcc_lo
	s_delay_alu instid0(SALU_CYCLE_1) | instskip(NEXT) | instid1(SALU_CYCLE_1)
	s_and_saveexec_b32 s40, s7
	s_xor_b32 s7, exec_lo, s40
; %bb.13086:                            ;   in Loop: Header=BB6_11188 Depth=2
	v_min_i32_e32 v8, 15, v18
	s_delay_alu instid0(VALU_DEP_1) | instskip(NEXT) | instid1(VALU_DEP_1)
	v_lshl_or_b32 v8, v8, 3, v87
                                        ; implicit-def: $vgpr87
	v_and_or_b32 v8, v16, 7, v8
; %bb.13087:                            ;   in Loop: Header=BB6_11188 Depth=2
	s_and_not1_saveexec_b32 s7, s7
; %bb.13088:                            ;   in Loop: Header=BB6_11188 Depth=2
	v_mov_b32_e32 v8, v87
; %bb.13089:                            ;   in Loop: Header=BB6_11188 Depth=2
	s_or_b32 exec_lo, exec_lo, s7
.LBB6_13090:                            ;   in Loop: Header=BB6_11188 Depth=2
	s_delay_alu instid0(SALU_CYCLE_1)
	s_or_b32 exec_lo, exec_lo, s29
                                        ; implicit-def: $vgpr87
.LBB6_13091:                            ;   in Loop: Header=BB6_11188 Depth=2
	s_and_not1_saveexec_b32 s7, s11
; %bb.13092:                            ;   in Loop: Header=BB6_11188 Depth=2
	v_or_b32_e32 v8, 0x7e, v87
; %bb.13093:                            ;   in Loop: Header=BB6_11188 Depth=2
	s_or_b32 exec_lo, exec_lo, s7
                                        ; implicit-def: $vgpr17
.LBB6_13094:                            ;   in Loop: Header=BB6_11188 Depth=2
	s_and_not1_saveexec_b32 s7, s10
; %bb.13095:                            ;   in Loop: Header=BB6_11188 Depth=2
	v_or_b32_e32 v8, 0x7f, v17
; %bb.13096:                            ;   in Loop: Header=BB6_11188 Depth=2
	s_or_b32 exec_lo, exec_lo, s7
	v_and_b32_e32 v16, 0xff, v7
	v_dual_mov_b32 v18, 0 :: v_dual_mov_b32 v19, 0
	s_mov_b32 s7, exec_lo
	s_delay_alu instid0(VALU_DEP_2)
	v_cmpx_ne_u16_e32 0, v16
	s_cbranch_execz .LBB6_13104
; %bb.13097:                            ;   in Loop: Header=BB6_11188 Depth=2
	v_bfrev_b32_e32 v19, 1
	s_mov_b32 s10, exec_lo
	v_cmpx_ne_u16_e32 0x80, v16
	s_cbranch_execz .LBB6_13103
; %bb.13098:                            ;   in Loop: Header=BB6_11188 Depth=2
	v_and_b32_e32 v17, 0x7f, v7
	v_mov_b32_e32 v19, 0x7f800001
	s_mov_b32 s11, exec_lo
	s_delay_alu instid0(VALU_DEP_2)
	v_cmpx_ne_u32_e32 0x7f, v17
	s_cbranch_execz .LBB6_13102
; %bb.13099:                            ;   in Loop: Header=BB6_11188 Depth=2
	v_dual_lshrrev_b32 v19, 3, v17 :: v_dual_bitop2_b32 v52, 7, v16 bitop3:0x40
	v_cmp_gt_u32_e32 vcc_lo, 8, v17
	s_delay_alu instid0(VALU_DEP_2)
	v_mov_b64_e32 v[16:17], v[52:53]
	s_and_saveexec_b32 s29, vcc_lo
; %bb.13100:                            ;   in Loop: Header=BB6_11188 Depth=2
	v_clz_i32_u32_e32 v16, v52
	s_delay_alu instid0(VALU_DEP_1) | instskip(NEXT) | instid1(VALU_DEP_1)
	v_min_u32_e32 v19, 32, v16
	v_subrev_nc_u32_e32 v16, 28, v19
	s_delay_alu instid0(VALU_DEP_1) | instskip(NEXT) | instid1(VALU_DEP_1)
	v_lshlrev_b64_e32 v[16:17], v16, v[52:53]
	v_dual_sub_nc_u32 v19, 29, v19 :: v_dual_bitop2_b32 v16, 7, v16 bitop3:0x40
; %bb.13101:                            ;   in Loop: Header=BB6_11188 Depth=2
	s_or_b32 exec_lo, exec_lo, s29
	s_delay_alu instid0(VALU_DEP_1) | instskip(NEXT) | instid1(VALU_DEP_2)
	v_dual_lshlrev_b32 v7, 24, v7 :: v_dual_lshlrev_b32 v16, 20, v16
	v_lshl_add_u32 v17, v19, 23, 0x3c000000
	s_delay_alu instid0(VALU_DEP_2) | instskip(NEXT) | instid1(VALU_DEP_1)
	v_and_b32_e32 v7, 0x80000000, v7
	v_or3_b32 v19, v16, v7, v17
.LBB6_13102:                            ;   in Loop: Header=BB6_11188 Depth=2
	s_or_b32 exec_lo, exec_lo, s11
.LBB6_13103:                            ;   in Loop: Header=BB6_11188 Depth=2
	s_delay_alu instid0(SALU_CYCLE_1)
	s_or_b32 exec_lo, exec_lo, s10
.LBB6_13104:                            ;   in Loop: Header=BB6_11188 Depth=2
	s_delay_alu instid0(SALU_CYCLE_1) | instskip(SKIP_3) | instid1(VALU_DEP_1)
	s_or_b32 exec_lo, exec_lo, s7
	s_wait_loadcnt_dscnt 0x303
	v_and_b32_e32 v7, 0xff, v39
	s_mov_b32 s7, exec_lo
	v_cmpx_ne_u16_e32 0, v7
	s_cbranch_execz .LBB6_13112
; %bb.13105:                            ;   in Loop: Header=BB6_11188 Depth=2
	v_bfrev_b32_e32 v18, 1
	s_mov_b32 s10, exec_lo
	v_cmpx_ne_u16_e32 0x80, v7
	s_cbranch_execz .LBB6_13111
; %bb.13106:                            ;   in Loop: Header=BB6_11188 Depth=2
	v_and_b32_e32 v16, 0x7f, v39
	v_mov_b32_e32 v18, 0x7f800001
	s_mov_b32 s11, exec_lo
	s_delay_alu instid0(VALU_DEP_2)
	v_cmpx_ne_u32_e32 0x7f, v16
	s_cbranch_execz .LBB6_13110
; %bb.13107:                            ;   in Loop: Header=BB6_11188 Depth=2
	v_dual_lshrrev_b32 v7, 3, v16 :: v_dual_bitop2_b32 v52, 7, v7 bitop3:0x40
	v_cmp_gt_u32_e32 vcc_lo, 8, v16
	s_delay_alu instid0(VALU_DEP_2)
	v_mov_b64_e32 v[16:17], v[52:53]
	s_and_saveexec_b32 s29, vcc_lo
; %bb.13108:                            ;   in Loop: Header=BB6_11188 Depth=2
	v_clz_i32_u32_e32 v7, v52
	s_delay_alu instid0(VALU_DEP_1) | instskip(NEXT) | instid1(VALU_DEP_1)
	v_min_u32_e32 v7, 32, v7
	v_subrev_nc_u32_e32 v16, 28, v7
	s_delay_alu instid0(VALU_DEP_1) | instskip(NEXT) | instid1(VALU_DEP_1)
	v_lshlrev_b64_e32 v[16:17], v16, v[52:53]
	v_dual_sub_nc_u32 v7, 29, v7 :: v_dual_bitop2_b32 v16, 7, v16 bitop3:0x40
; %bb.13109:                            ;   in Loop: Header=BB6_11188 Depth=2
	s_or_b32 exec_lo, exec_lo, s29
	s_delay_alu instid0(VALU_DEP_1) | instskip(NEXT) | instid1(VALU_DEP_2)
	v_dual_lshlrev_b32 v17, 24, v39 :: v_dual_lshlrev_b32 v16, 20, v16
	v_lshl_add_u32 v7, v7, 23, 0x3c000000
	s_delay_alu instid0(VALU_DEP_2) | instskip(NEXT) | instid1(VALU_DEP_1)
	v_and_b32_e32 v17, 0x80000000, v17
	v_or3_b32 v18, v16, v17, v7
.LBB6_13110:                            ;   in Loop: Header=BB6_11188 Depth=2
	s_or_b32 exec_lo, exec_lo, s11
.LBB6_13111:                            ;   in Loop: Header=BB6_11188 Depth=2
	s_delay_alu instid0(SALU_CYCLE_1)
	s_or_b32 exec_lo, exec_lo, s10
.LBB6_13112:                            ;   in Loop: Header=BB6_11188 Depth=2
	s_delay_alu instid0(SALU_CYCLE_1) | instskip(NEXT) | instid1(VALU_DEP_1)
	s_or_b32 exec_lo, exec_lo, s7
	v_add_f32_e32 v16, v19, v18
                                        ; implicit-def: $vgpr7
	s_mov_b32 s7, exec_lo
	s_delay_alu instid0(VALU_DEP_1) | instskip(SKIP_1) | instid1(VALU_DEP_2)
	v_and_b32_e32 v52, 0x7f800000, v16
	v_lshrrev_b32_e32 v17, 24, v16
	v_cmpx_ne_u64_e32 0x7f800000, v[52:53]
	s_xor_b32 s10, exec_lo, s7
	s_cbranch_execz .LBB6_13130
; %bb.13113:                            ;   in Loop: Header=BB6_11188 Depth=2
	v_and_b32_e32 v52, 0x7fffffff, v16
	v_and_b32_e32 v39, 0x80, v17
                                        ; implicit-def: $vgpr7
	s_mov_b32 s7, exec_lo
	s_delay_alu instid0(VALU_DEP_2)
	v_cmpx_gt_u64_e32 0x43e00001, v[52:53]
	s_xor_b32 s11, exec_lo, s7
	s_cbranch_execz .LBB6_13127
; %bb.13114:                            ;   in Loop: Header=BB6_11188 Depth=2
	v_mov_b32_e32 v7, 0
	s_mov_b32 s29, exec_lo
	v_cmpx_ne_u32_e32 0, v16
	s_cbranch_execz .LBB6_13126
; %bb.13115:                            ;   in Loop: Header=BB6_11188 Depth=2
	v_bfe_u32 v7, v16, 23, 8
	v_and_b32_e32 v18, 0x7fffff, v16
	s_delay_alu instid0(VALU_DEP_2) | instskip(NEXT) | instid1(VALU_DEP_2)
	v_cmp_gt_u32_e32 vcc_lo, 0x7a, v7
	v_or_b32_e32 v19, 0x800000, v18
	v_sub_nc_u32_e32 v17, 0x79, v7
	s_delay_alu instid0(VALU_DEP_1) | instskip(SKIP_1) | instid1(VALU_DEP_2)
	v_cndmask_b32_e32 v17, 0, v17, vcc_lo
	v_cmp_eq_u32_e32 vcc_lo, 0, v7
	v_cndmask_b32_e64 v87, v17, 0x78, vcc_lo
	s_delay_alu instid0(VALU_DEP_1) | instskip(SKIP_1) | instid1(VALU_DEP_2)
	v_dual_cndmask_b32 v52, v19, v18, vcc_lo :: v_dual_add_nc_u32 v16, 20, v87
	v_add_nc_u32_e32 v102, 19, v87
	v_lshlrev_b64_e64 v[16:17], v16, -1
	s_delay_alu instid0(VALU_DEP_2) | instskip(NEXT) | instid1(VALU_DEP_2)
	v_lshlrev_b64_e64 v[18:19], v102, 1
	v_bfi_b32 v115, v17, 0, 0
	s_delay_alu instid0(VALU_DEP_3) | instskip(SKIP_1) | instid1(VALU_DEP_2)
	v_bfi_b32 v114, v16, 0, v52
	v_lshrrev_b64 v[16:17], v87, v[52:53]
	v_cmp_eq_u64_e64 s7, v[114:115], v[18:19]
	s_delay_alu instid0(VALU_DEP_2)
	v_mov_b64_e32 v[18:19], v[16:17]
	s_and_saveexec_b32 s40, s7
; %bb.13116:                            ;   in Loop: Header=BB6_11188 Depth=2
	v_bfe_u32 v52, v16, 20, 1
	s_delay_alu instid0(VALU_DEP_1) | instskip(NEXT) | instid1(VALU_DEP_1)
	v_add_nc_u64_e32 v[18:19], v[16:17], v[52:53]
	v_add_nc_u64_e32 v[18:19], -1, v[18:19]
; %bb.13117:                            ;   in Loop: Header=BB6_11188 Depth=2
	s_or_b32 exec_lo, exec_lo, s40
	v_add_nc_u32_e32 v7, 0xffffff81, v7
	v_lshrrev_b32_e32 v17, 23, v16
	s_mov_b32 s7, exec_lo
	s_delay_alu instid0(VALU_DEP_2) | instskip(NEXT) | instid1(VALU_DEP_1)
	v_cndmask_b32_e64 v7, v7, 0xffffff82, vcc_lo
	v_add3_u32 v7, v87, v7, v17
	v_and_b32_e32 v17, 0xfffff, v18
                                        ; implicit-def: $vgpr18
	s_delay_alu instid0(VALU_DEP_1) | instskip(NEXT) | instid1(VALU_DEP_1)
	v_dual_add_nc_u32 v19, 6, v7 :: v_dual_add_nc_u32 v52, v17, v16
                                        ; implicit-def: $vgpr16_vgpr17
	v_cmpx_ne_u32_e32 0, v19
	s_xor_b32 s7, exec_lo, s7
; %bb.13118:                            ;   in Loop: Header=BB6_11188 Depth=2
	s_delay_alu instid0(VALU_DEP_2) | instskip(SKIP_1) | instid1(VALU_DEP_1)
	v_cmp_lt_u64_e32 vcc_lo, 0xffffff, v[52:53]
	v_add_nc_u32_e32 v7, 7, v7
	v_cndmask_b32_e32 v18, v19, v7, vcc_lo
	v_cndmask_b32_e64 v7, 0, 1, vcc_lo
	s_delay_alu instid0(VALU_DEP_1)
	v_lshrrev_b64 v[16:17], v7, v[52:53]
; %bb.13119:                            ;   in Loop: Header=BB6_11188 Depth=2
	s_and_not1_saveexec_b32 s7, s7
; %bb.13120:                            ;   in Loop: Header=BB6_11188 Depth=2
	v_mov_b64_e32 v[16:17], v[52:53]
	v_bfe_u32 v18, v52, 23, 1
; %bb.13121:                            ;   in Loop: Header=BB6_11188 Depth=2
	s_or_b32 exec_lo, exec_lo, s7
	s_delay_alu instid0(VALU_DEP_2) | instskip(NEXT) | instid1(VALU_DEP_2)
	v_lshrrev_b64 v[16:17], 20, v[16:17]
	v_cmp_gt_i32_e32 vcc_lo, 16, v18
	v_cmp_ne_u32_e64 s7, 0, v18
                                        ; implicit-def: $vgpr7
	s_delay_alu instid0(VALU_DEP_3) | instskip(NEXT) | instid1(VALU_DEP_1)
	v_dual_cndmask_b32 v17, 0, v17 :: v_dual_cndmask_b32 v16, 7, v16
	v_cmp_ne_u64_e32 vcc_lo, 0, v[16:17]
	s_or_b32 s7, s7, vcc_lo
	s_delay_alu instid0(SALU_CYCLE_1) | instskip(NEXT) | instid1(SALU_CYCLE_1)
	s_and_saveexec_b32 s40, s7
	s_xor_b32 s7, exec_lo, s40
; %bb.13122:                            ;   in Loop: Header=BB6_11188 Depth=2
	v_min_i32_e32 v7, 15, v18
	s_delay_alu instid0(VALU_DEP_1) | instskip(NEXT) | instid1(VALU_DEP_1)
	v_lshl_or_b32 v7, v7, 3, v39
                                        ; implicit-def: $vgpr39
	v_and_or_b32 v7, v16, 7, v7
; %bb.13123:                            ;   in Loop: Header=BB6_11188 Depth=2
	s_and_not1_saveexec_b32 s7, s7
; %bb.13124:                            ;   in Loop: Header=BB6_11188 Depth=2
	v_mov_b32_e32 v7, v39
; %bb.13125:                            ;   in Loop: Header=BB6_11188 Depth=2
	s_or_b32 exec_lo, exec_lo, s7
.LBB6_13126:                            ;   in Loop: Header=BB6_11188 Depth=2
	s_delay_alu instid0(SALU_CYCLE_1)
	s_or_b32 exec_lo, exec_lo, s29
                                        ; implicit-def: $vgpr39
.LBB6_13127:                            ;   in Loop: Header=BB6_11188 Depth=2
	s_and_not1_saveexec_b32 s7, s11
; %bb.13128:                            ;   in Loop: Header=BB6_11188 Depth=2
	v_or_b32_e32 v7, 0x7e, v39
; %bb.13129:                            ;   in Loop: Header=BB6_11188 Depth=2
	s_or_b32 exec_lo, exec_lo, s7
                                        ; implicit-def: $vgpr17
.LBB6_13130:                            ;   in Loop: Header=BB6_11188 Depth=2
	s_and_not1_saveexec_b32 s7, s10
; %bb.13131:                            ;   in Loop: Header=BB6_11188 Depth=2
	v_or_b32_e32 v7, 0x7f, v17
; %bb.13132:                            ;   in Loop: Header=BB6_11188 Depth=2
	s_or_b32 exec_lo, exec_lo, s7
	v_and_b32_e32 v16, 0xff, v6
	v_dual_mov_b32 v18, 0 :: v_dual_mov_b32 v19, 0
	s_mov_b32 s7, exec_lo
	s_delay_alu instid0(VALU_DEP_2)
	v_cmpx_ne_u16_e32 0, v16
	s_cbranch_execz .LBB6_13140
; %bb.13133:                            ;   in Loop: Header=BB6_11188 Depth=2
	v_bfrev_b32_e32 v19, 1
	s_mov_b32 s10, exec_lo
	v_cmpx_ne_u16_e32 0x80, v16
	s_cbranch_execz .LBB6_13139
; %bb.13134:                            ;   in Loop: Header=BB6_11188 Depth=2
	v_and_b32_e32 v17, 0x7f, v6
	v_mov_b32_e32 v19, 0x7f800001
	s_mov_b32 s11, exec_lo
	s_delay_alu instid0(VALU_DEP_2)
	v_cmpx_ne_u32_e32 0x7f, v17
	s_cbranch_execz .LBB6_13138
; %bb.13135:                            ;   in Loop: Header=BB6_11188 Depth=2
	v_dual_lshrrev_b32 v19, 3, v17 :: v_dual_bitop2_b32 v52, 7, v16 bitop3:0x40
	v_cmp_gt_u32_e32 vcc_lo, 8, v17
	s_delay_alu instid0(VALU_DEP_2)
	v_mov_b64_e32 v[16:17], v[52:53]
	s_and_saveexec_b32 s29, vcc_lo
; %bb.13136:                            ;   in Loop: Header=BB6_11188 Depth=2
	v_clz_i32_u32_e32 v16, v52
	s_delay_alu instid0(VALU_DEP_1) | instskip(NEXT) | instid1(VALU_DEP_1)
	v_min_u32_e32 v19, 32, v16
	v_subrev_nc_u32_e32 v16, 28, v19
	s_delay_alu instid0(VALU_DEP_1) | instskip(NEXT) | instid1(VALU_DEP_1)
	v_lshlrev_b64_e32 v[16:17], v16, v[52:53]
	v_dual_sub_nc_u32 v19, 29, v19 :: v_dual_bitop2_b32 v16, 7, v16 bitop3:0x40
; %bb.13137:                            ;   in Loop: Header=BB6_11188 Depth=2
	s_or_b32 exec_lo, exec_lo, s29
	s_delay_alu instid0(VALU_DEP_1) | instskip(NEXT) | instid1(VALU_DEP_2)
	v_dual_lshlrev_b32 v6, 24, v6 :: v_dual_lshlrev_b32 v16, 20, v16
	v_lshl_add_u32 v17, v19, 23, 0x3c000000
	s_delay_alu instid0(VALU_DEP_2) | instskip(NEXT) | instid1(VALU_DEP_1)
	v_and_b32_e32 v6, 0x80000000, v6
	v_or3_b32 v19, v16, v6, v17
.LBB6_13138:                            ;   in Loop: Header=BB6_11188 Depth=2
	s_or_b32 exec_lo, exec_lo, s11
.LBB6_13139:                            ;   in Loop: Header=BB6_11188 Depth=2
	s_delay_alu instid0(SALU_CYCLE_1)
	s_or_b32 exec_lo, exec_lo, s10
.LBB6_13140:                            ;   in Loop: Header=BB6_11188 Depth=2
	s_delay_alu instid0(SALU_CYCLE_1) | instskip(SKIP_3) | instid1(VALU_DEP_1)
	s_or_b32 exec_lo, exec_lo, s7
	s_wait_loadcnt_dscnt 0x202
	v_and_b32_e32 v6, 0xff, v30
	s_mov_b32 s7, exec_lo
	v_cmpx_ne_u16_e32 0, v6
	s_cbranch_execz .LBB6_13148
; %bb.13141:                            ;   in Loop: Header=BB6_11188 Depth=2
	v_bfrev_b32_e32 v18, 1
	s_mov_b32 s10, exec_lo
	v_cmpx_ne_u16_e32 0x80, v6
	s_cbranch_execz .LBB6_13147
; %bb.13142:                            ;   in Loop: Header=BB6_11188 Depth=2
	v_and_b32_e32 v16, 0x7f, v30
	v_mov_b32_e32 v18, 0x7f800001
	s_mov_b32 s11, exec_lo
	s_delay_alu instid0(VALU_DEP_2)
	v_cmpx_ne_u32_e32 0x7f, v16
	s_cbranch_execz .LBB6_13146
; %bb.13143:                            ;   in Loop: Header=BB6_11188 Depth=2
	v_dual_lshrrev_b32 v6, 3, v16 :: v_dual_bitop2_b32 v52, 7, v6 bitop3:0x40
	v_cmp_gt_u32_e32 vcc_lo, 8, v16
	s_delay_alu instid0(VALU_DEP_2)
	v_mov_b64_e32 v[16:17], v[52:53]
	s_and_saveexec_b32 s29, vcc_lo
; %bb.13144:                            ;   in Loop: Header=BB6_11188 Depth=2
	v_clz_i32_u32_e32 v6, v52
	s_delay_alu instid0(VALU_DEP_1) | instskip(NEXT) | instid1(VALU_DEP_1)
	v_min_u32_e32 v6, 32, v6
	v_subrev_nc_u32_e32 v16, 28, v6
	s_delay_alu instid0(VALU_DEP_1) | instskip(NEXT) | instid1(VALU_DEP_1)
	v_lshlrev_b64_e32 v[16:17], v16, v[52:53]
	v_dual_sub_nc_u32 v6, 29, v6 :: v_dual_bitop2_b32 v16, 7, v16 bitop3:0x40
; %bb.13145:                            ;   in Loop: Header=BB6_11188 Depth=2
	s_or_b32 exec_lo, exec_lo, s29
	s_delay_alu instid0(VALU_DEP_1) | instskip(NEXT) | instid1(VALU_DEP_2)
	v_dual_lshlrev_b32 v17, 24, v30 :: v_dual_lshlrev_b32 v16, 20, v16
	v_lshl_add_u32 v6, v6, 23, 0x3c000000
	s_delay_alu instid0(VALU_DEP_2) | instskip(NEXT) | instid1(VALU_DEP_1)
	v_and_b32_e32 v17, 0x80000000, v17
	v_or3_b32 v18, v16, v17, v6
.LBB6_13146:                            ;   in Loop: Header=BB6_11188 Depth=2
	s_or_b32 exec_lo, exec_lo, s11
.LBB6_13147:                            ;   in Loop: Header=BB6_11188 Depth=2
	s_delay_alu instid0(SALU_CYCLE_1)
	s_or_b32 exec_lo, exec_lo, s10
.LBB6_13148:                            ;   in Loop: Header=BB6_11188 Depth=2
	s_delay_alu instid0(SALU_CYCLE_1) | instskip(NEXT) | instid1(VALU_DEP_1)
	s_or_b32 exec_lo, exec_lo, s7
	v_add_f32_e32 v16, v19, v18
                                        ; implicit-def: $vgpr6
	s_mov_b32 s7, exec_lo
	s_delay_alu instid0(VALU_DEP_1) | instskip(SKIP_1) | instid1(VALU_DEP_2)
	v_and_b32_e32 v52, 0x7f800000, v16
	v_lshrrev_b32_e32 v17, 24, v16
	v_cmpx_ne_u64_e32 0x7f800000, v[52:53]
	s_xor_b32 s10, exec_lo, s7
	s_cbranch_execz .LBB6_13166
; %bb.13149:                            ;   in Loop: Header=BB6_11188 Depth=2
	v_and_b32_e32 v52, 0x7fffffff, v16
	v_and_b32_e32 v30, 0x80, v17
                                        ; implicit-def: $vgpr6
	s_mov_b32 s7, exec_lo
	s_delay_alu instid0(VALU_DEP_2)
	v_cmpx_gt_u64_e32 0x43e00001, v[52:53]
	s_xor_b32 s11, exec_lo, s7
	s_cbranch_execz .LBB6_13163
; %bb.13150:                            ;   in Loop: Header=BB6_11188 Depth=2
	v_mov_b32_e32 v6, 0
	s_mov_b32 s29, exec_lo
	v_cmpx_ne_u32_e32 0, v16
	s_cbranch_execz .LBB6_13162
; %bb.13151:                            ;   in Loop: Header=BB6_11188 Depth=2
	v_bfe_u32 v6, v16, 23, 8
	v_and_b32_e32 v18, 0x7fffff, v16
	s_delay_alu instid0(VALU_DEP_2) | instskip(SKIP_1) | instid1(VALU_DEP_3)
	v_sub_nc_u32_e32 v17, 0x79, v6
	v_cmp_gt_u32_e32 vcc_lo, 0x7a, v6
	v_or_b32_e32 v19, 0x800000, v18
	s_delay_alu instid0(VALU_DEP_3) | instskip(SKIP_1) | instid1(VALU_DEP_2)
	v_cndmask_b32_e32 v17, 0, v17, vcc_lo
	v_cmp_eq_u32_e32 vcc_lo, 0, v6
	v_cndmask_b32_e64 v39, v17, 0x78, vcc_lo
	s_delay_alu instid0(VALU_DEP_1) | instskip(SKIP_1) | instid1(VALU_DEP_2)
	v_dual_cndmask_b32 v52, v19, v18 :: v_dual_add_nc_u32 v87, 19, v39
	v_add_nc_u32_e32 v16, 20, v39
	v_lshlrev_b64_e64 v[18:19], v87, 1
	s_delay_alu instid0(VALU_DEP_2) | instskip(NEXT) | instid1(VALU_DEP_1)
	v_lshlrev_b64_e64 v[16:17], v16, -1
	v_bfi_b32 v115, v17, 0, 0
	s_delay_alu instid0(VALU_DEP_2) | instskip(SKIP_1) | instid1(VALU_DEP_2)
	v_bfi_b32 v114, v16, 0, v52
	v_lshrrev_b64 v[16:17], v39, v[52:53]
	v_cmp_eq_u64_e64 s7, v[114:115], v[18:19]
	s_delay_alu instid0(VALU_DEP_2)
	v_mov_b64_e32 v[18:19], v[16:17]
	s_and_saveexec_b32 s40, s7
; %bb.13152:                            ;   in Loop: Header=BB6_11188 Depth=2
	v_bfe_u32 v52, v16, 20, 1
	s_delay_alu instid0(VALU_DEP_1) | instskip(NEXT) | instid1(VALU_DEP_1)
	v_add_nc_u64_e32 v[18:19], v[16:17], v[52:53]
	v_add_nc_u64_e32 v[18:19], -1, v[18:19]
; %bb.13153:                            ;   in Loop: Header=BB6_11188 Depth=2
	s_or_b32 exec_lo, exec_lo, s40
	v_add_nc_u32_e32 v6, 0xffffff81, v6
	v_lshrrev_b32_e32 v17, 23, v16
	s_mov_b32 s7, exec_lo
	s_delay_alu instid0(VALU_DEP_2) | instskip(NEXT) | instid1(VALU_DEP_1)
	v_cndmask_b32_e64 v6, v6, 0xffffff82, vcc_lo
	v_add3_u32 v6, v39, v6, v17
	v_and_b32_e32 v17, 0xfffff, v18
                                        ; implicit-def: $vgpr18
	s_delay_alu instid0(VALU_DEP_1) | instskip(NEXT) | instid1(VALU_DEP_1)
	v_dual_add_nc_u32 v19, 6, v6 :: v_dual_add_nc_u32 v52, v17, v16
                                        ; implicit-def: $vgpr16_vgpr17
	v_cmpx_ne_u32_e32 0, v19
	s_xor_b32 s7, exec_lo, s7
; %bb.13154:                            ;   in Loop: Header=BB6_11188 Depth=2
	s_delay_alu instid0(VALU_DEP_2) | instskip(SKIP_1) | instid1(VALU_DEP_1)
	v_cmp_lt_u64_e32 vcc_lo, 0xffffff, v[52:53]
	v_add_nc_u32_e32 v6, 7, v6
	v_cndmask_b32_e32 v18, v19, v6, vcc_lo
	v_cndmask_b32_e64 v6, 0, 1, vcc_lo
	s_delay_alu instid0(VALU_DEP_1)
	v_lshrrev_b64 v[16:17], v6, v[52:53]
; %bb.13155:                            ;   in Loop: Header=BB6_11188 Depth=2
	s_and_not1_saveexec_b32 s7, s7
; %bb.13156:                            ;   in Loop: Header=BB6_11188 Depth=2
	v_mov_b64_e32 v[16:17], v[52:53]
	v_bfe_u32 v18, v52, 23, 1
; %bb.13157:                            ;   in Loop: Header=BB6_11188 Depth=2
	s_or_b32 exec_lo, exec_lo, s7
	s_delay_alu instid0(VALU_DEP_2) | instskip(NEXT) | instid1(VALU_DEP_2)
	v_lshrrev_b64 v[16:17], 20, v[16:17]
	v_cmp_gt_i32_e32 vcc_lo, 16, v18
	v_cmp_ne_u32_e64 s7, 0, v18
                                        ; implicit-def: $vgpr6
	s_delay_alu instid0(VALU_DEP_3) | instskip(NEXT) | instid1(VALU_DEP_1)
	v_dual_cndmask_b32 v17, 0, v17 :: v_dual_cndmask_b32 v16, 7, v16
	v_cmp_ne_u64_e32 vcc_lo, 0, v[16:17]
	s_or_b32 s7, s7, vcc_lo
	s_delay_alu instid0(SALU_CYCLE_1) | instskip(NEXT) | instid1(SALU_CYCLE_1)
	s_and_saveexec_b32 s40, s7
	s_xor_b32 s7, exec_lo, s40
; %bb.13158:                            ;   in Loop: Header=BB6_11188 Depth=2
	v_min_i32_e32 v6, 15, v18
	s_delay_alu instid0(VALU_DEP_1) | instskip(NEXT) | instid1(VALU_DEP_1)
	v_lshl_or_b32 v6, v6, 3, v30
                                        ; implicit-def: $vgpr30
	v_and_or_b32 v6, v16, 7, v6
; %bb.13159:                            ;   in Loop: Header=BB6_11188 Depth=2
	s_and_not1_saveexec_b32 s7, s7
; %bb.13160:                            ;   in Loop: Header=BB6_11188 Depth=2
	v_mov_b32_e32 v6, v30
; %bb.13161:                            ;   in Loop: Header=BB6_11188 Depth=2
	s_or_b32 exec_lo, exec_lo, s7
.LBB6_13162:                            ;   in Loop: Header=BB6_11188 Depth=2
	s_delay_alu instid0(SALU_CYCLE_1)
	s_or_b32 exec_lo, exec_lo, s29
                                        ; implicit-def: $vgpr30
.LBB6_13163:                            ;   in Loop: Header=BB6_11188 Depth=2
	s_and_not1_saveexec_b32 s7, s11
; %bb.13164:                            ;   in Loop: Header=BB6_11188 Depth=2
	v_or_b32_e32 v6, 0x7e, v30
; %bb.13165:                            ;   in Loop: Header=BB6_11188 Depth=2
	s_or_b32 exec_lo, exec_lo, s7
                                        ; implicit-def: $vgpr17
.LBB6_13166:                            ;   in Loop: Header=BB6_11188 Depth=2
	s_and_not1_saveexec_b32 s7, s10
; %bb.13167:                            ;   in Loop: Header=BB6_11188 Depth=2
	v_or_b32_e32 v6, 0x7f, v17
; %bb.13168:                            ;   in Loop: Header=BB6_11188 Depth=2
	s_or_b32 exec_lo, exec_lo, s7
	v_and_b32_e32 v16, 0xff, v4
	v_dual_mov_b32 v18, 0 :: v_dual_mov_b32 v19, 0
	s_mov_b32 s7, exec_lo
	s_delay_alu instid0(VALU_DEP_2)
	v_cmpx_ne_u16_e32 0, v16
	s_cbranch_execz .LBB6_13176
; %bb.13169:                            ;   in Loop: Header=BB6_11188 Depth=2
	v_bfrev_b32_e32 v19, 1
	s_mov_b32 s10, exec_lo
	v_cmpx_ne_u16_e32 0x80, v16
	s_cbranch_execz .LBB6_13175
; %bb.13170:                            ;   in Loop: Header=BB6_11188 Depth=2
	v_and_b32_e32 v17, 0x7f, v4
	v_mov_b32_e32 v19, 0x7f800001
	s_mov_b32 s11, exec_lo
	s_delay_alu instid0(VALU_DEP_2)
	v_cmpx_ne_u32_e32 0x7f, v17
	s_cbranch_execz .LBB6_13174
; %bb.13171:                            ;   in Loop: Header=BB6_11188 Depth=2
	v_dual_lshrrev_b32 v19, 3, v17 :: v_dual_bitop2_b32 v52, 7, v16 bitop3:0x40
	v_cmp_gt_u32_e32 vcc_lo, 8, v17
	s_delay_alu instid0(VALU_DEP_2)
	v_mov_b64_e32 v[16:17], v[52:53]
	s_and_saveexec_b32 s29, vcc_lo
; %bb.13172:                            ;   in Loop: Header=BB6_11188 Depth=2
	v_clz_i32_u32_e32 v16, v52
	s_delay_alu instid0(VALU_DEP_1) | instskip(NEXT) | instid1(VALU_DEP_1)
	v_min_u32_e32 v19, 32, v16
	v_subrev_nc_u32_e32 v16, 28, v19
	s_delay_alu instid0(VALU_DEP_1) | instskip(NEXT) | instid1(VALU_DEP_1)
	v_lshlrev_b64_e32 v[16:17], v16, v[52:53]
	v_dual_sub_nc_u32 v19, 29, v19 :: v_dual_bitop2_b32 v16, 7, v16 bitop3:0x40
; %bb.13173:                            ;   in Loop: Header=BB6_11188 Depth=2
	s_or_b32 exec_lo, exec_lo, s29
	v_lshlrev_b32_e32 v4, 24, v4
	s_delay_alu instid0(VALU_DEP_2) | instskip(NEXT) | instid1(VALU_DEP_3)
	v_lshlrev_b32_e32 v16, 20, v16
	v_lshl_add_u32 v17, v19, 23, 0x3c000000
	s_delay_alu instid0(VALU_DEP_3) | instskip(NEXT) | instid1(VALU_DEP_1)
	v_and_b32_e32 v4, 0x80000000, v4
	v_or3_b32 v19, v16, v4, v17
.LBB6_13174:                            ;   in Loop: Header=BB6_11188 Depth=2
	s_or_b32 exec_lo, exec_lo, s11
.LBB6_13175:                            ;   in Loop: Header=BB6_11188 Depth=2
	s_delay_alu instid0(SALU_CYCLE_1)
	s_or_b32 exec_lo, exec_lo, s10
.LBB6_13176:                            ;   in Loop: Header=BB6_11188 Depth=2
	s_delay_alu instid0(SALU_CYCLE_1) | instskip(SKIP_3) | instid1(VALU_DEP_1)
	s_or_b32 exec_lo, exec_lo, s7
	s_wait_loadcnt_dscnt 0x101
	v_and_b32_e32 v4, 0xff, v23
	s_mov_b32 s7, exec_lo
	v_cmpx_ne_u16_e32 0, v4
	s_cbranch_execz .LBB6_13184
; %bb.13177:                            ;   in Loop: Header=BB6_11188 Depth=2
	v_bfrev_b32_e32 v18, 1
	s_mov_b32 s10, exec_lo
	v_cmpx_ne_u16_e32 0x80, v4
	s_cbranch_execz .LBB6_13183
; %bb.13178:                            ;   in Loop: Header=BB6_11188 Depth=2
	v_and_b32_e32 v16, 0x7f, v23
	v_mov_b32_e32 v18, 0x7f800001
	s_mov_b32 s11, exec_lo
	s_delay_alu instid0(VALU_DEP_2)
	v_cmpx_ne_u32_e32 0x7f, v16
	s_cbranch_execz .LBB6_13182
; %bb.13179:                            ;   in Loop: Header=BB6_11188 Depth=2
	v_and_b32_e32 v52, 7, v4
	v_lshrrev_b32_e32 v4, 3, v16
	v_cmp_gt_u32_e32 vcc_lo, 8, v16
	s_delay_alu instid0(VALU_DEP_3)
	v_mov_b64_e32 v[16:17], v[52:53]
	s_and_saveexec_b32 s29, vcc_lo
; %bb.13180:                            ;   in Loop: Header=BB6_11188 Depth=2
	v_clz_i32_u32_e32 v4, v52
	s_delay_alu instid0(VALU_DEP_1) | instskip(NEXT) | instid1(VALU_DEP_1)
	v_min_u32_e32 v4, 32, v4
	v_subrev_nc_u32_e32 v16, 28, v4
	v_sub_nc_u32_e32 v4, 29, v4
	s_delay_alu instid0(VALU_DEP_2) | instskip(NEXT) | instid1(VALU_DEP_1)
	v_lshlrev_b64_e32 v[16:17], v16, v[52:53]
	v_and_b32_e32 v16, 7, v16
; %bb.13181:                            ;   in Loop: Header=BB6_11188 Depth=2
	s_or_b32 exec_lo, exec_lo, s29
	s_delay_alu instid0(VALU_DEP_1) | instskip(SKIP_1) | instid1(VALU_DEP_2)
	v_dual_lshlrev_b32 v17, 24, v23 :: v_dual_lshlrev_b32 v16, 20, v16
	v_lshl_add_u32 v4, v4, 23, 0x3c000000
	v_and_b32_e32 v17, 0x80000000, v17
	s_delay_alu instid0(VALU_DEP_1)
	v_or3_b32 v18, v16, v17, v4
.LBB6_13182:                            ;   in Loop: Header=BB6_11188 Depth=2
	s_or_b32 exec_lo, exec_lo, s11
.LBB6_13183:                            ;   in Loop: Header=BB6_11188 Depth=2
	s_delay_alu instid0(SALU_CYCLE_1)
	s_or_b32 exec_lo, exec_lo, s10
.LBB6_13184:                            ;   in Loop: Header=BB6_11188 Depth=2
	s_delay_alu instid0(SALU_CYCLE_1) | instskip(NEXT) | instid1(VALU_DEP_1)
	s_or_b32 exec_lo, exec_lo, s7
	v_add_f32_e32 v16, v19, v18
                                        ; implicit-def: $vgpr4
	s_mov_b32 s7, exec_lo
	s_delay_alu instid0(VALU_DEP_1) | instskip(SKIP_1) | instid1(VALU_DEP_2)
	v_and_b32_e32 v52, 0x7f800000, v16
	v_lshrrev_b32_e32 v17, 24, v16
	v_cmpx_ne_u64_e32 0x7f800000, v[52:53]
	s_xor_b32 s10, exec_lo, s7
	s_cbranch_execz .LBB6_13202
; %bb.13185:                            ;   in Loop: Header=BB6_11188 Depth=2
	v_and_b32_e32 v52, 0x7fffffff, v16
	v_and_b32_e32 v23, 0x80, v17
                                        ; implicit-def: $vgpr4
	s_mov_b32 s7, exec_lo
	s_delay_alu instid0(VALU_DEP_2)
	v_cmpx_gt_u64_e32 0x43e00001, v[52:53]
	s_xor_b32 s11, exec_lo, s7
	s_cbranch_execz .LBB6_13199
; %bb.13186:                            ;   in Loop: Header=BB6_11188 Depth=2
	v_mov_b32_e32 v4, 0
	s_mov_b32 s29, exec_lo
	v_cmpx_ne_u32_e32 0, v16
	s_cbranch_execz .LBB6_13198
; %bb.13187:                            ;   in Loop: Header=BB6_11188 Depth=2
	v_bfe_u32 v4, v16, 23, 8
	v_and_b32_e32 v18, 0x7fffff, v16
	s_delay_alu instid0(VALU_DEP_2) | instskip(NEXT) | instid1(VALU_DEP_2)
	v_cmp_gt_u32_e32 vcc_lo, 0x7a, v4
	v_or_b32_e32 v19, 0x800000, v18
	v_sub_nc_u32_e32 v17, 0x79, v4
	s_delay_alu instid0(VALU_DEP_1) | instskip(SKIP_1) | instid1(VALU_DEP_2)
	v_cndmask_b32_e32 v17, 0, v17, vcc_lo
	v_cmp_eq_u32_e32 vcc_lo, 0, v4
	v_cndmask_b32_e64 v30, v17, 0x78, vcc_lo
	v_cndmask_b32_e32 v52, v19, v18, vcc_lo
	s_delay_alu instid0(VALU_DEP_2) | instskip(NEXT) | instid1(VALU_DEP_1)
	v_dual_add_nc_u32 v16, 20, v30 :: v_dual_add_nc_u32 v39, 19, v30
	v_lshlrev_b64_e64 v[16:17], v16, -1
	s_delay_alu instid0(VALU_DEP_2) | instskip(NEXT) | instid1(VALU_DEP_2)
	v_lshlrev_b64_e64 v[18:19], v39, 1
	v_bfi_b32 v115, v17, 0, 0
	s_delay_alu instid0(VALU_DEP_3) | instskip(SKIP_1) | instid1(VALU_DEP_2)
	v_bfi_b32 v114, v16, 0, v52
	v_lshrrev_b64 v[16:17], v30, v[52:53]
	v_cmp_eq_u64_e64 s7, v[114:115], v[18:19]
	s_delay_alu instid0(VALU_DEP_2)
	v_mov_b64_e32 v[18:19], v[16:17]
	s_and_saveexec_b32 s40, s7
; %bb.13188:                            ;   in Loop: Header=BB6_11188 Depth=2
	v_bfe_u32 v52, v16, 20, 1
	s_delay_alu instid0(VALU_DEP_1) | instskip(NEXT) | instid1(VALU_DEP_1)
	v_add_nc_u64_e32 v[18:19], v[16:17], v[52:53]
	v_add_nc_u64_e32 v[18:19], -1, v[18:19]
; %bb.13189:                            ;   in Loop: Header=BB6_11188 Depth=2
	s_or_b32 exec_lo, exec_lo, s40
	v_add_nc_u32_e32 v4, 0xffffff81, v4
	v_lshrrev_b32_e32 v17, 23, v16
	s_mov_b32 s7, exec_lo
	s_delay_alu instid0(VALU_DEP_2) | instskip(NEXT) | instid1(VALU_DEP_1)
	v_cndmask_b32_e64 v4, v4, 0xffffff82, vcc_lo
	v_add3_u32 v4, v30, v4, v17
	v_and_b32_e32 v17, 0xfffff, v18
                                        ; implicit-def: $vgpr18
	s_delay_alu instid0(VALU_DEP_2) | instskip(NEXT) | instid1(VALU_DEP_2)
	v_add_nc_u32_e32 v19, 6, v4
	v_add_nc_u32_e32 v52, v17, v16
                                        ; implicit-def: $vgpr16_vgpr17
	s_delay_alu instid0(VALU_DEP_2)
	v_cmpx_ne_u32_e32 0, v19
	s_xor_b32 s7, exec_lo, s7
; %bb.13190:                            ;   in Loop: Header=BB6_11188 Depth=2
	s_delay_alu instid0(VALU_DEP_2) | instskip(SKIP_1) | instid1(VALU_DEP_1)
	v_cmp_lt_u64_e32 vcc_lo, 0xffffff, v[52:53]
	v_add_nc_u32_e32 v4, 7, v4
	v_cndmask_b32_e32 v18, v19, v4, vcc_lo
	v_cndmask_b32_e64 v4, 0, 1, vcc_lo
	s_delay_alu instid0(VALU_DEP_1)
	v_lshrrev_b64 v[16:17], v4, v[52:53]
; %bb.13191:                            ;   in Loop: Header=BB6_11188 Depth=2
	s_and_not1_saveexec_b32 s7, s7
; %bb.13192:                            ;   in Loop: Header=BB6_11188 Depth=2
	v_mov_b64_e32 v[16:17], v[52:53]
	v_bfe_u32 v18, v52, 23, 1
; %bb.13193:                            ;   in Loop: Header=BB6_11188 Depth=2
	s_or_b32 exec_lo, exec_lo, s7
	s_delay_alu instid0(VALU_DEP_2) | instskip(NEXT) | instid1(VALU_DEP_2)
	v_lshrrev_b64 v[16:17], 20, v[16:17]
	v_cmp_gt_i32_e32 vcc_lo, 16, v18
	v_cmp_ne_u32_e64 s7, 0, v18
                                        ; implicit-def: $vgpr4
	s_delay_alu instid0(VALU_DEP_3) | instskip(NEXT) | instid1(VALU_DEP_1)
	v_dual_cndmask_b32 v17, 0, v17 :: v_dual_cndmask_b32 v16, 7, v16
	v_cmp_ne_u64_e32 vcc_lo, 0, v[16:17]
	s_or_b32 s7, s7, vcc_lo
	s_delay_alu instid0(SALU_CYCLE_1) | instskip(NEXT) | instid1(SALU_CYCLE_1)
	s_and_saveexec_b32 s40, s7
	s_xor_b32 s7, exec_lo, s40
; %bb.13194:                            ;   in Loop: Header=BB6_11188 Depth=2
	v_min_i32_e32 v4, 15, v18
	s_delay_alu instid0(VALU_DEP_1) | instskip(NEXT) | instid1(VALU_DEP_1)
	v_lshl_or_b32 v4, v4, 3, v23
                                        ; implicit-def: $vgpr23
	v_and_or_b32 v4, v16, 7, v4
; %bb.13195:                            ;   in Loop: Header=BB6_11188 Depth=2
	s_and_not1_saveexec_b32 s7, s7
; %bb.13196:                            ;   in Loop: Header=BB6_11188 Depth=2
	v_mov_b32_e32 v4, v23
; %bb.13197:                            ;   in Loop: Header=BB6_11188 Depth=2
	s_or_b32 exec_lo, exec_lo, s7
.LBB6_13198:                            ;   in Loop: Header=BB6_11188 Depth=2
	s_delay_alu instid0(SALU_CYCLE_1)
	s_or_b32 exec_lo, exec_lo, s29
                                        ; implicit-def: $vgpr23
.LBB6_13199:                            ;   in Loop: Header=BB6_11188 Depth=2
	s_and_not1_saveexec_b32 s7, s11
; %bb.13200:                            ;   in Loop: Header=BB6_11188 Depth=2
	v_or_b32_e32 v4, 0x7e, v23
; %bb.13201:                            ;   in Loop: Header=BB6_11188 Depth=2
	s_or_b32 exec_lo, exec_lo, s7
                                        ; implicit-def: $vgpr17
.LBB6_13202:                            ;   in Loop: Header=BB6_11188 Depth=2
	s_and_not1_saveexec_b32 s7, s10
; %bb.13203:                            ;   in Loop: Header=BB6_11188 Depth=2
	v_or_b32_e32 v4, 0x7f, v17
; %bb.13204:                            ;   in Loop: Header=BB6_11188 Depth=2
	s_or_b32 exec_lo, exec_lo, s7
	v_and_b32_e32 v16, 0xff, v0
	v_dual_mov_b32 v18, 0 :: v_dual_mov_b32 v19, 0
	s_mov_b32 s7, exec_lo
	s_delay_alu instid0(VALU_DEP_2)
	v_cmpx_ne_u16_e32 0, v16
	s_cbranch_execz .LBB6_13212
; %bb.13205:                            ;   in Loop: Header=BB6_11188 Depth=2
	v_bfrev_b32_e32 v19, 1
	s_mov_b32 s10, exec_lo
	v_cmpx_ne_u16_e32 0x80, v16
	s_cbranch_execz .LBB6_13211
; %bb.13206:                            ;   in Loop: Header=BB6_11188 Depth=2
	v_and_b32_e32 v17, 0x7f, v0
	v_mov_b32_e32 v19, 0x7f800001
	s_mov_b32 s11, exec_lo
	s_delay_alu instid0(VALU_DEP_2)
	v_cmpx_ne_u32_e32 0x7f, v17
	s_cbranch_execz .LBB6_13210
; %bb.13207:                            ;   in Loop: Header=BB6_11188 Depth=2
	v_dual_lshrrev_b32 v19, 3, v17 :: v_dual_bitop2_b32 v52, 7, v16 bitop3:0x40
	v_cmp_gt_u32_e32 vcc_lo, 8, v17
	s_delay_alu instid0(VALU_DEP_2)
	v_mov_b64_e32 v[16:17], v[52:53]
	s_and_saveexec_b32 s29, vcc_lo
; %bb.13208:                            ;   in Loop: Header=BB6_11188 Depth=2
	v_clz_i32_u32_e32 v16, v52
	s_delay_alu instid0(VALU_DEP_1) | instskip(NEXT) | instid1(VALU_DEP_1)
	v_min_u32_e32 v19, 32, v16
	v_subrev_nc_u32_e32 v16, 28, v19
	s_delay_alu instid0(VALU_DEP_1) | instskip(NEXT) | instid1(VALU_DEP_1)
	v_lshlrev_b64_e32 v[16:17], v16, v[52:53]
	v_dual_sub_nc_u32 v19, 29, v19 :: v_dual_bitop2_b32 v16, 7, v16 bitop3:0x40
; %bb.13209:                            ;   in Loop: Header=BB6_11188 Depth=2
	s_or_b32 exec_lo, exec_lo, s29
	v_lshlrev_b32_e32 v0, 24, v0
	s_delay_alu instid0(VALU_DEP_2) | instskip(NEXT) | instid1(VALU_DEP_3)
	v_lshlrev_b32_e32 v16, 20, v16
	v_lshl_add_u32 v17, v19, 23, 0x3c000000
	s_delay_alu instid0(VALU_DEP_3) | instskip(NEXT) | instid1(VALU_DEP_1)
	v_and_b32_e32 v0, 0x80000000, v0
	v_or3_b32 v19, v16, v0, v17
.LBB6_13210:                            ;   in Loop: Header=BB6_11188 Depth=2
	s_or_b32 exec_lo, exec_lo, s11
.LBB6_13211:                            ;   in Loop: Header=BB6_11188 Depth=2
	s_delay_alu instid0(SALU_CYCLE_1)
	s_or_b32 exec_lo, exec_lo, s10
.LBB6_13212:                            ;   in Loop: Header=BB6_11188 Depth=2
	s_delay_alu instid0(SALU_CYCLE_1) | instskip(SKIP_3) | instid1(VALU_DEP_1)
	s_or_b32 exec_lo, exec_lo, s7
	s_wait_loadcnt_dscnt 0x0
	v_and_b32_e32 v0, 0xff, v1
	s_mov_b32 s7, exec_lo
	v_cmpx_ne_u16_e32 0, v0
	s_cbranch_execz .LBB6_13220
; %bb.13213:                            ;   in Loop: Header=BB6_11188 Depth=2
	v_bfrev_b32_e32 v18, 1
	s_mov_b32 s10, exec_lo
	v_cmpx_ne_u16_e32 0x80, v0
	s_cbranch_execz .LBB6_13219
; %bb.13214:                            ;   in Loop: Header=BB6_11188 Depth=2
	v_and_b32_e32 v16, 0x7f, v1
	v_mov_b32_e32 v18, 0x7f800001
	s_mov_b32 s11, exec_lo
	s_delay_alu instid0(VALU_DEP_2)
	v_cmpx_ne_u32_e32 0x7f, v16
	s_cbranch_execz .LBB6_13218
; %bb.13215:                            ;   in Loop: Header=BB6_11188 Depth=2
	v_and_b32_e32 v52, 7, v0
	v_lshrrev_b32_e32 v0, 3, v16
	v_cmp_gt_u32_e32 vcc_lo, 8, v16
	s_delay_alu instid0(VALU_DEP_3)
	v_mov_b64_e32 v[16:17], v[52:53]
	s_and_saveexec_b32 s29, vcc_lo
; %bb.13216:                            ;   in Loop: Header=BB6_11188 Depth=2
	v_clz_i32_u32_e32 v0, v52
	s_delay_alu instid0(VALU_DEP_1) | instskip(NEXT) | instid1(VALU_DEP_1)
	v_min_u32_e32 v0, 32, v0
	v_subrev_nc_u32_e32 v16, 28, v0
	v_sub_nc_u32_e32 v0, 29, v0
	s_delay_alu instid0(VALU_DEP_2) | instskip(NEXT) | instid1(VALU_DEP_1)
	v_lshlrev_b64_e32 v[16:17], v16, v[52:53]
	v_and_b32_e32 v16, 7, v16
; %bb.13217:                            ;   in Loop: Header=BB6_11188 Depth=2
	s_or_b32 exec_lo, exec_lo, s29
	s_delay_alu instid0(VALU_DEP_1) | instskip(SKIP_1) | instid1(VALU_DEP_2)
	v_dual_lshlrev_b32 v1, 24, v1 :: v_dual_lshlrev_b32 v16, 20, v16
	v_lshl_add_u32 v0, v0, 23, 0x3c000000
	v_and_b32_e32 v1, 0x80000000, v1
	s_delay_alu instid0(VALU_DEP_1)
	v_or3_b32 v18, v16, v1, v0
.LBB6_13218:                            ;   in Loop: Header=BB6_11188 Depth=2
	s_or_b32 exec_lo, exec_lo, s11
.LBB6_13219:                            ;   in Loop: Header=BB6_11188 Depth=2
	s_delay_alu instid0(SALU_CYCLE_1)
	s_or_b32 exec_lo, exec_lo, s10
.LBB6_13220:                            ;   in Loop: Header=BB6_11188 Depth=2
	s_delay_alu instid0(SALU_CYCLE_1) | instskip(NEXT) | instid1(VALU_DEP_1)
	s_or_b32 exec_lo, exec_lo, s7
	v_add_f32_e32 v16, v19, v18
                                        ; implicit-def: $vgpr1
	s_mov_b32 s7, exec_lo
	s_delay_alu instid0(VALU_DEP_1) | instskip(SKIP_1) | instid1(VALU_DEP_2)
	v_and_b32_e32 v52, 0x7f800000, v16
	v_lshrrev_b32_e32 v0, 24, v16
	v_cmpx_ne_u64_e32 0x7f800000, v[52:53]
	s_xor_b32 s10, exec_lo, s7
	s_cbranch_execz .LBB6_13238
; %bb.13221:                            ;   in Loop: Header=BB6_11188 Depth=2
	v_and_b32_e32 v52, 0x7fffffff, v16
	v_and_b32_e32 v0, 0x80, v0
                                        ; implicit-def: $vgpr1
	s_mov_b32 s7, exec_lo
	s_delay_alu instid0(VALU_DEP_2)
	v_cmpx_gt_u64_e32 0x43e00001, v[52:53]
	s_xor_b32 s11, exec_lo, s7
	s_cbranch_execz .LBB6_13235
; %bb.13222:                            ;   in Loop: Header=BB6_11188 Depth=2
	v_mov_b32_e32 v1, 0
	s_mov_b32 s29, exec_lo
	v_cmpx_ne_u32_e32 0, v16
	s_cbranch_execz .LBB6_13234
; %bb.13223:                            ;   in Loop: Header=BB6_11188 Depth=2
	v_bfe_u32 v1, v16, 23, 8
	v_and_b32_e32 v18, 0x7fffff, v16
	s_delay_alu instid0(VALU_DEP_2) | instskip(NEXT) | instid1(VALU_DEP_2)
	v_cmp_gt_u32_e32 vcc_lo, 0x7a, v1
	v_or_b32_e32 v19, 0x800000, v18
	v_sub_nc_u32_e32 v17, 0x79, v1
	s_delay_alu instid0(VALU_DEP_1) | instskip(SKIP_1) | instid1(VALU_DEP_2)
	v_cndmask_b32_e32 v17, 0, v17, vcc_lo
	v_cmp_eq_u32_e32 vcc_lo, 0, v1
	v_cndmask_b32_e64 v23, v17, 0x78, vcc_lo
	s_delay_alu instid0(VALU_DEP_1) | instskip(SKIP_1) | instid1(VALU_DEP_2)
	v_dual_cndmask_b32 v52, v19, v18, vcc_lo :: v_dual_add_nc_u32 v16, 20, v23
	v_add_nc_u32_e32 v30, 19, v23
	v_lshlrev_b64_e64 v[16:17], v16, -1
	s_delay_alu instid0(VALU_DEP_2) | instskip(NEXT) | instid1(VALU_DEP_2)
	v_lshlrev_b64_e64 v[18:19], v30, 1
	v_bfi_b32 v115, v17, 0, 0
	s_delay_alu instid0(VALU_DEP_3) | instskip(SKIP_1) | instid1(VALU_DEP_2)
	v_bfi_b32 v114, v16, 0, v52
	v_lshrrev_b64 v[16:17], v23, v[52:53]
	v_cmp_eq_u64_e64 s7, v[114:115], v[18:19]
	s_delay_alu instid0(VALU_DEP_2)
	v_mov_b64_e32 v[18:19], v[16:17]
	s_and_saveexec_b32 s40, s7
; %bb.13224:                            ;   in Loop: Header=BB6_11188 Depth=2
	v_bfe_u32 v52, v16, 20, 1
	s_delay_alu instid0(VALU_DEP_1) | instskip(NEXT) | instid1(VALU_DEP_1)
	v_add_nc_u64_e32 v[18:19], v[16:17], v[52:53]
	v_add_nc_u64_e32 v[18:19], -1, v[18:19]
; %bb.13225:                            ;   in Loop: Header=BB6_11188 Depth=2
	s_or_b32 exec_lo, exec_lo, s40
	v_add_nc_u32_e32 v1, 0xffffff81, v1
	v_lshrrev_b32_e32 v17, 23, v16
	s_mov_b32 s7, exec_lo
	s_delay_alu instid0(VALU_DEP_2) | instskip(NEXT) | instid1(VALU_DEP_1)
	v_cndmask_b32_e64 v1, v1, 0xffffff82, vcc_lo
	v_add3_u32 v1, v23, v1, v17
	v_and_b32_e32 v17, 0xfffff, v18
                                        ; implicit-def: $vgpr18
	s_delay_alu instid0(VALU_DEP_1) | instskip(NEXT) | instid1(VALU_DEP_1)
	v_dual_add_nc_u32 v19, 6, v1 :: v_dual_add_nc_u32 v52, v17, v16
                                        ; implicit-def: $vgpr16_vgpr17
	v_cmpx_ne_u32_e32 0, v19
	s_xor_b32 s7, exec_lo, s7
; %bb.13226:                            ;   in Loop: Header=BB6_11188 Depth=2
	s_delay_alu instid0(VALU_DEP_2) | instskip(SKIP_1) | instid1(VALU_DEP_1)
	v_cmp_lt_u64_e32 vcc_lo, 0xffffff, v[52:53]
	v_add_nc_u32_e32 v1, 7, v1
	v_cndmask_b32_e32 v18, v19, v1, vcc_lo
	v_cndmask_b32_e64 v1, 0, 1, vcc_lo
	s_delay_alu instid0(VALU_DEP_1)
	v_lshrrev_b64 v[16:17], v1, v[52:53]
; %bb.13227:                            ;   in Loop: Header=BB6_11188 Depth=2
	s_and_not1_saveexec_b32 s7, s7
; %bb.13228:                            ;   in Loop: Header=BB6_11188 Depth=2
	v_mov_b64_e32 v[16:17], v[52:53]
	v_bfe_u32 v18, v52, 23, 1
; %bb.13229:                            ;   in Loop: Header=BB6_11188 Depth=2
	s_or_b32 exec_lo, exec_lo, s7
	s_delay_alu instid0(VALU_DEP_2) | instskip(NEXT) | instid1(VALU_DEP_2)
	v_lshrrev_b64 v[16:17], 20, v[16:17]
	v_cmp_gt_i32_e32 vcc_lo, 16, v18
	v_cmp_ne_u32_e64 s7, 0, v18
                                        ; implicit-def: $vgpr1
	s_delay_alu instid0(VALU_DEP_3) | instskip(NEXT) | instid1(VALU_DEP_1)
	v_dual_cndmask_b32 v17, 0, v17 :: v_dual_cndmask_b32 v16, 7, v16
	v_cmp_ne_u64_e32 vcc_lo, 0, v[16:17]
	s_or_b32 s7, s7, vcc_lo
	s_delay_alu instid0(SALU_CYCLE_1) | instskip(NEXT) | instid1(SALU_CYCLE_1)
	s_and_saveexec_b32 s40, s7
	s_xor_b32 s7, exec_lo, s40
; %bb.13230:                            ;   in Loop: Header=BB6_11188 Depth=2
	v_min_i32_e32 v1, 15, v18
	s_delay_alu instid0(VALU_DEP_1) | instskip(NEXT) | instid1(VALU_DEP_1)
	v_lshl_or_b32 v0, v1, 3, v0
	v_and_or_b32 v1, v16, 7, v0
                                        ; implicit-def: $vgpr0
; %bb.13231:                            ;   in Loop: Header=BB6_11188 Depth=2
	s_and_not1_saveexec_b32 s7, s7
; %bb.13232:                            ;   in Loop: Header=BB6_11188 Depth=2
	v_mov_b32_e32 v1, v0
; %bb.13233:                            ;   in Loop: Header=BB6_11188 Depth=2
	s_or_b32 exec_lo, exec_lo, s7
.LBB6_13234:                            ;   in Loop: Header=BB6_11188 Depth=2
	s_delay_alu instid0(SALU_CYCLE_1)
	s_or_b32 exec_lo, exec_lo, s29
                                        ; implicit-def: $vgpr0
.LBB6_13235:                            ;   in Loop: Header=BB6_11188 Depth=2
	s_and_not1_saveexec_b32 s7, s11
; %bb.13236:                            ;   in Loop: Header=BB6_11188 Depth=2
	v_or_b32_e32 v1, 0x7e, v0
; %bb.13237:                            ;   in Loop: Header=BB6_11188 Depth=2
	s_or_b32 exec_lo, exec_lo, s7
                                        ; implicit-def: $vgpr0
.LBB6_13238:                            ;   in Loop: Header=BB6_11188 Depth=2
	s_and_not1_saveexec_b32 s7, s10
	s_cbranch_execz .LBB6_11187
; %bb.13239:                            ;   in Loop: Header=BB6_11188 Depth=2
	v_or_b32_e32 v1, 0x7f, v0
	s_branch .LBB6_11187
.LBB6_13240:                            ;   in Loop: Header=BB6_6725 Depth=1
	s_or_b32 exec_lo, exec_lo, s28
.LBB6_13241:                            ;   in Loop: Header=BB6_6725 Depth=1
	s_delay_alu instid0(SALU_CYCLE_1) | instskip(SKIP_1) | instid1(VALU_DEP_1)
	s_or_b32 exec_lo, exec_lo, s27
	v_and_b32_e32 v1, 0xfffffc00, v3
	v_cmp_ne_u32_e32 vcc_lo, v3, v1
	s_and_b32 exec_lo, exec_lo, vcc_lo
	s_cbranch_execz .LBB6_13313
; %bb.13242:                            ;   in Loop: Header=BB6_6725 Depth=1
	v_dual_lshlrev_b32 v0, 5, v21 :: v_dual_lshlrev_b32 v4, 5, v22
	s_delay_alu instid0(VALU_DEP_1) | instskip(NEXT) | instid1(VALU_DEP_1)
	v_sub_nc_u32_e32 v0, v20, v0
	v_sub_nc_u32_e32 v4, v0, v4
	v_and_b32_e32 v0, 0x3ff, v3
	s_delay_alu instid0(VALU_DEP_1) | instskip(NEXT) | instid1(VALU_DEP_1)
	v_sub_nc_u32_e32 v0, v0, v4
	v_cmp_lt_i32_e32 vcc_lo, 0, v0
	s_and_b32 exec_lo, exec_lo, vcc_lo
	s_cbranch_execz .LBB6_13313
; %bb.13243:                            ;   in Loop: Header=BB6_6725 Depth=1
	s_trap 2
	ds_load_b128 v[6:9], v0
	ds_load_b64 v[14:15], v0
	v_add3_u32 v2, v1, v2, v4
	s_mov_b32 s27, 0
	s_delay_alu instid0(VALU_DEP_1) | instskip(SKIP_1) | instid1(VALU_DEP_1)
	v_ashrrev_i32_e32 v3, 31, v2
	s_wait_dscnt 0x1
	v_add_nc_u64_e32 v[10:11], v[6:7], v[2:3]
	v_add_nc_u64_e32 v[12:13], v[8:9], v[2:3]
	s_wait_dscnt 0x0
	v_add_nc_u64_e32 v[14:15], v[14:15], v[2:3]
	s_branch .LBB6_13245
.LBB6_13244:                            ;   in Loop: Header=BB6_13245 Depth=2
	s_or_b32 exec_lo, exec_lo, s7
	v_sub_nc_u32_e32 v0, v0, v80
	flat_store_b8 v[14:15], v2 th:TH_STORE_NT
	v_add_nc_u64_e32 v[10:11], v[10:11], v[80:81]
	v_add_nc_u64_e32 v[12:13], v[12:13], v[80:81]
	s_wait_xcnt 0x0
	v_add_nc_u64_e32 v[14:15], v[14:15], v[80:81]
	v_cmp_gt_i32_e32 vcc_lo, 1, v0
	s_or_b32 s27, vcc_lo, s27
	s_delay_alu instid0(SALU_CYCLE_1)
	s_and_not1_b32 exec_lo, exec_lo, s27
	s_cbranch_execz .LBB6_13313
.LBB6_13245:                            ;   Parent Loop BB6_6725 Depth=1
                                        ; =>  This Inner Loop Header: Depth=2
	s_trap 2
	ds_load_b64 v[2:3], v0
	s_mov_b32 s7, 0
	s_wait_dscnt 0x0
	v_and_b32_e32 v1, 0xff, v2
	v_readfirstlane_b32 s10, v2
	v_readfirstlane_b32 s11, v3
	s_delay_alu instid0(VALU_DEP_3)
	v_cmp_eq_u32_e32 vcc_lo, 0, v1
	s_cbranch_vccnz .LBB6_13249
; %bb.13246:                            ;   in Loop: Header=BB6_13245 Depth=2
	v_cmp_eq_u32_e32 vcc_lo, 0x80, v1
	s_brev_b32 s7, 1
	s_cbranch_vccnz .LBB6_13249
; %bb.13247:                            ;   in Loop: Header=BB6_13245 Depth=2
	s_and_b32 s28, s10, 0x7f
	s_mov_b32 s7, 0x7f800001
	s_cmp_eq_u32 s28, 0x7f
	s_cbranch_scc1 .LBB6_13249
; %bb.13248:                            ;   in Loop: Header=BB6_13245 Depth=2
	s_and_b32 s7, s10, 7
	s_lshr_b32 s29, s28, 3
	s_clz_i32_u32 s7, s7
	s_delay_alu instid0(SALU_CYCLE_1) | instskip(NEXT) | instid1(SALU_CYCLE_1)
	s_min_u32 s7, s7, 32
	s_sub_co_i32 s40, s7, 28
	s_sub_co_i32 s7, 29, s7
	s_cmp_lt_u32 s28, 8
	s_cselect_b32 s28, s40, 0
	s_cselect_b32 s7, s7, s29
	s_lshl_b64 s[28:29], s[10:11], s28
	s_lshl_b32 s10, s10, 24
	s_lshl_b32 s11, s28, 20
	;; [unrolled: 1-line block ×3, first 2 shown]
	s_and_b32 s11, s11, 0x700000
	s_and_b32 s10, s10, 0x80000000
	s_add_co_i32 s7, s7, 0x3c000000
	s_or_b32 s10, s11, s10
	s_delay_alu instid0(SALU_CYCLE_1)
	s_or_b32 s7, s7, s10
.LBB6_13249:                            ;   in Loop: Header=BB6_13245 Depth=2
	flat_load_u8 v1, v[10:11] th:TH_LOAD_NT
	v_mov_b32_e32 v2, 0
	s_mov_b32 s10, exec_lo
	s_wait_loadcnt_dscnt 0x0
	s_wait_xcnt 0x0
	v_cmpx_ne_u16_e32 0, v1
	s_cbranch_execz .LBB6_13257
; %bb.13250:                            ;   in Loop: Header=BB6_13245 Depth=2
	v_bfrev_b32_e32 v2, 1
	s_mov_b32 s11, exec_lo
	v_cmpx_ne_u16_e32 0x80, v1
	s_cbranch_execz .LBB6_13256
; %bb.13251:                            ;   in Loop: Header=BB6_13245 Depth=2
	v_and_b32_e32 v4, 0xffff, v1
	v_mov_b32_e32 v2, 0x7f800001
	s_mov_b32 s28, exec_lo
	s_delay_alu instid0(VALU_DEP_2) | instskip(NEXT) | instid1(VALU_DEP_1)
	v_and_b32_e32 v3, 0x7f, v4
	v_cmpx_ne_u32_e32 0x7f, v3
	s_cbranch_execz .LBB6_13255
; %bb.13252:                            ;   in Loop: Header=BB6_13245 Depth=2
	v_dual_lshrrev_b32 v2, 3, v3 :: v_dual_bitop2_b32 v52, 7, v4 bitop3:0x40
	s_mov_b32 s29, exec_lo
	s_delay_alu instid0(VALU_DEP_1)
	v_mov_b64_e32 v[16:17], v[52:53]
	v_cmpx_gt_u32_e32 8, v3
; %bb.13253:                            ;   in Loop: Header=BB6_13245 Depth=2
	v_clz_i32_u32_e32 v2, v52
	s_delay_alu instid0(VALU_DEP_1) | instskip(NEXT) | instid1(VALU_DEP_1)
	v_min_u32_e32 v2, 32, v2
	v_subrev_nc_u32_e32 v3, 28, v2
	s_delay_alu instid0(VALU_DEP_1) | instskip(NEXT) | instid1(VALU_DEP_1)
	v_lshlrev_b64_e32 v[4:5], v3, v[52:53]
	v_dual_sub_nc_u32 v2, 29, v2 :: v_dual_bitop2_b32 v16, 7, v4 bitop3:0x40
; %bb.13254:                            ;   in Loop: Header=BB6_13245 Depth=2
	s_or_b32 exec_lo, exec_lo, s29
	s_delay_alu instid0(VALU_DEP_1) | instskip(NEXT) | instid1(VALU_DEP_2)
	v_dual_lshlrev_b32 v1, 24, v1 :: v_dual_lshlrev_b32 v3, 20, v16
	v_lshl_add_u32 v2, v2, 23, 0x3c000000
	s_delay_alu instid0(VALU_DEP_2) | instskip(NEXT) | instid1(VALU_DEP_1)
	v_and_b32_e32 v1, 0x80000000, v1
	v_or3_b32 v2, v3, v1, v2
.LBB6_13255:                            ;   in Loop: Header=BB6_13245 Depth=2
	s_or_b32 exec_lo, exec_lo, s28
.LBB6_13256:                            ;   in Loop: Header=BB6_13245 Depth=2
	s_delay_alu instid0(SALU_CYCLE_1)
	s_or_b32 exec_lo, exec_lo, s11
.LBB6_13257:                            ;   in Loop: Header=BB6_13245 Depth=2
	s_delay_alu instid0(SALU_CYCLE_1) | instskip(NEXT) | instid1(VALU_DEP_1)
	s_or_b32 exec_lo, exec_lo, s10
	v_mul_f32_e32 v3, s7, v2
                                        ; implicit-def: $vgpr2
	s_mov_b32 s7, exec_lo
	s_delay_alu instid0(VALU_DEP_1) | instskip(SKIP_1) | instid1(VALU_DEP_2)
	v_and_b32_e32 v52, 0x7f800000, v3
	v_lshrrev_b32_e32 v1, 24, v3
	v_cmpx_ne_u64_e32 0x7f800000, v[52:53]
	s_xor_b32 s10, exec_lo, s7
	s_cbranch_execz .LBB6_13275
; %bb.13258:                            ;   in Loop: Header=BB6_13245 Depth=2
	v_and_b32_e32 v52, 0x7fffffff, v3
	v_and_b32_e32 v1, 0x80, v1
                                        ; implicit-def: $vgpr2
	s_mov_b32 s7, exec_lo
	s_delay_alu instid0(VALU_DEP_2)
	v_cmpx_gt_u64_e32 0x43e00001, v[52:53]
	s_xor_b32 s11, exec_lo, s7
	s_cbranch_execz .LBB6_13272
; %bb.13259:                            ;   in Loop: Header=BB6_13245 Depth=2
	v_mov_b32_e32 v2, 0
	s_mov_b32 s28, exec_lo
	v_cmpx_ne_u32_e32 0, v3
	s_cbranch_execz .LBB6_13271
; %bb.13260:                            ;   in Loop: Header=BB6_13245 Depth=2
	v_bfe_u32 v2, v3, 23, 8
	v_and_b32_e32 v3, 0x7fffff, v3
	s_mov_b32 s29, exec_lo
	s_delay_alu instid0(VALU_DEP_2) | instskip(SKIP_1) | instid1(VALU_DEP_3)
	v_sub_nc_u32_e32 v4, 0x79, v2
	v_cmp_gt_u32_e32 vcc_lo, 0x7a, v2
	v_or_b32_e32 v8, 0x800000, v3
	s_delay_alu instid0(VALU_DEP_3) | instskip(SKIP_1) | instid1(VALU_DEP_3)
	v_cndmask_b32_e32 v4, 0, v4, vcc_lo
	v_cmp_eq_u32_e32 vcc_lo, 0, v2
	v_cndmask_b32_e32 v52, v8, v3, vcc_lo
	s_delay_alu instid0(VALU_DEP_3) | instskip(NEXT) | instid1(VALU_DEP_1)
	v_cndmask_b32_e64 v4, v4, 0x78, vcc_lo
	v_add_nc_u32_e32 v5, 20, v4
	s_delay_alu instid0(VALU_DEP_3) | instskip(NEXT) | instid1(VALU_DEP_2)
	v_lshrrev_b64 v[16:17], v4, v[52:53]
	v_lshlrev_b64_e64 v[6:7], v5, -1
	v_add_nc_u32_e32 v5, 19, v4
	s_delay_alu instid0(VALU_DEP_3) | instskip(NEXT) | instid1(VALU_DEP_2)
	v_mov_b64_e32 v[18:19], v[16:17]
	v_lshlrev_b64_e64 v[8:9], v5, 1
	s_delay_alu instid0(VALU_DEP_4) | instskip(SKIP_1) | instid1(VALU_DEP_1)
	v_bfi_b32 v7, v7, 0, 0
	v_bfi_b32 v6, v6, 0, v52
	v_cmpx_eq_u64_e64 v[6:7], v[8:9]
; %bb.13261:                            ;   in Loop: Header=BB6_13245 Depth=2
	v_bfe_u32 v52, v16, 20, 1
	s_delay_alu instid0(VALU_DEP_1) | instskip(NEXT) | instid1(VALU_DEP_1)
	v_add_nc_u64_e32 v[6:7], v[16:17], v[52:53]
	v_add_nc_u64_e32 v[18:19], -1, v[6:7]
; %bb.13262:                            ;   in Loop: Header=BB6_13245 Depth=2
	s_or_b32 exec_lo, exec_lo, s29
	v_add_nc_u32_e32 v2, 0xffffff81, v2
	v_lshrrev_b32_e32 v3, 23, v16
	s_mov_b32 s7, exec_lo
	s_delay_alu instid0(VALU_DEP_2) | instskip(NEXT) | instid1(VALU_DEP_1)
	v_cndmask_b32_e64 v2, v2, 0xffffff82, vcc_lo
	v_add3_u32 v2, v4, v2, v3
	v_and_b32_e32 v3, 0xfffff, v18
	s_delay_alu instid0(VALU_DEP_1) | instskip(NEXT) | instid1(VALU_DEP_1)
	v_dual_add_nc_u32 v4, 6, v2 :: v_dual_add_nc_u32 v52, v3, v16
                                        ; implicit-def: $vgpr16_vgpr17
                                        ; implicit-def: $vgpr3
	v_cmpx_ne_u32_e32 0, v4
	s_xor_b32 s7, exec_lo, s7
; %bb.13263:                            ;   in Loop: Header=BB6_13245 Depth=2
	s_delay_alu instid0(VALU_DEP_2) | instskip(SKIP_1) | instid1(VALU_DEP_1)
	v_cmp_lt_u64_e32 vcc_lo, 0xffffff, v[52:53]
	v_add_nc_u32_e32 v2, 7, v2
	v_cndmask_b32_e32 v3, v4, v2, vcc_lo
	v_cndmask_b32_e64 v2, 0, 1, vcc_lo
	s_delay_alu instid0(VALU_DEP_1)
	v_lshrrev_b64 v[16:17], v2, v[52:53]
; %bb.13264:                            ;   in Loop: Header=BB6_13245 Depth=2
	s_and_not1_saveexec_b32 s7, s7
; %bb.13265:                            ;   in Loop: Header=BB6_13245 Depth=2
	v_mov_b64_e32 v[16:17], v[52:53]
	v_bfe_u32 v3, v52, 23, 1
; %bb.13266:                            ;   in Loop: Header=BB6_13245 Depth=2
	s_or_b32 exec_lo, exec_lo, s7
	s_delay_alu instid0(VALU_DEP_2) | instskip(NEXT) | instid1(VALU_DEP_2)
	v_lshrrev_b64 v[4:5], 20, v[16:17]
	v_cmp_gt_i32_e32 vcc_lo, 16, v3
	v_cmp_ne_u32_e64 s7, 0, v3
                                        ; implicit-def: $vgpr2
	s_delay_alu instid0(VALU_DEP_3) | instskip(NEXT) | instid1(VALU_DEP_1)
	v_dual_cndmask_b32 v17, 0, v5 :: v_dual_cndmask_b32 v16, 7, v4
	v_cmp_ne_u64_e32 vcc_lo, 0, v[16:17]
	s_or_b32 s7, s7, vcc_lo
	s_delay_alu instid0(SALU_CYCLE_1) | instskip(NEXT) | instid1(SALU_CYCLE_1)
	s_and_saveexec_b32 s29, s7
	s_xor_b32 s7, exec_lo, s29
; %bb.13267:                            ;   in Loop: Header=BB6_13245 Depth=2
	v_min_i32_e32 v2, 15, v3
	s_delay_alu instid0(VALU_DEP_1) | instskip(NEXT) | instid1(VALU_DEP_1)
	v_lshl_or_b32 v1, v2, 3, v1
	v_and_or_b32 v2, v16, 7, v1
                                        ; implicit-def: $vgpr1
; %bb.13268:                            ;   in Loop: Header=BB6_13245 Depth=2
	s_and_not1_saveexec_b32 s7, s7
; %bb.13269:                            ;   in Loop: Header=BB6_13245 Depth=2
	v_mov_b32_e32 v2, v1
; %bb.13270:                            ;   in Loop: Header=BB6_13245 Depth=2
	s_or_b32 exec_lo, exec_lo, s7
.LBB6_13271:                            ;   in Loop: Header=BB6_13245 Depth=2
	s_delay_alu instid0(SALU_CYCLE_1)
	s_or_b32 exec_lo, exec_lo, s28
                                        ; implicit-def: $vgpr1
.LBB6_13272:                            ;   in Loop: Header=BB6_13245 Depth=2
	s_and_not1_saveexec_b32 s7, s11
; %bb.13273:                            ;   in Loop: Header=BB6_13245 Depth=2
	v_or_b32_e32 v2, 0x7e, v1
; %bb.13274:                            ;   in Loop: Header=BB6_13245 Depth=2
	s_or_b32 exec_lo, exec_lo, s7
                                        ; implicit-def: $vgpr1
.LBB6_13275:                            ;   in Loop: Header=BB6_13245 Depth=2
	s_and_not1_saveexec_b32 s7, s10
; %bb.13276:                            ;   in Loop: Header=BB6_13245 Depth=2
	v_or_b32_e32 v2, 0x7f, v1
; %bb.13277:                            ;   in Loop: Header=BB6_13245 Depth=2
	s_or_b32 exec_lo, exec_lo, s7
	flat_load_u8 v1, v[12:13] th:TH_LOAD_NT
	v_and_b32_e32 v5, 0xff, v2
	v_dual_mov_b32 v3, 0 :: v_dual_mov_b32 v4, 0
	s_mov_b32 s7, exec_lo
	s_wait_xcnt 0x0
	s_delay_alu instid0(VALU_DEP_2)
	v_cmpx_ne_u16_e32 0, v5
	s_cbranch_execz .LBB6_13285
; %bb.13278:                            ;   in Loop: Header=BB6_13245 Depth=2
	v_bfrev_b32_e32 v4, 1
	s_mov_b32 s10, exec_lo
	v_cmpx_ne_u16_e32 0x80, v5
	s_cbranch_execz .LBB6_13284
; %bb.13279:                            ;   in Loop: Header=BB6_13245 Depth=2
	v_and_b32_e32 v6, 0x7f, v2
	v_mov_b32_e32 v4, 0x7f800001
	s_mov_b32 s11, exec_lo
	s_delay_alu instid0(VALU_DEP_2)
	v_cmpx_ne_u32_e32 0x7f, v6
	s_cbranch_execz .LBB6_13283
; %bb.13280:                            ;   in Loop: Header=BB6_13245 Depth=2
	v_dual_lshrrev_b32 v4, 3, v6 :: v_dual_bitop2_b32 v52, 7, v5 bitop3:0x40
	s_mov_b32 s28, exec_lo
	s_delay_alu instid0(VALU_DEP_1)
	v_mov_b64_e32 v[16:17], v[52:53]
	v_cmpx_gt_u32_e32 8, v6
; %bb.13281:                            ;   in Loop: Header=BB6_13245 Depth=2
	v_clz_i32_u32_e32 v4, v52
	s_delay_alu instid0(VALU_DEP_1) | instskip(NEXT) | instid1(VALU_DEP_1)
	v_min_u32_e32 v4, 32, v4
	v_subrev_nc_u32_e32 v5, 28, v4
	s_delay_alu instid0(VALU_DEP_1) | instskip(NEXT) | instid1(VALU_DEP_1)
	v_lshlrev_b64_e32 v[6:7], v5, v[52:53]
	v_dual_sub_nc_u32 v4, 29, v4 :: v_dual_bitop2_b32 v16, 7, v6 bitop3:0x40
; %bb.13282:                            ;   in Loop: Header=BB6_13245 Depth=2
	s_or_b32 exec_lo, exec_lo, s28
	s_delay_alu instid0(VALU_DEP_1) | instskip(NEXT) | instid1(VALU_DEP_2)
	v_dual_lshlrev_b32 v2, 24, v2 :: v_dual_lshlrev_b32 v5, 20, v16
	v_lshl_add_u32 v4, v4, 23, 0x3c000000
	s_delay_alu instid0(VALU_DEP_2) | instskip(NEXT) | instid1(VALU_DEP_1)
	v_and_b32_e32 v2, 0x80000000, v2
	v_or3_b32 v4, v5, v2, v4
.LBB6_13283:                            ;   in Loop: Header=BB6_13245 Depth=2
	s_or_b32 exec_lo, exec_lo, s11
.LBB6_13284:                            ;   in Loop: Header=BB6_13245 Depth=2
	s_delay_alu instid0(SALU_CYCLE_1)
	s_or_b32 exec_lo, exec_lo, s10
.LBB6_13285:                            ;   in Loop: Header=BB6_13245 Depth=2
	s_delay_alu instid0(SALU_CYCLE_1) | instskip(SKIP_3) | instid1(VALU_DEP_1)
	s_or_b32 exec_lo, exec_lo, s7
	s_wait_loadcnt_dscnt 0x0
	v_and_b32_e32 v2, 0xff, v1
	s_mov_b32 s7, exec_lo
	v_cmpx_ne_u16_e32 0, v2
	s_cbranch_execz .LBB6_13293
; %bb.13286:                            ;   in Loop: Header=BB6_13245 Depth=2
	v_bfrev_b32_e32 v3, 1
	s_mov_b32 s10, exec_lo
	v_cmpx_ne_u16_e32 0x80, v2
	s_cbranch_execz .LBB6_13292
; %bb.13287:                            ;   in Loop: Header=BB6_13245 Depth=2
	v_and_b32_e32 v5, 0x7f, v1
	v_mov_b32_e32 v3, 0x7f800001
	s_mov_b32 s11, exec_lo
	s_delay_alu instid0(VALU_DEP_2)
	v_cmpx_ne_u32_e32 0x7f, v5
	s_cbranch_execz .LBB6_13291
; %bb.13288:                            ;   in Loop: Header=BB6_13245 Depth=2
	v_dual_lshrrev_b32 v2, 3, v5 :: v_dual_bitop2_b32 v52, 7, v2 bitop3:0x40
	s_mov_b32 s28, exec_lo
	s_delay_alu instid0(VALU_DEP_1)
	v_mov_b64_e32 v[16:17], v[52:53]
	v_cmpx_gt_u32_e32 8, v5
; %bb.13289:                            ;   in Loop: Header=BB6_13245 Depth=2
	v_clz_i32_u32_e32 v2, v52
	s_delay_alu instid0(VALU_DEP_1) | instskip(NEXT) | instid1(VALU_DEP_1)
	v_min_u32_e32 v2, 32, v2
	v_subrev_nc_u32_e32 v3, 28, v2
	v_sub_nc_u32_e32 v2, 29, v2
	s_delay_alu instid0(VALU_DEP_2) | instskip(NEXT) | instid1(VALU_DEP_1)
	v_lshlrev_b64_e32 v[6:7], v3, v[52:53]
	v_and_b32_e32 v16, 7, v6
; %bb.13290:                            ;   in Loop: Header=BB6_13245 Depth=2
	s_or_b32 exec_lo, exec_lo, s28
	s_delay_alu instid0(VALU_DEP_1) | instskip(SKIP_1) | instid1(VALU_DEP_2)
	v_dual_lshlrev_b32 v1, 24, v1 :: v_dual_lshlrev_b32 v3, 20, v16
	v_lshl_add_u32 v2, v2, 23, 0x3c000000
	v_and_b32_e32 v1, 0x80000000, v1
	s_delay_alu instid0(VALU_DEP_1)
	v_or3_b32 v3, v3, v1, v2
.LBB6_13291:                            ;   in Loop: Header=BB6_13245 Depth=2
	s_or_b32 exec_lo, exec_lo, s11
.LBB6_13292:                            ;   in Loop: Header=BB6_13245 Depth=2
	s_delay_alu instid0(SALU_CYCLE_1)
	s_or_b32 exec_lo, exec_lo, s10
.LBB6_13293:                            ;   in Loop: Header=BB6_13245 Depth=2
	s_delay_alu instid0(SALU_CYCLE_1) | instskip(NEXT) | instid1(VALU_DEP_1)
	s_or_b32 exec_lo, exec_lo, s7
	v_add_f32_e32 v3, v4, v3
                                        ; implicit-def: $vgpr2
	s_mov_b32 s7, exec_lo
	s_delay_alu instid0(VALU_DEP_1) | instskip(SKIP_1) | instid1(VALU_DEP_2)
	v_and_b32_e32 v52, 0x7f800000, v3
	v_lshrrev_b32_e32 v1, 24, v3
	v_cmpx_ne_u64_e32 0x7f800000, v[52:53]
	s_xor_b32 s10, exec_lo, s7
	s_cbranch_execz .LBB6_13311
; %bb.13294:                            ;   in Loop: Header=BB6_13245 Depth=2
	v_and_b32_e32 v52, 0x7fffffff, v3
	v_and_b32_e32 v1, 0x80, v1
                                        ; implicit-def: $vgpr2
	s_mov_b32 s7, exec_lo
	s_delay_alu instid0(VALU_DEP_2)
	v_cmpx_gt_u64_e32 0x43e00001, v[52:53]
	s_xor_b32 s11, exec_lo, s7
	s_cbranch_execz .LBB6_13308
; %bb.13295:                            ;   in Loop: Header=BB6_13245 Depth=2
	v_mov_b32_e32 v2, 0
	s_mov_b32 s28, exec_lo
	v_cmpx_ne_u32_e32 0, v3
	s_cbranch_execz .LBB6_13307
; %bb.13296:                            ;   in Loop: Header=BB6_13245 Depth=2
	v_bfe_u32 v2, v3, 23, 8
	v_and_b32_e32 v3, 0x7fffff, v3
	s_mov_b32 s29, exec_lo
	s_delay_alu instid0(VALU_DEP_2) | instskip(SKIP_1) | instid1(VALU_DEP_3)
	v_sub_nc_u32_e32 v4, 0x79, v2
	v_cmp_gt_u32_e32 vcc_lo, 0x7a, v2
	v_or_b32_e32 v8, 0x800000, v3
	s_delay_alu instid0(VALU_DEP_3) | instskip(SKIP_1) | instid1(VALU_DEP_3)
	v_cndmask_b32_e32 v4, 0, v4, vcc_lo
	v_cmp_eq_u32_e32 vcc_lo, 0, v2
	v_cndmask_b32_e32 v52, v8, v3, vcc_lo
	s_delay_alu instid0(VALU_DEP_3) | instskip(NEXT) | instid1(VALU_DEP_1)
	v_cndmask_b32_e64 v4, v4, 0x78, vcc_lo
	v_add_nc_u32_e32 v5, 20, v4
	s_delay_alu instid0(VALU_DEP_3) | instskip(NEXT) | instid1(VALU_DEP_2)
	v_lshrrev_b64 v[16:17], v4, v[52:53]
	v_lshlrev_b64_e64 v[6:7], v5, -1
	v_add_nc_u32_e32 v5, 19, v4
	s_delay_alu instid0(VALU_DEP_3) | instskip(NEXT) | instid1(VALU_DEP_2)
	v_mov_b64_e32 v[18:19], v[16:17]
	v_lshlrev_b64_e64 v[8:9], v5, 1
	s_delay_alu instid0(VALU_DEP_4) | instskip(SKIP_1) | instid1(VALU_DEP_1)
	v_bfi_b32 v7, v7, 0, 0
	v_bfi_b32 v6, v6, 0, v52
	v_cmpx_eq_u64_e64 v[6:7], v[8:9]
; %bb.13297:                            ;   in Loop: Header=BB6_13245 Depth=2
	v_bfe_u32 v52, v16, 20, 1
	s_delay_alu instid0(VALU_DEP_1) | instskip(NEXT) | instid1(VALU_DEP_1)
	v_add_nc_u64_e32 v[6:7], v[16:17], v[52:53]
	v_add_nc_u64_e32 v[18:19], -1, v[6:7]
; %bb.13298:                            ;   in Loop: Header=BB6_13245 Depth=2
	s_or_b32 exec_lo, exec_lo, s29
	v_add_nc_u32_e32 v2, 0xffffff81, v2
	v_lshrrev_b32_e32 v3, 23, v16
	s_mov_b32 s7, exec_lo
	s_delay_alu instid0(VALU_DEP_2) | instskip(NEXT) | instid1(VALU_DEP_1)
	v_cndmask_b32_e64 v2, v2, 0xffffff82, vcc_lo
	v_add3_u32 v2, v4, v2, v3
	v_and_b32_e32 v3, 0xfffff, v18
	s_delay_alu instid0(VALU_DEP_1) | instskip(NEXT) | instid1(VALU_DEP_1)
	v_dual_add_nc_u32 v4, 6, v2 :: v_dual_add_nc_u32 v52, v3, v16
                                        ; implicit-def: $vgpr16_vgpr17
                                        ; implicit-def: $vgpr3
	v_cmpx_ne_u32_e32 0, v4
	s_xor_b32 s7, exec_lo, s7
; %bb.13299:                            ;   in Loop: Header=BB6_13245 Depth=2
	s_delay_alu instid0(VALU_DEP_2) | instskip(SKIP_1) | instid1(VALU_DEP_1)
	v_cmp_lt_u64_e32 vcc_lo, 0xffffff, v[52:53]
	v_add_nc_u32_e32 v2, 7, v2
	v_cndmask_b32_e32 v3, v4, v2, vcc_lo
	v_cndmask_b32_e64 v2, 0, 1, vcc_lo
	s_delay_alu instid0(VALU_DEP_1)
	v_lshrrev_b64 v[16:17], v2, v[52:53]
; %bb.13300:                            ;   in Loop: Header=BB6_13245 Depth=2
	s_and_not1_saveexec_b32 s7, s7
; %bb.13301:                            ;   in Loop: Header=BB6_13245 Depth=2
	v_mov_b64_e32 v[16:17], v[52:53]
	v_bfe_u32 v3, v52, 23, 1
; %bb.13302:                            ;   in Loop: Header=BB6_13245 Depth=2
	s_or_b32 exec_lo, exec_lo, s7
	s_delay_alu instid0(VALU_DEP_2) | instskip(NEXT) | instid1(VALU_DEP_2)
	v_lshrrev_b64 v[4:5], 20, v[16:17]
	v_cmp_gt_i32_e32 vcc_lo, 16, v3
	v_cmp_ne_u32_e64 s7, 0, v3
                                        ; implicit-def: $vgpr2
	s_delay_alu instid0(VALU_DEP_3) | instskip(NEXT) | instid1(VALU_DEP_1)
	v_dual_cndmask_b32 v17, 0, v5 :: v_dual_cndmask_b32 v16, 7, v4
	v_cmp_ne_u64_e32 vcc_lo, 0, v[16:17]
	s_or_b32 s7, s7, vcc_lo
	s_delay_alu instid0(SALU_CYCLE_1) | instskip(NEXT) | instid1(SALU_CYCLE_1)
	s_and_saveexec_b32 s29, s7
	s_xor_b32 s7, exec_lo, s29
; %bb.13303:                            ;   in Loop: Header=BB6_13245 Depth=2
	v_min_i32_e32 v2, 15, v3
	s_delay_alu instid0(VALU_DEP_1) | instskip(NEXT) | instid1(VALU_DEP_1)
	v_lshl_or_b32 v1, v2, 3, v1
	v_and_or_b32 v2, v16, 7, v1
                                        ; implicit-def: $vgpr1
; %bb.13304:                            ;   in Loop: Header=BB6_13245 Depth=2
	s_and_not1_saveexec_b32 s7, s7
; %bb.13305:                            ;   in Loop: Header=BB6_13245 Depth=2
	v_mov_b32_e32 v2, v1
; %bb.13306:                            ;   in Loop: Header=BB6_13245 Depth=2
	s_or_b32 exec_lo, exec_lo, s7
.LBB6_13307:                            ;   in Loop: Header=BB6_13245 Depth=2
	s_delay_alu instid0(SALU_CYCLE_1)
	s_or_b32 exec_lo, exec_lo, s28
                                        ; implicit-def: $vgpr1
.LBB6_13308:                            ;   in Loop: Header=BB6_13245 Depth=2
	s_and_not1_saveexec_b32 s7, s11
; %bb.13309:                            ;   in Loop: Header=BB6_13245 Depth=2
	v_or_b32_e32 v2, 0x7e, v1
; %bb.13310:                            ;   in Loop: Header=BB6_13245 Depth=2
	s_or_b32 exec_lo, exec_lo, s7
                                        ; implicit-def: $vgpr1
.LBB6_13311:                            ;   in Loop: Header=BB6_13245 Depth=2
	s_and_not1_saveexec_b32 s7, s10
	s_cbranch_execz .LBB6_13244
; %bb.13312:                            ;   in Loop: Header=BB6_13245 Depth=2
	v_or_b32_e32 v2, 0x7f, v1
	s_branch .LBB6_13244
.LBB6_13313:                            ;   in Loop: Header=BB6_6725 Depth=1
	s_or_b32 exec_lo, exec_lo, s26
	s_clause 0x1
	scratch_load_b32 v4, off, s33 offset:396
	scratch_load_b64 v[96:97], off, s33 offset:412
	v_cmp_ne_u32_e64 s7, 0, v41
	s_wait_xcnt 0x0
	s_and_saveexec_b32 s10, s2
	s_cbranch_execz .LBB6_13332
.LBB6_13314:                            ;   in Loop: Header=BB6_6725 Depth=1
	s_and_saveexec_b32 s11, s3
	s_delay_alu instid0(SALU_CYCLE_1)
	s_xor_b32 s11, exec_lo, s11
	s_cbranch_execz .LBB6_13329
; %bb.13315:                            ;   in Loop: Header=BB6_6725 Depth=1
	s_and_saveexec_b32 s26, s4
	s_cbranch_execz .LBB6_13328
; %bb.13316:                            ;   in Loop: Header=BB6_6725 Depth=1
	s_mov_b32 s28, exec_lo
	s_mov_b32 s27, exec_lo
	v_mbcnt_lo_u32_b32 v0, s28, 0
	global_wb scope:SCOPE_DEV
	s_wait_storecnt 0x0
	s_wait_loadcnt_dscnt 0x0
	global_inv scope:SCOPE_DEV
	v_cmpx_eq_u32_e32 0, v0
	s_cbranch_execz .LBB6_13318
; %bb.13317:                            ;   in Loop: Header=BB6_6725 Depth=1
	s_bcnt1_i32_b32 s28, s28
	s_delay_alu instid0(SALU_CYCLE_1)
	v_mov_b32_e32 v52, s28
	s_wait_loadcnt 0x0
	ds_add_u64 v0, v[52:53]
	s_trap 2
.LBB6_13318:                            ;   in Loop: Header=BB6_6725 Depth=1
	s_or_b32 exec_lo, exec_lo, s27
	s_trap 2
	ds_load_b64 v[0:1], v0
	s_wait_dscnt 0x0
	scratch_load_b64 v[2:3], off, s33 offset:204 th:TH_LOAD_LU ; 8-byte Folded Reload
	s_mov_b32 s27, exec_lo
	s_wait_loadcnt 0x0
	v_add_nc_u64_e32 v[2:3], v[2:3], v[54:55]
	scratch_store_b64 off, v[2:3], s33 offset:204 ; 8-byte Folded Spill
	s_wait_xcnt 0x0
	v_cmpx_lt_u64_e64 v[0:1], v[2:3]
	s_cbranch_execz .LBB6_13327
; %bb.13319:                            ;   in Loop: Header=BB6_6725 Depth=1
	s_mov_b32 s28, 0
	s_mov_b32 s41, 0
                                        ; implicit-def: $sgpr29
                                        ; implicit-def: $sgpr40
	s_branch .LBB6_13321
.LBB6_13320:                            ;   in Loop: Header=BB6_13321 Depth=2
	s_wait_xcnt 0x0
	s_or_b32 exec_lo, exec_lo, s43
	s_delay_alu instid0(SALU_CYCLE_1) | instskip(NEXT) | instid1(SALU_CYCLE_1)
	s_and_b32 s42, exec_lo, s44
	s_or_b32 s28, s42, s28
	s_and_not1_b32 s29, s29, exec_lo
	s_and_b32 s42, s40, exec_lo
	s_delay_alu instid0(SALU_CYCLE_1)
	s_or_b32 s29, s29, s42
	s_and_not1_b32 exec_lo, exec_lo, s28
	s_cbranch_execz .LBB6_13325
.LBB6_13321:                            ;   Parent Loop BB6_6725 Depth=1
                                        ; =>  This Inner Loop Header: Depth=2
	s_add_co_i32 s41, s41, 1
	s_delay_alu instid0(SALU_CYCLE_1) | instskip(SKIP_1) | instid1(SALU_CYCLE_1)
	s_cmp_lg_u32 s41, 0x2710
	s_cselect_b32 s42, -1, 0
	s_and_b32 vcc_lo, exec_lo, s42
	s_cbranch_vccz .LBB6_13323
; %bb.13322:                            ;   in Loop: Header=BB6_13321 Depth=2
	s_mov_b32 s44, -1
	s_or_b32 s40, s40, exec_lo
	s_and_saveexec_b32 s43, s42
	s_cbranch_execz .LBB6_13320
	s_branch .LBB6_13324
.LBB6_13323:                            ;   in Loop: Header=BB6_13321 Depth=2
	s_trap 2
	ds_load_b64 v[0:1], v0
	s_and_not1_b32 s42, s42, exec_lo
	s_mov_b32 s41, 0
	s_wait_storecnt_dscnt 0x0
	flat_load_b32 v0, v[0:1] scope:SCOPE_SYS
	s_wait_loadcnt_dscnt 0x0
	global_inv scope:SCOPE_SYS
	v_cmp_eq_u32_e32 vcc_lo, 0, v0
	s_and_b32 s43, vcc_lo, exec_lo
	s_delay_alu instid0(SALU_CYCLE_1)
	s_or_b32 s42, s42, s43
	s_mov_b32 s44, -1
	s_or_b32 s40, s40, exec_lo
	s_wait_xcnt 0x0
	s_and_saveexec_b32 s43, s42
	s_cbranch_execz .LBB6_13320
.LBB6_13324:                            ;   in Loop: Header=BB6_13321 Depth=2
	s_sleep 1
	s_trap 2
	ds_load_b64 v[0:1], v0
	s_wait_dscnt 0x0
	scratch_load_b64 v[2:3], off, s33 offset:204 ; 8-byte Folded Reload
	s_and_not1_b32 s40, s40, exec_lo
	s_wait_loadcnt 0x0
	v_cmp_ge_u64_e32 vcc_lo, v[0:1], v[2:3]
	s_or_not1_b32 s44, vcc_lo, exec_lo
	s_branch .LBB6_13320
.LBB6_13325:                            ;   in Loop: Header=BB6_6725 Depth=1
	s_or_b32 exec_lo, exec_lo, s28
	s_and_saveexec_b32 s28, s29
	s_delay_alu instid0(SALU_CYCLE_1)
	s_xor_b32 s28, exec_lo, s28
	s_cbranch_execz .LBB6_13327
; %bb.13326:                            ;   in Loop: Header=BB6_6725 Depth=1
	v_mov_b32_e32 v0, 1
	ds_store_b32 v0, v0
	s_trap 2
.LBB6_13327:                            ;   in Loop: Header=BB6_6725 Depth=1
	s_or_b32 exec_lo, exec_lo, s27
	;;#ASMSTART
	s_wakeup
	;;#ASMEND
.LBB6_13328:                            ;   in Loop: Header=BB6_6725 Depth=1
	s_or_b32 exec_lo, exec_lo, s26
.LBB6_13329:                            ;   in Loop: Header=BB6_6725 Depth=1
	s_and_not1_saveexec_b32 s11, s11
	s_cbranch_execz .LBB6_13331
; %bb.13330:                            ;   in Loop: Header=BB6_6725 Depth=1
	global_wb scope:SCOPE_DEV
	s_wait_storecnt 0x0
	s_wait_loadcnt_dscnt 0x0
	global_inv scope:SCOPE_DEV
	s_barrier_signal -1
	s_barrier_wait -1
.LBB6_13331:                            ;   in Loop: Header=BB6_6725 Depth=1
	s_or_b32 exec_lo, exec_lo, s11
.LBB6_13332:                            ;   in Loop: Header=BB6_6725 Depth=1
	s_delay_alu instid0(SALU_CYCLE_1) | instskip(SKIP_2) | instid1(VALU_DEP_1)
	s_or_b32 exec_lo, exec_lo, s10
	s_wait_loadcnt 0x1
	v_and_b32_e32 v0, 16, v4
	v_cmp_ne_u32_e32 vcc_lo, 0, v0
	s_and_b32 s10, vcc_lo, s7
	s_delay_alu instid0(SALU_CYCLE_1)
	s_and_saveexec_b32 s7, s10
	s_cbranch_execz .LBB6_13334
; %bb.13333:                            ;   in Loop: Header=BB6_6725 Depth=1
	global_wb scope:SCOPE_SYS
	s_wait_storecnt 0x0
	s_wait_loadcnt_dscnt 0x0
	global_inv scope:SCOPE_SYS
.LBB6_13334:                            ;   in Loop: Header=BB6_6725 Depth=1
	s_or_b32 exec_lo, exec_lo, s7
	v_and_b32_e32 v0, 32, v4
	s_mov_b32 s7, exec_lo
	s_delay_alu instid0(VALU_DEP_1)
	v_cmpx_ne_u32_e32 0, v0
	s_cbranch_execz .LBB6_13336
; %bb.13335:                            ;   in Loop: Header=BB6_6725 Depth=1
	scratch_load_b128 v[0:3], off, s33 offset:188 th:TH_LOAD_LU ; 16-byte Folded Reload
	s_wait_loadcnt 0x0
	v_add_nc_u64_e32 v[2:3], 1, v[2:3]
	scratch_store_b128 off, v[0:3], s33 offset:188 ; 16-byte Folded Spill
	global_wb scope:SCOPE_SYS
	s_wait_xcnt 0x0
	s_wait_storecnt_dscnt 0x0
	flat_store_b64 v[32:33], v[2:3] scope:SCOPE_SYS
.LBB6_13336:                            ;   in Loop: Header=BB6_6725 Depth=1
	s_wait_xcnt 0x0
	s_or_b32 exec_lo, exec_lo, s7
	v_mov_b32_e32 v0, v85
.LBB6_13337:                            ;   in Loop: Header=BB6_6725 Depth=1
	s_or_b32 exec_lo, exec_lo, s25
	s_and_saveexec_b32 s10, s24
	s_cbranch_execnz .LBB6_13338
; %bb.17981:                            ;   in Loop: Header=BB6_6725 Depth=1
	s_add_pc_i64 .LBB6_6724-.Lpost_addpc31
.Lpost_addpc31:
.LBB6_13338:                            ;   in Loop: Header=BB6_6725 Depth=1
	v_and_b32_e32 v1, 4, v4
	s_mov_b32 s11, exec_lo
	s_delay_alu instid0(VALU_DEP_1)
	v_cmpx_ne_u32_e32 0, v1
	s_cbranch_execz .LBB6_13360
; %bb.13339:                            ;   in Loop: Header=BB6_6725 Depth=1
	scratch_load_b128 v[6:9], off, s33 offset:188 ; 16-byte Folded Reload
	s_mov_b32 s24, exec_lo
	s_wait_loadcnt 0x0
	v_add_nc_u64_e32 v[10:11], 1, v[8:9]
	s_wait_xcnt 0x0
	s_delay_alu instid0(VALU_DEP_1)
	v_cmpx_lt_u64_e64 v[48:49], v[10:11]
	s_cbranch_execz .LBB6_13351
; %bb.13340:                            ;   in Loop: Header=BB6_6725 Depth=1
	v_and_b32_e32 v1, 64, v4
	s_mov_b32 s25, 0
	s_mov_b32 s29, 0
                                        ; implicit-def: $sgpr26
                                        ; implicit-def: $sgpr27
                                        ; implicit-def: $sgpr28
	s_delay_alu instid0(VALU_DEP_1)
	v_cmp_eq_u32_e32 vcc_lo, 0, v1
	s_branch .LBB6_13343
.LBB6_13341:                            ;   in Loop: Header=BB6_13343 Depth=2
	s_or_b32 exec_lo, exec_lo, s44
	s_delay_alu instid0(SALU_CYCLE_1)
	s_and_not1_b32 s7, s28, exec_lo
	s_and_b32 s28, s42, exec_lo
	s_and_not1_b32 s27, s27, exec_lo
	s_and_b32 s41, s41, exec_lo
	s_or_b32 s28, s7, s28
	s_or_b32 s27, s27, s41
.LBB6_13342:                            ;   in Loop: Header=BB6_13343 Depth=2
	s_or_b32 exec_lo, exec_lo, s40
	s_delay_alu instid0(SALU_CYCLE_1) | instskip(NEXT) | instid1(SALU_CYCLE_1)
	s_and_b32 s7, exec_lo, s27
	s_or_b32 s25, s7, s25
	s_and_not1_b32 s7, s26, exec_lo
	s_and_b32 s26, s28, exec_lo
	s_delay_alu instid0(SALU_CYCLE_1)
	s_or_b32 s26, s7, s26
	s_and_not1_b32 exec_lo, exec_lo, s25
	s_cbranch_execz .LBB6_13348
.LBB6_13343:                            ;   Parent Loop BB6_6725 Depth=1
                                        ; =>  This Inner Loop Header: Depth=2
	s_sleep 1
	s_wait_loadcnt_dscnt 0x0
	flat_load_b64 v[48:49], v[32:33] scope:SCOPE_SYS
	s_or_b32 s28, s28, exec_lo
	s_or_b32 s27, s27, exec_lo
                                        ; implicit-def: $vgpr1
	s_wait_xcnt 0x0
	s_and_saveexec_b32 s40, vcc_lo
	s_cbranch_execz .LBB6_13342
; %bb.13344:                            ;   in Loop: Header=BB6_13343 Depth=2
	s_cmp_lt_i32 s29, 0x270f
	s_mov_b32 s41, -1
	s_cselect_b32 s43, -1, 0
	s_cmp_gt_i32 s29, 0x270e
	s_cbranch_scc0 .LBB6_13346
; %bb.13345:                            ;   in Loop: Header=BB6_13343 Depth=2
	s_trap 2
	ds_load_b64 v[2:3], v0
	s_and_not1_b32 s29, s43, exec_lo
	s_mov_b32 s42, 0
	s_wait_storecnt 0x0
	s_wait_loadcnt_dscnt 0x0
	flat_load_b32 v1, v[2:3] scope:SCOPE_SYS
	s_wait_loadcnt_dscnt 0x0
	global_inv scope:SCOPE_SYS
	v_cmp_eq_u32_e64 s7, 0, v1
	s_and_b32 s7, s7, exec_lo
	s_delay_alu instid0(SALU_CYCLE_1)
	s_or_b32 s43, s29, s7
	s_mov_b32 s29, 0
	s_wait_xcnt 0x0
	s_and_saveexec_b32 s44, s43
	s_cbranch_execz .LBB6_13341
	s_branch .LBB6_13347
.LBB6_13346:                            ;   in Loop: Header=BB6_13343 Depth=2
	s_add_co_i32 s29, s29, 1
	s_mov_b32 s42, -1
                                        ; implicit-def: $vgpr1
	s_and_saveexec_b32 s44, s43
	s_cbranch_execz .LBB6_13341
.LBB6_13347:                            ;   in Loop: Header=BB6_13343 Depth=2
	s_wait_loadcnt_dscnt 0x0
	v_cmp_ge_u64_e64 s7, v[48:49], v[10:11]
	s_or_b32 s42, s42, exec_lo
	s_or_not1_b32 s41, s7, exec_lo
	s_branch .LBB6_13341
.LBB6_13348:                            ;   in Loop: Header=BB6_6725 Depth=1
	s_or_b32 exec_lo, exec_lo, s25
	s_xor_b32 s7, s26, -1
	s_delay_alu instid0(SALU_CYCLE_1) | instskip(NEXT) | instid1(SALU_CYCLE_1)
	s_and_saveexec_b32 s25, s7
	s_xor_b32 s7, exec_lo, s25
	s_cbranch_execz .LBB6_13350
; %bb.13349:                            ;   in Loop: Header=BB6_6725 Depth=1
	v_or_b32_e32 v4, 64, v4
	s_wait_storecnt 0x0
	s_wait_loadcnt_dscnt 0x0
	ds_store_b32 v0, v1
	s_trap 2
.LBB6_13350:                            ;   in Loop: Header=BB6_6725 Depth=1
	s_or_b32 exec_lo, exec_lo, s7
.LBB6_13351:                            ;   in Loop: Header=BB6_6725 Depth=1
	s_delay_alu instid0(SALU_CYCLE_1)
	s_or_b32 exec_lo, exec_lo, s24
	scratch_load_b128 v[6:9], off, s33 offset:188 ; 16-byte Folded Reload
	v_and_b32_e32 v1, 0x100, v4
	s_mov_b32 s7, -1
	s_mov_b32 s24, exec_lo
	;;#ASMSTART
	s_wakeup
	;;#ASMEND
	s_wait_loadcnt 0x0
	v_and_b32_e32 v52, 7, v8
                                        ; implicit-def: $vgpr8_vgpr9
	s_wait_xcnt 0x0
	v_cmpx_ne_u32_e32 0, v1
	s_cbranch_execz .LBB6_13355
; %bb.13352:                            ;   in Loop: Header=BB6_6725 Depth=1
	scratch_load_b128 v[6:9], off, s33 offset:188 ; 16-byte Folded Reload
	s_mov_b32 s25, exec_lo
                                        ; implicit-def: $vgpr8_vgpr9
	s_wait_loadcnt 0x0
	v_mad_nc_u64_u32 v[12:13], v52, 24, v[6:7]
	flat_load_b32 v1, v[12:13]
	s_wait_loadcnt_dscnt 0x0
	v_cmp_ne_u32_e32 vcc_lo, 1, v1
	s_wait_xcnt 0x0
	v_cmpx_eq_u32_e32 1, v1
	s_cbranch_execz .LBB6_13354
; %bb.13353:                            ;   in Loop: Header=BB6_6725 Depth=1
	flat_load_b32 v8, v[12:13] offset:4 scope:SCOPE_SYS
	s_wait_loadcnt_dscnt 0x0
	v_ashrrev_i32_e32 v9, 31, v8
.LBB6_13354:                            ;   in Loop: Header=BB6_6725 Depth=1
	s_wait_xcnt 0x0
	s_or_b32 exec_lo, exec_lo, s25
	s_delay_alu instid0(SALU_CYCLE_1)
	s_or_not1_b32 s7, vcc_lo, exec_lo
.LBB6_13355:                            ;   in Loop: Header=BB6_6725 Depth=1
	s_or_b32 exec_lo, exec_lo, s24
	s_and_saveexec_b32 s24, s7
	s_cbranch_execz .LBB6_13357
; %bb.13356:                            ;   in Loop: Header=BB6_6725 Depth=1
	scratch_load_b64 v[2:3], off, s33 offset:388 ; 8-byte Folded Reload
	s_wait_loadcnt 0x0
	v_mul_u64_e32 v[8:9], v[52:53], v[2:3]
.LBB6_13357:                            ;   in Loop: Header=BB6_6725 Depth=1
	s_wait_xcnt 0x0
	s_or_b32 exec_lo, exec_lo, s24
	scratch_load_b64 v[2:3], off, s33 offset:380 ; 8-byte Folded Reload
	v_and_b32_e32 v1, 0x2000, v4
	s_mov_b32 s7, exec_lo
	s_wait_loadcnt 0x0
	v_add_nc_u64_e32 v[2:3], v[2:3], v[8:9]
	ds_store_b64 v0, v[2:3] offset:728
	s_wait_xcnt 0x0
	v_cmpx_ne_u32_e32 0, v1
	s_cbranch_execz .LBB6_13359
; %bb.13358:                            ;   in Loop: Header=BB6_6725 Depth=1
	ds_load_b64 v[2:3], v0 offset:872
	s_wait_dscnt 0x0
	v_add_nc_u64_e32 v[2:3], 1, v[2:3]
	ds_store_b64 v0, v[2:3] offset:872
.LBB6_13359:                            ;   in Loop: Header=BB6_6725 Depth=1
	s_or_b32 exec_lo, exec_lo, s7
	scratch_load_b128 v[6:9], off, s33 offset:188 ; 16-byte Folded Reload
	s_wait_loadcnt 0x0
	v_mov_b64_e32 v[8:9], v[10:11]
	scratch_store_b128 off, v[6:9], s33 offset:188 ; 16-byte Folded Spill
.LBB6_13360:                            ;   in Loop: Header=BB6_6725 Depth=1
	s_wait_xcnt 0x0
	s_or_b32 exec_lo, exec_lo, s11
	s_and_saveexec_b32 s7, s2
	s_cbranch_execz .LBB6_13379
; %bb.13361:                            ;   in Loop: Header=BB6_6725 Depth=1
	s_and_saveexec_b32 s11, s3
	s_delay_alu instid0(SALU_CYCLE_1)
	s_xor_b32 s11, exec_lo, s11
	s_cbranch_execz .LBB6_13376
; %bb.13362:                            ;   in Loop: Header=BB6_6725 Depth=1
	s_and_saveexec_b32 s24, s4
	s_cbranch_execz .LBB6_13375
; %bb.13363:                            ;   in Loop: Header=BB6_6725 Depth=1
	s_mov_b32 s26, exec_lo
	s_mov_b32 s25, exec_lo
	v_mbcnt_lo_u32_b32 v1, s26, 0
	global_wb scope:SCOPE_DEV
	s_wait_storecnt 0x0
	s_wait_loadcnt_dscnt 0x0
	global_inv scope:SCOPE_DEV
	v_cmpx_eq_u32_e32 0, v1
	s_cbranch_execz .LBB6_13365
; %bb.13364:                            ;   in Loop: Header=BB6_6725 Depth=1
	s_bcnt1_i32_b32 s26, s26
	s_delay_alu instid0(SALU_CYCLE_1)
	v_mov_b32_e32 v52, s26
	s_wait_loadcnt 0x0
	ds_add_u64 v0, v[52:53]
	s_trap 2
.LBB6_13365:                            ;   in Loop: Header=BB6_6725 Depth=1
	s_or_b32 exec_lo, exec_lo, s25
	s_trap 2
	ds_load_b64 v[2:3], v0
	s_wait_dscnt 0x0
	scratch_load_b64 v[6:7], off, s33 offset:204 th:TH_LOAD_LU ; 8-byte Folded Reload
	s_mov_b32 s25, exec_lo
	s_wait_loadcnt 0x0
	v_add_nc_u64_e32 v[6:7], v[6:7], v[54:55]
	scratch_store_b64 off, v[6:7], s33 offset:204 ; 8-byte Folded Spill
	s_wait_xcnt 0x0
	v_cmpx_lt_u64_e64 v[2:3], v[6:7]
	s_cbranch_execz .LBB6_13374
; %bb.13366:                            ;   in Loop: Header=BB6_6725 Depth=1
	s_mov_b32 s26, 0
	s_mov_b32 s29, 0
                                        ; implicit-def: $sgpr27
                                        ; implicit-def: $sgpr28
	s_branch .LBB6_13368
.LBB6_13367:                            ;   in Loop: Header=BB6_13368 Depth=2
	s_wait_xcnt 0x0
	s_or_b32 exec_lo, exec_lo, s41
	s_delay_alu instid0(SALU_CYCLE_1) | instskip(NEXT) | instid1(SALU_CYCLE_1)
	s_and_b32 s40, exec_lo, s42
	s_or_b32 s26, s40, s26
	s_and_not1_b32 s27, s27, exec_lo
	s_and_b32 s40, s28, exec_lo
	s_delay_alu instid0(SALU_CYCLE_1)
	s_or_b32 s27, s27, s40
	s_and_not1_b32 exec_lo, exec_lo, s26
	s_cbranch_execz .LBB6_13372
.LBB6_13368:                            ;   Parent Loop BB6_6725 Depth=1
                                        ; =>  This Inner Loop Header: Depth=2
	s_add_co_i32 s29, s29, 1
	s_delay_alu instid0(SALU_CYCLE_1) | instskip(SKIP_1) | instid1(SALU_CYCLE_1)
	s_cmp_lg_u32 s29, 0x2710
	s_cselect_b32 s40, -1, 0
	s_and_b32 vcc_lo, exec_lo, s40
	s_cbranch_vccz .LBB6_13370
; %bb.13369:                            ;   in Loop: Header=BB6_13368 Depth=2
	s_mov_b32 s42, -1
	s_or_b32 s28, s28, exec_lo
	s_and_saveexec_b32 s41, s40
	s_cbranch_execz .LBB6_13367
	s_branch .LBB6_13371
.LBB6_13370:                            ;   in Loop: Header=BB6_13368 Depth=2
	s_trap 2
	ds_load_b64 v[2:3], v0
	s_and_not1_b32 s40, s40, exec_lo
	s_mov_b32 s29, 0
	s_wait_storecnt_dscnt 0x0
	flat_load_b32 v1, v[2:3] scope:SCOPE_SYS
	s_wait_loadcnt_dscnt 0x0
	global_inv scope:SCOPE_SYS
	v_cmp_eq_u32_e32 vcc_lo, 0, v1
	s_and_b32 s41, vcc_lo, exec_lo
	s_delay_alu instid0(SALU_CYCLE_1)
	s_or_b32 s40, s40, s41
	s_mov_b32 s42, -1
	s_or_b32 s28, s28, exec_lo
	s_wait_xcnt 0x0
	s_and_saveexec_b32 s41, s40
	s_cbranch_execz .LBB6_13367
.LBB6_13371:                            ;   in Loop: Header=BB6_13368 Depth=2
	s_sleep 1
	s_trap 2
	ds_load_b64 v[2:3], v0
	s_wait_dscnt 0x0
	scratch_load_b64 v[6:7], off, s33 offset:204 ; 8-byte Folded Reload
	s_and_not1_b32 s28, s28, exec_lo
	s_wait_loadcnt 0x0
	v_cmp_ge_u64_e32 vcc_lo, v[2:3], v[6:7]
	s_or_not1_b32 s42, vcc_lo, exec_lo
	s_branch .LBB6_13367
.LBB6_13372:                            ;   in Loop: Header=BB6_6725 Depth=1
	s_or_b32 exec_lo, exec_lo, s26
	s_and_saveexec_b32 s26, s27
	s_delay_alu instid0(SALU_CYCLE_1)
	s_xor_b32 s26, exec_lo, s26
	s_cbranch_execz .LBB6_13374
; %bb.13373:                            ;   in Loop: Header=BB6_6725 Depth=1
	v_mov_b32_e32 v1, 1
	ds_store_b32 v0, v1
	s_trap 2
.LBB6_13374:                            ;   in Loop: Header=BB6_6725 Depth=1
	s_or_b32 exec_lo, exec_lo, s25
	;;#ASMSTART
	s_wakeup
	;;#ASMEND
.LBB6_13375:                            ;   in Loop: Header=BB6_6725 Depth=1
	s_or_b32 exec_lo, exec_lo, s24
.LBB6_13376:                            ;   in Loop: Header=BB6_6725 Depth=1
	s_and_not1_saveexec_b32 s11, s11
	s_cbranch_execz .LBB6_13378
; %bb.13377:                            ;   in Loop: Header=BB6_6725 Depth=1
	global_wb scope:SCOPE_DEV
	s_wait_storecnt 0x0
	s_wait_loadcnt_dscnt 0x0
	global_inv scope:SCOPE_DEV
	s_barrier_signal -1
	s_barrier_wait -1
.LBB6_13378:                            ;   in Loop: Header=BB6_6725 Depth=1
	s_or_b32 exec_lo, exec_lo, s11
.LBB6_13379:                            ;   in Loop: Header=BB6_6725 Depth=1
	s_delay_alu instid0(SALU_CYCLE_1) | instskip(SKIP_3) | instid1(VALU_DEP_1)
	s_or_b32 exec_lo, exec_lo, s7
	s_trap 2
	ds_load_b32 v1, v0
	v_sub_nc_u32_e32 v0, v84, v0
	v_min_i32_e32 v0, v85, v0
	s_delay_alu instid0(VALU_DEP_1) | instskip(SKIP_4) | instid1(VALU_DEP_1)
	v_cmp_lt_i32_e32 vcc_lo, 0, v0
	s_wait_dscnt 0x0
	v_readfirstlane_b32 s7, v1
	v_and_b32_e32 v1, 16, v4
	s_cmp_eq_u32 s7, 0
	v_cmp_ne_u32_e64 s7, 0, v1
	s_cselect_b32 s11, -1, 0
	s_delay_alu instid0(SALU_CYCLE_1) | instskip(NEXT) | instid1(SALU_CYCLE_1)
	s_and_b32 s11, vcc_lo, s11
	s_and_b32 s11, s7, s11
	s_delay_alu instid0(SALU_CYCLE_1)
	s_and_saveexec_b32 s7, s11
	s_cbranch_execz .LBB6_13381
; %bb.13380:                            ;   in Loop: Header=BB6_6725 Depth=1
	global_wb scope:SCOPE_SYS
	s_wait_loadcnt 0x0
	s_wait_storecnt 0x0
	global_inv scope:SCOPE_SYS
.LBB6_13381:                            ;   in Loop: Header=BB6_6725 Depth=1
	s_or_b32 exec_lo, exec_lo, s7
	v_and_b32_e32 v0, 32, v4
	s_mov_b32 s7, exec_lo
	s_delay_alu instid0(VALU_DEP_1)
	v_cmpx_ne_u32_e32 0, v0
	s_cbranch_execnz .LBB6_13382
; %bb.17983:                            ;   in Loop: Header=BB6_6725 Depth=1
	s_add_pc_i64 .LBB6_6723-.Lpost_addpc32
.Lpost_addpc32:
.LBB6_13382:                            ;   in Loop: Header=BB6_6725 Depth=1
	scratch_load_b128 v[0:3], off, s33 offset:188 th:TH_LOAD_LU ; 16-byte Folded Reload
	s_wait_loadcnt 0x0
	v_add_nc_u64_e32 v[2:3], 1, v[2:3]
	scratch_store_b128 off, v[0:3], s33 offset:188 ; 16-byte Folded Spill
	global_wb scope:SCOPE_SYS
	s_wait_storecnt 0x0
	s_wait_xcnt 0x0
	flat_store_b64 v[32:33], v[2:3] scope:SCOPE_SYS
; %bb.17939:                            ;   in Loop: Header=BB6_6725 Depth=1
	s_add_pc_i64 .LBB6_6723-.Lpost_addpc10
.Lpost_addpc10:
.LBB6_13383:
	s_or_b32 exec_lo, exec_lo, s21
	s_clause 0x4
	scratch_load_b32 v24, off, s33 offset:420
	scratch_load_b32 v31, off, s33 offset:424
	scratch_load_b128 v[34:37], off, s33 offset:188
	scratch_load_b64 v[28:29], off, s33 offset:428
	scratch_load_b32 v7, off, s33 offset:436
.LBB6_13384:
	s_wait_xcnt 0x0
	s_or_b32 exec_lo, exec_lo, s17
.LBB6_13385:
	s_delay_alu instid0(SALU_CYCLE_1)
	s_or_b32 exec_lo, exec_lo, s16
                                        ; implicit-def: $vgpr0_vgpr1
                                        ; kill: killed $vgpr0_vgpr1
                                        ; implicit-def: $vgpr96_vgpr97
                                        ; implicit-def: $vgpr26_vgpr27
                                        ; implicit-def: $vgpr48_vgpr49
                                        ; implicit-def: $vgpr32_vgpr33
                                        ; implicit-def: $vgpr15
                                        ; implicit-def: $vgpr8_vgpr9
                                        ; implicit-def: $vgpr0
	scratch_store_b64 off, v[0:1], s33 offset:388 ; 8-byte Folded Spill
                                        ; implicit-def: $vgpr0_vgpr1
                                        ; kill: killed $vgpr0_vgpr1
                                        ; implicit-def: $vgpr0
.LBB6_13386:
	s_wait_xcnt 0x0
	s_and_not1_saveexec_b32 s14, s20
	s_cbranch_execnz .LBB6_13387
; %bb.17985:
	s_add_pc_i64 .LBB6_17890-.Lpost_addpc33
.Lpost_addpc33:
.LBB6_13387:
	v_mov_b64_e32 v[2:3], 0
	s_mov_b32 s15, exec_lo
	scratch_store_b64 off, v[2:3], s33 offset:204 ; 8-byte Folded Spill
	s_wait_xcnt 0x0
	v_cmpx_ne_u64_e32 0, v[26:27]
	s_cbranch_execnz .LBB6_13388
; %bb.17987:
	s_add_pc_i64 .LBB6_17889-.Lpost_addpc34
.Lpost_addpc34:
.LBB6_13388:
	s_wait_loadcnt 0x1
	s_clause 0x2
	scratch_store_b64 off, v[28:29], s33 offset:428
	scratch_store_b128 off, v[34:37], s33 offset:188
	scratch_load_b64 v[2:3], off, s33 offset:388
	v_mov_b32_e32 v55, 0
	v_cmp_ge_u32_e64 s1, v0, v24
	s_ashr_i32 s2, s19, 31
	v_cmp_eq_u32_e32 vcc_lo, 32, v24
	s_lshr_b32 s2, s2, 24
	v_mov_b64_e32 v[84:85], 0
	s_add_co_i32 s19, s19, s2
	v_cmp_ne_u32_e64 s2, 32, v24
	s_wait_loadcnt 0x1
	v_cmp_ne_u32_e64 s3, v24, v7
	v_and_b32_e32 v86, 0x1fe0, v24
	s_mov_b64 s[12:13], 0xffffffffffffff
	s_ashr_i32 s17, s19, 8
	s_mov_b32 s16, 0
	s_xor_b32 s19, vcc_lo, -1
	v_and_b32_e32 v1, 31, v31
	scratch_store_b32 off, v0, s33 offset:408 ; 4-byte Folded Spill
	v_mov_b32_e32 v81, 1
	v_cmp_eq_u32_e64 s4, 0, v1
	s_wait_loadcnt 0x0
	v_ashrrev_i32_e32 v3, 31, v2
	scratch_store_b64 off, v[2:3], s33 offset:388 ; 8-byte Folded Spill
	s_wait_xcnt 0x0
	v_and_b32_e32 v2, 31, v0
	v_dual_mov_b32 v71, v55 :: v_dual_lshrrev_b32 v70, 5, v24
	scratch_store_b32 off, v7, s33 offset:436 ; 4-byte Folded Spill
	v_dual_lshrrev_b32 v80, 5, v0 :: v_dual_lshlrev_b32 v0, 4, v2
	v_cmp_eq_u32_e64 s5, 0, v2
	v_cmp_lt_u32_e64 s6, v2, v15
	scratch_store_b32 off, v2, s33 offset:456 ; 4-byte Folded Spill
	s_wait_xcnt 0x0
	v_dual_mov_b32 v3, v55 :: v_dual_lshlrev_b32 v2, 12, v70
	scratch_store_b32 off, v31, s33 offset:424 ; 4-byte Folded Spill
	v_dual_mov_b32 v83, v55 :: v_dual_lshlrev_b32 v82, 10, v70
	v_mov_b32_e32 v87, v55
	scratch_store_b64 off, v[2:3], s33 offset:372 ; 8-byte Folded Spill
	s_wait_xcnt 0x0
	v_lshlrev_b32_e32 v2, 9, v70
	s_clause 0x1
	scratch_store_b64 off, v[2:3], s33 offset:488
	scratch_load_b64 v[2:3], off, s33 offset:400
	s_wait_loadcnt 0x0
	v_cmp_ne_u64_e64 s7, 0, v[2:3]
	v_lshl_or_b32 v2, v80, 12, v0
	v_mov_b64_e32 v[0:1], 0
	v_mov_b32_e32 v3, v55
	s_clause 0x2
	scratch_store_b64 off, v[2:3], s33 offset:332
	scratch_store_b64 off, v[0:1], s33 offset:204
	scratch_store_b32 off, v24, s33 offset:420
	s_trap 2
	s_clause 0x6
	scratch_store_b64 off, v[96:97], s33 offset:412
	scratch_store_b128 off, v[26:29], s33 offset:340
	scratch_store_b64 off, v[8:9], s33 offset:356
	scratch_store_b64 off, v[70:71], s33 offset:364
	scratch_store_b32 off, v80, s33 offset:460
	scratch_store_b64 off, v[82:83], s33 offset:464
	scratch_store_b64 off, v[86:87], s33 offset:472
	s_branch .LBB6_13392
.LBB6_13389:                            ;   in Loop: Header=BB6_13392 Depth=1
	s_wait_xcnt 0x0
	s_or_b32 exec_lo, exec_lo, s20
	scratch_load_b128 v[0:3], off, s33 offset:188 th:TH_LOAD_LU ; 16-byte Folded Reload
	s_wait_loadcnt 0x0
	v_add_nc_u64_e32 v[2:3], 1, v[2:3]
	scratch_store_b128 off, v[0:3], s33 offset:188 ; 16-byte Folded Spill
	global_wb scope:SCOPE_SYS
	s_wait_xcnt 0x0
	s_wait_storecnt_dscnt 0x0
	flat_store_b64 v[32:33], v[2:3] scope:SCOPE_SYS
.LBB6_13390:                            ;   in Loop: Header=BB6_13392 Depth=1
	s_wait_xcnt 0x0
	s_or_b32 exec_lo, exec_lo, s10
.LBB6_13391:                            ;   in Loop: Header=BB6_13392 Depth=1
	s_delay_alu instid0(SALU_CYCLE_1)
	s_or_b32 exec_lo, exec_lo, s11
	s_clause 0x1
	scratch_load_b64 v[8:9], off, s33 offset:356
	scratch_load_b128 v[26:29], off, s33 offset:340
	s_wait_loadcnt 0x1
	v_add_nc_u64_e32 v[84:85], v[84:85], v[8:9]
	s_wait_loadcnt 0x0
	s_delay_alu instid0(VALU_DEP_1)
	v_cmp_ge_u64_e32 vcc_lo, v[84:85], v[26:27]
	s_or_b32 s16, vcc_lo, s16
	s_wait_xcnt 0x0
	s_and_not1_b32 exec_lo, exec_lo, s16
	s_cbranch_execnz .LBB6_13392
; %bb.17989:
	s_add_pc_i64 .LBB6_17888-.Lpost_addpc35
.Lpost_addpc35:
.LBB6_13392:                            ; =>This Loop Header: Depth=1
                                        ;     Child Loop BB6_13400 Depth 2
                                        ;     Child Loop BB6_13425 Depth 2
	;; [unrolled: 1-line block ×10, first 2 shown]
	s_wait_xcnt 0x8
	v_sub_nc_u64_e32 v[0:1], v[26:27], v[84:85]
	s_delay_alu instid0(VALU_DEP_1) | instskip(NEXT) | instid1(VALU_DEP_1)
	v_min_u64 v[102:103], v[8:9], v[0:1]
	v_add_nc_u32_e32 v0, 15, v102
	s_delay_alu instid0(VALU_DEP_2) | instskip(NEXT) | instid1(VALU_DEP_2)
	v_cmp_eq_u64_e32 vcc_lo, 0, v[102:103]
	v_and_b32_e32 v0, 0x7ffffff0, v0
	s_or_b32 s20, s1, vcc_lo
	s_delay_alu instid0(SALU_CYCLE_1) | instskip(NEXT) | instid1(VALU_DEP_1)
	s_xor_b32 s10, s20, -1
	v_dual_mov_b32 v0, v55 :: v_dual_max_i32 v112, s17, v0
	s_wait_xcnt 0x0
	s_and_saveexec_b32 s21, s10
	s_cbranch_execnz .LBB6_13393
; %bb.17991:                            ;   in Loop: Header=BB6_13392 Depth=1
	s_add_pc_i64 .LBB6_17841-.Lpost_addpc36
.Lpost_addpc36:
.LBB6_13393:                            ;   in Loop: Header=BB6_13392 Depth=1
	s_and_saveexec_b32 s10, s0
	s_cbranch_execz .LBB6_13395
; %bb.13394:                            ;   in Loop: Header=BB6_13392 Depth=1
	s_trap 2
	ds_load_b64 v[0:1], v0
	v_mov_b64_e32 v[2:3], 0
	s_wait_dscnt 0x0
	v_add_nc_u64_e32 v[0:1], v[0:1], v[96:97]
	s_delay_alu instid0(VALU_DEP_1)
	v_add_nc_u64_e32 v[0:1], v[0:1], v[84:85]
	ds_store_b64 v0, v[0:1]
	ds_store_b64 v0, v[2:3]
.LBB6_13395:                            ;   in Loop: Header=BB6_13392 Depth=1
	s_or_b32 exec_lo, exec_lo, s10
	v_and_b32_e32 v0, 8, v4
	v_min_u32_e32 v112, v112, v102
	s_mov_b32 s11, exec_lo
	s_delay_alu instid0(VALU_DEP_2)
	v_cmpx_ne_u32_e32 0, v0
	s_cbranch_execz .LBB6_13417
; %bb.13396:                            ;   in Loop: Header=BB6_13392 Depth=1
	scratch_load_b128 v[6:9], off, s33 offset:188 ; 16-byte Folded Reload
	v_add_nc_u64_e32 v[0:1], 8, v[48:49]
	s_mov_b32 s22, exec_lo
	s_wait_loadcnt 0x0
	v_add_nc_u64_e32 v[10:11], 1, v[8:9]
	s_wait_xcnt 0x0
	s_delay_alu instid0(VALU_DEP_1)
	v_cmpx_lt_u64_e64 v[0:1], v[10:11]
	s_cbranch_execz .LBB6_13408
; %bb.13397:                            ;   in Loop: Header=BB6_13392 Depth=1
	v_and_b32_e32 v0, 64, v4
	s_mov_b32 s23, 0
	s_mov_b32 s27, 0
                                        ; implicit-def: $sgpr24
                                        ; implicit-def: $sgpr25
                                        ; implicit-def: $sgpr26
	s_delay_alu instid0(VALU_DEP_1)
	v_cmp_eq_u32_e32 vcc_lo, 0, v0
	s_branch .LBB6_13400
.LBB6_13398:                            ;   in Loop: Header=BB6_13400 Depth=2
	s_or_b32 exec_lo, exec_lo, s42
	s_delay_alu instid0(SALU_CYCLE_1)
	s_and_not1_b32 s10, s26, exec_lo
	s_and_b32 s26, s40, exec_lo
	s_and_not1_b32 s25, s25, exec_lo
	s_and_b32 s29, s29, exec_lo
	s_or_b32 s26, s10, s26
	s_or_b32 s25, s25, s29
.LBB6_13399:                            ;   in Loop: Header=BB6_13400 Depth=2
	s_or_b32 exec_lo, exec_lo, s28
	s_delay_alu instid0(SALU_CYCLE_1) | instskip(NEXT) | instid1(SALU_CYCLE_1)
	s_and_b32 s10, exec_lo, s25
	s_or_b32 s23, s10, s23
	s_and_not1_b32 s10, s24, exec_lo
	s_and_b32 s24, s26, exec_lo
	s_delay_alu instid0(SALU_CYCLE_1)
	s_or_b32 s24, s10, s24
	s_and_not1_b32 exec_lo, exec_lo, s23
	s_cbranch_execz .LBB6_13405
.LBB6_13400:                            ;   Parent Loop BB6_13392 Depth=1
                                        ; =>  This Inner Loop Header: Depth=2
	s_sleep 1
	s_wait_loadcnt_dscnt 0x0
	flat_load_b64 v[48:49], v[32:33] scope:SCOPE_SYS
	s_or_b32 s26, s26, exec_lo
	s_or_b32 s25, s25, exec_lo
                                        ; implicit-def: $vgpr0
	s_wait_xcnt 0x0
	s_and_saveexec_b32 s28, vcc_lo
	s_cbranch_execz .LBB6_13399
; %bb.13401:                            ;   in Loop: Header=BB6_13400 Depth=2
	s_cmp_lt_i32 s27, 0x270f
	s_mov_b32 s29, -1
	s_cselect_b32 s41, -1, 0
	s_cmp_gt_i32 s27, 0x270e
	s_cbranch_scc0 .LBB6_13403
; %bb.13402:                            ;   in Loop: Header=BB6_13400 Depth=2
	s_trap 2
	ds_load_b64 v[0:1], v0
	s_and_not1_b32 s27, s41, exec_lo
	s_mov_b32 s40, 0
	s_wait_storecnt 0x0
	s_wait_loadcnt_dscnt 0x0
	flat_load_b32 v0, v[0:1] scope:SCOPE_SYS
	s_wait_loadcnt_dscnt 0x0
	global_inv scope:SCOPE_SYS
	v_cmp_eq_u32_e64 s10, 0, v0
	s_and_b32 s10, s10, exec_lo
	s_delay_alu instid0(SALU_CYCLE_1)
	s_or_b32 s41, s27, s10
	s_mov_b32 s27, 0
	s_wait_xcnt 0x0
	s_and_saveexec_b32 s42, s41
	s_cbranch_execz .LBB6_13398
	s_branch .LBB6_13404
.LBB6_13403:                            ;   in Loop: Header=BB6_13400 Depth=2
	s_add_co_i32 s27, s27, 1
	s_mov_b32 s40, -1
                                        ; implicit-def: $vgpr0
	s_and_saveexec_b32 s42, s41
	s_cbranch_execz .LBB6_13398
.LBB6_13404:                            ;   in Loop: Header=BB6_13400 Depth=2
	s_wait_loadcnt_dscnt 0x0
	v_add_nc_u64_e32 v[2:3], 8, v[48:49]
	s_or_b32 s40, s40, exec_lo
	s_delay_alu instid0(VALU_DEP_1)
	v_cmp_ge_u64_e64 s10, v[2:3], v[10:11]
	s_or_not1_b32 s29, s10, exec_lo
	s_branch .LBB6_13398
.LBB6_13405:                            ;   in Loop: Header=BB6_13392 Depth=1
	s_or_b32 exec_lo, exec_lo, s23
	s_xor_b32 s10, s24, -1
	s_delay_alu instid0(SALU_CYCLE_1) | instskip(NEXT) | instid1(SALU_CYCLE_1)
	s_and_saveexec_b32 s23, s10
	s_xor_b32 s10, exec_lo, s23
	s_cbranch_execz .LBB6_13407
; %bb.13406:                            ;   in Loop: Header=BB6_13392 Depth=1
	v_or_b32_e32 v4, 64, v4
	s_wait_storecnt 0x0
	s_wait_loadcnt_dscnt 0x0
	ds_store_b32 v0, v0
	s_trap 2
.LBB6_13407:                            ;   in Loop: Header=BB6_13392 Depth=1
	s_or_b32 exec_lo, exec_lo, s10
.LBB6_13408:                            ;   in Loop: Header=BB6_13392 Depth=1
	s_delay_alu instid0(SALU_CYCLE_1) | instskip(SKIP_2) | instid1(VALU_DEP_1)
	s_or_b32 exec_lo, exec_lo, s22
	v_and_b32_e32 v0, 0x100, v4
	s_mov_b32 s10, -1
                                        ; implicit-def: $vgpr8_vgpr9
	v_cmp_ne_u32_e32 vcc_lo, 0, v0
	scratch_load_b128 v[0:3], off, s33 offset:188 ; 16-byte Folded Reload
	;;#ASMSTART
	s_wakeup
	;;#ASMEND
	s_wait_loadcnt 0x0
	v_and_b32_e32 v54, 7, v2
	s_wait_xcnt 0x0
	s_and_saveexec_b32 s22, vcc_lo
	s_cbranch_execz .LBB6_13412
; %bb.13409:                            ;   in Loop: Header=BB6_13392 Depth=1
	scratch_load_b128 v[0:3], off, s33 offset:188 ; 16-byte Folded Reload
	v_mov_b32_e32 v113, v55
	s_mov_b32 s23, exec_lo
                                        ; implicit-def: $vgpr8_vgpr9
	s_wait_loadcnt 0x0
	v_mad_nc_u64_u32 v[12:13], v54, 24, v[0:1]
	s_clause 0x1
	flat_load_b32 v0, v[12:13]
	flat_store_b64 v[12:13], v[112:113] offset:8
	s_wait_loadcnt_dscnt 0x1
	v_cmp_ne_u32_e32 vcc_lo, 1, v0
	s_wait_xcnt 0x0
	v_cmpx_eq_u32_e32 1, v0
	s_cbranch_execz .LBB6_13411
; %bb.13410:                            ;   in Loop: Header=BB6_13392 Depth=1
	flat_load_b32 v8, v[12:13] offset:4 scope:SCOPE_SYS
	s_wait_loadcnt_dscnt 0x0
	v_ashrrev_i32_e32 v9, 31, v8
.LBB6_13411:                            ;   in Loop: Header=BB6_13392 Depth=1
	s_wait_xcnt 0x0
	s_or_b32 exec_lo, exec_lo, s23
	s_delay_alu instid0(SALU_CYCLE_1)
	s_or_not1_b32 s10, vcc_lo, exec_lo
.LBB6_13412:                            ;   in Loop: Header=BB6_13392 Depth=1
	s_or_b32 exec_lo, exec_lo, s22
	s_and_saveexec_b32 s22, s10
	s_cbranch_execz .LBB6_13414
; %bb.13413:                            ;   in Loop: Header=BB6_13392 Depth=1
	scratch_load_b64 v[0:1], off, s33 offset:388 ; 8-byte Folded Reload
	s_wait_loadcnt 0x0
	v_mul_u64_e32 v[8:9], v[54:55], v[0:1]
.LBB6_13414:                            ;   in Loop: Header=BB6_13392 Depth=1
	s_wait_xcnt 0x0
	s_or_b32 exec_lo, exec_lo, s22
	scratch_load_b64 v[0:1], off, s33 offset:380 ; 8-byte Folded Reload
	v_and_b32_e32 v2, 0x2000, v4
	s_mov_b32 s10, exec_lo
	s_wait_loadcnt 0x0
	v_add_nc_u64_e32 v[0:1], v[0:1], v[8:9]
	ds_store_b64 v0, v[0:1] offset:784
	s_wait_xcnt 0x0
	v_cmpx_ne_u32_e32 0, v2
	s_cbranch_execz .LBB6_13416
; %bb.13415:                            ;   in Loop: Header=BB6_13392 Depth=1
	ds_load_b64 v[0:1], v0 offset:872
	s_wait_dscnt 0x0
	v_add_nc_u64_e32 v[0:1], 1, v[0:1]
	ds_store_b64 v0, v[0:1] offset:872
.LBB6_13416:                            ;   in Loop: Header=BB6_13392 Depth=1
	s_or_b32 exec_lo, exec_lo, s10
	scratch_load_b128 v[0:3], off, s33 offset:188 ; 16-byte Folded Reload
	s_wait_loadcnt 0x0
	v_mov_b64_e32 v[2:3], v[10:11]
	scratch_store_b128 off, v[0:3], s33 offset:188 ; 16-byte Folded Spill
.LBB6_13417:                            ;   in Loop: Header=BB6_13392 Depth=1
	s_wait_xcnt 0x0
	s_or_b32 exec_lo, exec_lo, s11
	s_and_saveexec_b32 s10, s2
	s_cbranch_execz .LBB6_13436
; %bb.13418:                            ;   in Loop: Header=BB6_13392 Depth=1
	s_and_saveexec_b32 s11, s3
	s_delay_alu instid0(SALU_CYCLE_1)
	s_xor_b32 s11, exec_lo, s11
	s_cbranch_execz .LBB6_13433
; %bb.13419:                            ;   in Loop: Header=BB6_13392 Depth=1
	s_and_saveexec_b32 s22, s4
	s_cbranch_execz .LBB6_13432
; %bb.13420:                            ;   in Loop: Header=BB6_13392 Depth=1
	s_mov_b32 s24, exec_lo
	s_mov_b32 s23, exec_lo
	v_mbcnt_lo_u32_b32 v0, s24, 0
	global_wb scope:SCOPE_DEV
	s_wait_storecnt_dscnt 0x0
	global_inv scope:SCOPE_DEV
	v_cmpx_eq_u32_e32 0, v0
	s_cbranch_execz .LBB6_13422
; %bb.13421:                            ;   in Loop: Header=BB6_13392 Depth=1
	s_bcnt1_i32_b32 s24, s24
	s_delay_alu instid0(SALU_CYCLE_1)
	v_mov_b32_e32 v54, s24
	s_wait_loadcnt 0x0
	ds_add_u64 v0, v[54:55]
	s_trap 2
.LBB6_13422:                            ;   in Loop: Header=BB6_13392 Depth=1
	s_or_b32 exec_lo, exec_lo, s23
	s_trap 2
	ds_load_b64 v[0:1], v0
	s_wait_dscnt 0x0
	scratch_load_b64 v[2:3], off, s33 offset:204 th:TH_LOAD_LU ; 8-byte Folded Reload
	s_mov_b32 s23, exec_lo
	s_wait_loadcnt 0x0
	v_add_nc_u64_e32 v[2:3], v[2:3], v[70:71]
	scratch_store_b64 off, v[2:3], s33 offset:204 ; 8-byte Folded Spill
	s_wait_xcnt 0x0
	v_cmpx_lt_u64_e64 v[0:1], v[2:3]
	s_cbranch_execz .LBB6_13431
; %bb.13423:                            ;   in Loop: Header=BB6_13392 Depth=1
	s_mov_b32 s24, 0
	s_mov_b32 s27, 0
                                        ; implicit-def: $sgpr25
                                        ; implicit-def: $sgpr26
	s_branch .LBB6_13425
.LBB6_13424:                            ;   in Loop: Header=BB6_13425 Depth=2
	s_wait_xcnt 0x0
	s_or_b32 exec_lo, exec_lo, s29
	s_delay_alu instid0(SALU_CYCLE_1) | instskip(NEXT) | instid1(SALU_CYCLE_1)
	s_and_b32 s28, exec_lo, s40
	s_or_b32 s24, s28, s24
	s_and_not1_b32 s25, s25, exec_lo
	s_and_b32 s28, s26, exec_lo
	s_delay_alu instid0(SALU_CYCLE_1)
	s_or_b32 s25, s25, s28
	s_and_not1_b32 exec_lo, exec_lo, s24
	s_cbranch_execz .LBB6_13429
.LBB6_13425:                            ;   Parent Loop BB6_13392 Depth=1
                                        ; =>  This Inner Loop Header: Depth=2
	s_add_co_i32 s27, s27, 1
	s_delay_alu instid0(SALU_CYCLE_1) | instskip(SKIP_1) | instid1(SALU_CYCLE_1)
	s_cmp_lg_u32 s27, 0x2710
	s_cselect_b32 s28, -1, 0
	s_and_b32 vcc_lo, exec_lo, s28
	s_cbranch_vccz .LBB6_13427
; %bb.13426:                            ;   in Loop: Header=BB6_13425 Depth=2
	s_mov_b32 s40, -1
	s_or_b32 s26, s26, exec_lo
	s_and_saveexec_b32 s29, s28
	s_cbranch_execz .LBB6_13424
	s_branch .LBB6_13428
.LBB6_13427:                            ;   in Loop: Header=BB6_13425 Depth=2
	s_trap 2
	ds_load_b64 v[0:1], v0
	s_and_not1_b32 s28, s28, exec_lo
	s_mov_b32 s27, 0
	s_wait_storecnt_dscnt 0x0
	flat_load_b32 v0, v[0:1] scope:SCOPE_SYS
	s_wait_loadcnt_dscnt 0x0
	global_inv scope:SCOPE_SYS
	v_cmp_eq_u32_e32 vcc_lo, 0, v0
	s_and_b32 s29, vcc_lo, exec_lo
	s_delay_alu instid0(SALU_CYCLE_1)
	s_or_b32 s28, s28, s29
	s_mov_b32 s40, -1
	s_or_b32 s26, s26, exec_lo
	s_wait_xcnt 0x0
	s_and_saveexec_b32 s29, s28
	s_cbranch_execz .LBB6_13424
.LBB6_13428:                            ;   in Loop: Header=BB6_13425 Depth=2
	s_sleep 1
	s_trap 2
	ds_load_b64 v[0:1], v0
	s_wait_dscnt 0x0
	scratch_load_b64 v[2:3], off, s33 offset:204 ; 8-byte Folded Reload
	s_and_not1_b32 s26, s26, exec_lo
	s_wait_loadcnt 0x0
	v_cmp_ge_u64_e32 vcc_lo, v[0:1], v[2:3]
	s_or_not1_b32 s40, vcc_lo, exec_lo
	s_branch .LBB6_13424
.LBB6_13429:                            ;   in Loop: Header=BB6_13392 Depth=1
	s_or_b32 exec_lo, exec_lo, s24
	s_and_saveexec_b32 s24, s25
	s_delay_alu instid0(SALU_CYCLE_1)
	s_xor_b32 s24, exec_lo, s24
	s_cbranch_execz .LBB6_13431
; %bb.13430:                            ;   in Loop: Header=BB6_13392 Depth=1
	ds_store_b32 v0, v81
	s_trap 2
.LBB6_13431:                            ;   in Loop: Header=BB6_13392 Depth=1
	s_or_b32 exec_lo, exec_lo, s23
	;;#ASMSTART
	s_wakeup
	;;#ASMEND
.LBB6_13432:                            ;   in Loop: Header=BB6_13392 Depth=1
	s_or_b32 exec_lo, exec_lo, s22
.LBB6_13433:                            ;   in Loop: Header=BB6_13392 Depth=1
	s_and_not1_saveexec_b32 s11, s11
	s_cbranch_execz .LBB6_13435
; %bb.13434:                            ;   in Loop: Header=BB6_13392 Depth=1
	global_wb scope:SCOPE_DEV
	s_wait_storecnt 0x0
	s_wait_loadcnt_dscnt 0x0
	global_inv scope:SCOPE_DEV
	s_barrier_signal -1
	s_barrier_wait -1
.LBB6_13435:                            ;   in Loop: Header=BB6_13392 Depth=1
	s_or_b32 exec_lo, exec_lo, s11
.LBB6_13436:                            ;   in Loop: Header=BB6_13392 Depth=1
	s_delay_alu instid0(SALU_CYCLE_1) | instskip(SKIP_3) | instid1(VALU_DEP_1)
	s_or_b32 exec_lo, exec_lo, s10
	s_trap 2
	ds_load_b32 v0, v0
	v_and_b32_e32 v1, 0x4000, v4
	v_cmp_ne_u32_e32 vcc_lo, 0, v1
	s_and_b32 s11, s19, vcc_lo
	s_delay_alu instid0(SALU_CYCLE_1)
	s_and_saveexec_b32 s10, s11
	s_cbranch_execz .LBB6_13455
; %bb.13437:                            ;   in Loop: Header=BB6_13392 Depth=1
	s_and_saveexec_b32 s11, s3
	s_delay_alu instid0(SALU_CYCLE_1)
	s_xor_b32 s11, exec_lo, s11
	s_cbranch_execz .LBB6_13452
; %bb.13438:                            ;   in Loop: Header=BB6_13392 Depth=1
	s_and_saveexec_b32 s22, s4
	s_cbranch_execz .LBB6_13451
; %bb.13439:                            ;   in Loop: Header=BB6_13392 Depth=1
	s_mov_b32 s24, exec_lo
	s_mov_b32 s23, exec_lo
	v_mbcnt_lo_u32_b32 v1, s24, 0
	global_wb scope:SCOPE_DEV
	s_wait_storecnt 0x0
	s_wait_loadcnt_dscnt 0x0
	global_inv scope:SCOPE_DEV
	v_cmpx_eq_u32_e32 0, v1
	s_cbranch_execz .LBB6_13441
; %bb.13440:                            ;   in Loop: Header=BB6_13392 Depth=1
	s_bcnt1_i32_b32 s24, s24
	s_delay_alu instid0(SALU_CYCLE_1)
	v_mov_b32_e32 v54, s24
	s_wait_loadcnt 0x0
	ds_add_u64 v0, v[54:55]
	s_trap 2
.LBB6_13441:                            ;   in Loop: Header=BB6_13392 Depth=1
	s_or_b32 exec_lo, exec_lo, s23
	s_trap 2
	ds_load_b64 v[2:3], v0
	s_wait_dscnt 0x0
	scratch_load_b64 v[6:7], off, s33 offset:204 th:TH_LOAD_LU ; 8-byte Folded Reload
	s_mov_b32 s23, exec_lo
	s_wait_loadcnt 0x0
	v_add_nc_u64_e32 v[6:7], v[6:7], v[70:71]
	scratch_store_b64 off, v[6:7], s33 offset:204 ; 8-byte Folded Spill
	s_wait_xcnt 0x0
	v_cmpx_lt_u64_e64 v[2:3], v[6:7]
	s_cbranch_execz .LBB6_13450
; %bb.13442:                            ;   in Loop: Header=BB6_13392 Depth=1
	s_mov_b32 s24, 0
	s_mov_b32 s27, 0
                                        ; implicit-def: $sgpr25
                                        ; implicit-def: $sgpr26
	s_branch .LBB6_13444
.LBB6_13443:                            ;   in Loop: Header=BB6_13444 Depth=2
	s_wait_xcnt 0x0
	s_or_b32 exec_lo, exec_lo, s29
	s_delay_alu instid0(SALU_CYCLE_1) | instskip(NEXT) | instid1(SALU_CYCLE_1)
	s_and_b32 s28, exec_lo, s40
	s_or_b32 s24, s28, s24
	s_and_not1_b32 s25, s25, exec_lo
	s_and_b32 s28, s26, exec_lo
	s_delay_alu instid0(SALU_CYCLE_1)
	s_or_b32 s25, s25, s28
	s_and_not1_b32 exec_lo, exec_lo, s24
	s_cbranch_execz .LBB6_13448
.LBB6_13444:                            ;   Parent Loop BB6_13392 Depth=1
                                        ; =>  This Inner Loop Header: Depth=2
	s_add_co_i32 s27, s27, 1
	s_delay_alu instid0(SALU_CYCLE_1) | instskip(SKIP_1) | instid1(SALU_CYCLE_1)
	s_cmp_lg_u32 s27, 0x2710
	s_cselect_b32 s28, -1, 0
	s_and_b32 vcc_lo, exec_lo, s28
	s_cbranch_vccz .LBB6_13446
; %bb.13445:                            ;   in Loop: Header=BB6_13444 Depth=2
	s_mov_b32 s40, -1
	s_or_b32 s26, s26, exec_lo
	s_and_saveexec_b32 s29, s28
	s_cbranch_execz .LBB6_13443
	s_branch .LBB6_13447
.LBB6_13446:                            ;   in Loop: Header=BB6_13444 Depth=2
	s_trap 2
	ds_load_b64 v[2:3], v0
	s_and_not1_b32 s28, s28, exec_lo
	s_mov_b32 s27, 0
	s_wait_storecnt_dscnt 0x0
	flat_load_b32 v1, v[2:3] scope:SCOPE_SYS
	s_wait_loadcnt_dscnt 0x0
	global_inv scope:SCOPE_SYS
	v_cmp_eq_u32_e32 vcc_lo, 0, v1
	s_and_b32 s29, vcc_lo, exec_lo
	s_delay_alu instid0(SALU_CYCLE_1)
	s_or_b32 s28, s28, s29
	s_mov_b32 s40, -1
	s_or_b32 s26, s26, exec_lo
	s_wait_xcnt 0x0
	s_and_saveexec_b32 s29, s28
	s_cbranch_execz .LBB6_13443
.LBB6_13447:                            ;   in Loop: Header=BB6_13444 Depth=2
	s_sleep 1
	s_trap 2
	ds_load_b64 v[2:3], v0
	s_wait_dscnt 0x0
	scratch_load_b64 v[6:7], off, s33 offset:204 ; 8-byte Folded Reload
	s_and_not1_b32 s26, s26, exec_lo
	s_wait_loadcnt 0x0
	v_cmp_ge_u64_e32 vcc_lo, v[2:3], v[6:7]
	s_or_not1_b32 s40, vcc_lo, exec_lo
	s_branch .LBB6_13443
.LBB6_13448:                            ;   in Loop: Header=BB6_13392 Depth=1
	s_or_b32 exec_lo, exec_lo, s24
	s_and_saveexec_b32 s24, s25
	s_delay_alu instid0(SALU_CYCLE_1)
	s_xor_b32 s24, exec_lo, s24
	s_cbranch_execz .LBB6_13450
; %bb.13449:                            ;   in Loop: Header=BB6_13392 Depth=1
	ds_store_b32 v0, v81
	s_trap 2
.LBB6_13450:                            ;   in Loop: Header=BB6_13392 Depth=1
	s_or_b32 exec_lo, exec_lo, s23
	;;#ASMSTART
	s_wakeup
	;;#ASMEND
.LBB6_13451:                            ;   in Loop: Header=BB6_13392 Depth=1
	s_or_b32 exec_lo, exec_lo, s22
.LBB6_13452:                            ;   in Loop: Header=BB6_13392 Depth=1
	s_and_not1_saveexec_b32 s11, s11
	s_cbranch_execz .LBB6_13454
; %bb.13453:                            ;   in Loop: Header=BB6_13392 Depth=1
	global_wb scope:SCOPE_DEV
	s_wait_storecnt 0x0
	s_wait_loadcnt_dscnt 0x0
	global_inv scope:SCOPE_DEV
	s_barrier_signal -1
	s_barrier_wait -1
.LBB6_13454:                            ;   in Loop: Header=BB6_13392 Depth=1
	s_or_b32 exec_lo, exec_lo, s11
.LBB6_13455:                            ;   in Loop: Header=BB6_13392 Depth=1
	s_delay_alu instid0(SALU_CYCLE_1)
	s_or_b32 exec_lo, exec_lo, s10
	s_trap 2
	s_wait_dscnt 0x0
	ds_load_b64 v[98:99], v0
	s_wait_dscnt 0x0
	v_cmp_eq_u64_e32 vcc_lo, 0, v[98:99]
	s_cbranch_vccnz .LBB6_13463
; %bb.13456:                            ;   in Loop: Header=BB6_13392 Depth=1
	s_trap 2
	ds_load_b64 v[100:101], v0
	s_wait_dscnt 0x0
	v_cmp_eq_u64_e32 vcc_lo, 0, v[100:101]
	s_cbranch_vccnz .LBB6_13463
; %bb.13457:                            ;   in Loop: Header=BB6_13392 Depth=1
	s_mov_b32 s10, -1
	s_and_saveexec_b32 s11, s5
	s_cbranch_execz .LBB6_13459
; %bb.13458:                            ;   in Loop: Header=BB6_13392 Depth=1
	ds_load_b32 v1, v0 offset:720
	s_wait_dscnt 0x0
	v_and_b32_e32 v1, 15, v1
	s_delay_alu instid0(VALU_DEP_1)
	v_cmp_eq_u32_e32 vcc_lo, 0, v1
	s_or_not1_b32 s10, vcc_lo, exec_lo
.LBB6_13459:                            ;   in Loop: Header=BB6_13392 Depth=1
	s_or_b32 exec_lo, exec_lo, s11
	s_and_saveexec_b32 s11, s6
	s_cbranch_execz .LBB6_13461
; %bb.13460:                            ;   in Loop: Header=BB6_13392 Depth=1
	ds_load_b32 v1, v0 offset:784
	s_wait_dscnt 0x0
	v_and_b32_e32 v1, 15, v1
	s_delay_alu instid0(VALU_DEP_1) | instskip(SKIP_3) | instid1(SALU_CYCLE_1)
	v_cmp_eq_u32_e32 vcc_lo, 0, v1
	s_and_b32 s22, s10, vcc_lo
	s_and_not1_b32 s10, s10, exec_lo
	s_and_b32 s22, s22, exec_lo
	s_or_b32 s10, s10, s22
.LBB6_13461:                            ;   in Loop: Header=BB6_13392 Depth=1
	s_or_b32 exec_lo, exec_lo, s11
	scratch_load_b32 v2, off, s33 offset:408 ; 4-byte Folded Reload
	v_cmp_eq_u32_e32 vcc_lo, 0, v0
	s_xor_b32 s10, s10, -1
	scratch_store_b32 off, v4, s33 offset:396 ; 4-byte Folded Spill
	v_cndmask_b32_e64 v1, 0, 1, s10
	v_dual_mov_b32 v0, 0 :: v_dual_cndmask_b32 v88, 0, v112, vcc_lo
	s_mov_b32 s10, -1
	s_delay_alu instid0(VALU_DEP_2) | instskip(NEXT) | instid1(VALU_DEP_2)
	v_cmp_ne_u32_e32 vcc_lo, 0, v1
	v_mov_b32_e32 v1, v88
	s_cbranch_vccz .LBB6_13464
; %bb.13462:                            ;   in Loop: Header=BB6_13392 Depth=1
	s_wait_xcnt 0x0
	s_and_saveexec_b32 s22, s10
	s_cbranch_execnz .LBB6_16875
; %bb.17941:                            ;   in Loop: Header=BB6_13392 Depth=1
	s_add_pc_i64 .LBB6_17815-.Lpost_addpc11
.Lpost_addpc11:
.LBB6_13463:                            ;   in Loop: Header=BB6_13392 Depth=1
	s_mov_b32 s10, 0
	s_and_saveexec_b32 s11, s2
	s_cbranch_execz .LBB6_17943
; %bb.17993:                            ;   in Loop: Header=BB6_13392 Depth=1
	s_add_pc_i64 .LBB6_17816-.Lpost_addpc37
.Lpost_addpc37:
.LBB6_17943:                            ;   in Loop: Header=BB6_13392 Depth=1
	s_add_pc_i64 .LBB6_17834-.Lpost_addpc12
.Lpost_addpc12:
.LBB6_13464:                            ;   in Loop: Header=BB6_13392 Depth=1
	v_lshrrev_b32_e32 v0, 12, v88
	s_mov_b32 s11, exec_lo
	s_delay_alu instid0(VALU_DEP_1) | instskip(SKIP_1) | instid1(VALU_DEP_1)
	v_sub_nc_u32_e32 v97, v0, v80
	s_wait_xcnt 0x0
	v_cmpx_lt_i32_e32 0, v97
	s_cbranch_execz .LBB6_16484
; %bb.13465:                            ;   in Loop: Header=BB6_13392 Depth=1
	s_clause 0x1
	scratch_store_b64 off, v[112:113], s33 offset:448
	scratch_store_b64 off, v[102:103], s33 offset:440
	s_trap 2
	ds_load_b64 v[0:1], v0
	s_wait_xcnt 0x0
	v_mov_b64_e32 v[102:103], v[100:101]
	v_mov_b64_e32 v[112:113], v[98:99]
	s_wait_dscnt 0x0
	v_readfirstlane_b32 s24, v0
	v_readfirstlane_b32 s25, v1
	s_and_b32 s10, s24, 7
	s_and_b32 s26, s24, 0x7f
	s_clz_i32_u32 s10, s10
	s_bfe_u32 s22, s24, 0x40003
	s_min_u32 s10, s10, 32
	s_delay_alu instid0(SALU_CYCLE_1)
	s_sub_co_i32 s23, s10, 28
	s_sub_co_i32 s10, 29, s10
	s_cmp_lt_u32 s26, 8
	s_cselect_b32 s10, s10, s22
	s_cselect_b32 s22, s23, 0
	s_lshl_b32 s27, s24, 24
	s_lshl_b64 s[22:23], s[24:25], s22
	s_and_b32 s23, s27, 0x80000000
	s_lshl_b32 s22, s22, 20
	s_lshl_b32 s10, s10, 23
	s_and_b32 s22, s22, 0x700000
	s_add_co_i32 s10, s10, 0x3c000000
	s_or_b32 s22, s22, s23
	s_mov_b32 s23, 0
	s_or_b32 s10, s10, s22
	s_cmp_lg_u32 s26, 0x7f
	s_cselect_b32 s22, s10, 0x7f800001
	s_and_b32 s24, s24, 0xff
	s_delay_alu instid0(SALU_CYCLE_1)
	s_and_b32 s25, 0xffff, s24
	s_branch .LBB6_13467
.LBB6_13466:                            ;   in Loop: Header=BB6_13467 Depth=2
	s_or_b32 exec_lo, exec_lo, s10
	v_lshl_or_b32 v10, v96, 8, v42
	v_lshl_or_b32 v12, v118, 8, v117
	v_dual_lshlrev_b32 v11, 16, v18 :: v_dual_lshlrev_b32 v13, 24, v19
	v_dual_lshlrev_b32 v14, 16, v119 :: v_dual_lshlrev_b32 v15, 24, v41
	v_lshl_or_b32 v6, v6, 8, v81
	v_dual_lshlrev_b32 v7, 16, v7 :: v_dual_lshlrev_b32 v8, 24, v8
	s_delay_alu instid0(VALU_DEP_4) | instskip(NEXT) | instid1(VALU_DEP_4)
	v_or3_b32 v11, v10, v11, v13
	v_or3_b32 v10, v12, v14, v15
	v_lshl_or_b32 v12, v44, 8, v43
	v_dual_lshlrev_b32 v13, 16, v45 :: v_dual_lshlrev_b32 v14, 24, v46
	v_dual_lshlrev_b32 v15, 16, v57 :: v_dual_lshlrev_b32 v16, 16, v39
	;; [unrolled: 1-line block ×3, first 2 shown]
	v_lshlrev_b32_e32 v0, 24, v0
	s_delay_alu instid0(VALU_DEP_4)
	v_or3_b32 v12, v12, v13, v14
	v_lshl_or_b32 v13, v56, 8, v47
	v_lshlrev_b32_e32 v14, 24, v64
	v_lshl_or_b32 v20, v21, 8, v20
	v_dual_lshlrev_b32 v21, 16, v52 :: v_dual_lshlrev_b32 v27, 16, v87
	v_lshl_or_b32 v1, v53, 8, v1
	s_delay_alu instid0(VALU_DEP_4) | instskip(SKIP_4) | instid1(VALU_DEP_4)
	v_or3_b32 v13, v13, v15, v14
	v_lshl_or_b32 v14, v38, 8, v69
	v_or3_b32 v15, v6, v7, v8
	v_lshl_or_b32 v6, v66, 8, v9
	v_dual_lshlrev_b32 v7, 16, v67 :: v_dual_lshlrev_b32 v8, 24, v82
	v_or3_b32 v14, v14, v16, v17
	v_lshl_or_b32 v9, v26, 8, v37
	v_lshlrev_b32_e32 v26, 24, v36
	v_dual_lshlrev_b32 v36, 24, v68 :: v_dual_lshlrev_b32 v5, 16, v5
	v_or3_b32 v16, v6, v7, v8
	v_lshl_or_b32 v8, v30, 8, v83
	v_dual_lshlrev_b32 v30, 24, v50 :: v_dual_lshlrev_b32 v6, 24, v71
	v_lshlrev_b32_e32 v7, 16, v70
	v_or3_b32 v19, v9, v18, v0
	v_or3_b32 v18, v20, v21, v26
	s_delay_alu instid0(VALU_DEP_4)
	v_or3_b32 v20, v1, v27, v30
	v_dual_lshlrev_b32 v9, 24, v35 :: v_dual_lshlrev_b32 v26, 16, v34
	v_lshl_or_b32 v27, v31, 8, v116
	v_or3_b32 v17, v8, v7, v6
	v_dual_lshlrev_b32 v7, 16, v28 :: v_dual_lshlrev_b32 v8, 24, v29
	v_dual_lshlrev_b32 v29, 16, v24 :: v_dual_lshlrev_b32 v30, 24, v25
	s_delay_alu instid0(VALU_DEP_4)
	v_or3_b32 v25, v27, v26, v9
	s_clause 0x1
	scratch_load_b32 v26, off, s33 offset:304 th:TH_LOAD_LU
	scratch_load_b32 v27, off, s33 offset:308 th:TH_LOAD_LU
	v_lshl_or_b32 v0, v2, 8, v126
	v_dual_lshlrev_b32 v1, 16, v3 :: v_dual_lshlrev_b32 v2, 24, v40
	v_lshl_or_b32 v28, v23, 8, v22
	v_lshl_or_b32 v4, v4, 8, v51
	;; [unrolled: 1-line block ×4, first 2 shown]
	v_or3_b32 v23, v0, v1, v2
	v_or3_b32 v1, v28, v29, v30
	v_or3_b32 v21, v4, v5, v36
	v_dual_lshlrev_b32 v4, 16, v124 :: v_dual_lshlrev_b32 v5, 24, v125
	v_or3_b32 v24, v6, v7, v8
	v_lshl_or_b32 v0, v95, 8, v94
	v_dual_lshlrev_b32 v2, 16, v104 :: v_dual_lshlrev_b32 v6, 24, v109
	s_delay_alu instid0(VALU_DEP_4)
	v_or3_b32 v22, v3, v4, v5
	v_lshlrev_b32_e32 v3, 24, v105
	v_lshl_or_b32 v4, v107, 8, v106
	v_dual_lshlrev_b32 v5, 16, v108 :: v_dual_lshlrev_b32 v7, 24, v121
	v_lshlrev_b32_e32 v8, 16, v120
	v_lshl_or_b32 v9, v111, 8, v110
	v_or3_b32 v0, v0, v2, v3
	s_delay_alu instid0(VALU_DEP_4)
	v_or3_b32 v2, v4, v5, v6
	v_lshl_or_b32 v50, v73, 8, v86
	v_dual_lshlrev_b32 v51, 16, v74 :: v_dual_lshlrev_b32 v52, 24, v75
	v_or3_b32 v3, v9, v8, v7
	v_dual_lshlrev_b32 v9, 24, v93 :: v_dual_lshlrev_b32 v53, 24, v54
	v_lshlrev_b32_e32 v54, 16, v78
	v_lshl_or_b32 v64, v77, 8, v76
	scratch_load_b32 v28, off, s33 offset:316 th:TH_LOAD_LU ; 4-byte Folded Reload
	v_dual_lshlrev_b32 v8, 24, v89 :: v_dual_lshlrev_b32 v39, 24, v60
	s_wait_loadcnt 0x1
	v_lshl_or_b32 v26, v27, 8, v26
	s_clause 0x3
	scratch_load_b32 v27, off, s33 offset:312 th:TH_LOAD_LU
	scratch_load_b32 v29, off, s33 offset:288 th:TH_LOAD_LU
	;; [unrolled: 1-line block ×4, first 2 shown]
	s_wait_loadcnt 0x3
	v_dual_lshlrev_b32 v28, 24, v28 :: v_dual_lshlrev_b32 v27, 16, v27
	s_wait_loadcnt 0x1
	v_lshl_or_b32 v29, v30, 8, v29
	s_clause 0x2
	scratch_load_b32 v30, off, s33 offset:296 th:TH_LOAD_LU
	scratch_load_b32 v6, off, s33 offset:320 th:TH_LOAD_LU
	scratch_load_b32 v7, off, s33 offset:324 th:TH_LOAD_LU
	s_wait_loadcnt 0x3
	v_lshlrev_b32_e32 v31, 24, v31
	v_or3_b32 v5, v26, v27, v28
	v_lshlrev_b32_e32 v26, 16, v92
	v_lshl_or_b32 v27, v91, 8, v90
	s_wait_loadcnt 0x2
	v_lshlrev_b32_e32 v30, 16, v30
	s_wait_loadcnt 0x0
	v_lshl_or_b32 v6, v7, 8, v6
	scratch_load_b32 v7, off, s33 offset:328 th:TH_LOAD_LU ; 4-byte Folded Reload
	v_or3_b32 v4, v29, v30, v31
	s_clause 0x2
	scratch_load_b32 v28, off, s33 offset:240 th:TH_LOAD_LU
	scratch_load_b32 v29, off, s33 offset:244 th:TH_LOAD_LU
	;; [unrolled: 1-line block ×3, first 2 shown]
	s_wait_loadcnt 0x3
	v_lshlrev_b32_e32 v7, 16, v7
	s_wait_loadcnt 0x1
	v_lshl_or_b32 v28, v29, 8, v28
	s_clause 0x3
	scratch_load_b32 v29, off, s33 offset:248 th:TH_LOAD_LU
	scratch_load_b32 v31, off, s33 offset:212 th:TH_LOAD_LU
	;; [unrolled: 1-line block ×4, first 2 shown]
	v_or3_b32 v6, v6, v7, v8
	s_wait_loadcnt 0x4
	v_lshlrev_b32_e32 v30, 24, v30
	v_or3_b32 v7, v27, v26, v9
	s_wait_loadcnt 0x3
	v_lshlrev_b32_e32 v29, 16, v29
	s_wait_loadcnt 0x1
	v_lshl_or_b32 v31, v34, 8, v31
	s_clause 0x4
	scratch_load_b32 v34, off, s33 offset:224 th:TH_LOAD_LU
	scratch_load_b32 v36, off, s33 offset:256 th:TH_LOAD_LU
	;; [unrolled: 1-line block ×5, first 2 shown]
	v_or3_b32 v27, v28, v29, v30
	s_wait_loadcnt 0x4
	v_dual_lshlrev_b32 v35, 24, v35 :: v_dual_lshlrev_b32 v34, 16, v34
	s_wait_loadcnt 0x2
	v_lshl_or_b32 v36, v37, 8, v36
	scratch_load_b32 v37, off, s33 offset:264 th:TH_LOAD_LU ; 4-byte Folded Reload
	s_wait_loadcnt 0x2
	v_lshlrev_b32_e32 v29, 24, v8
	scratch_load_b32 v8, off, s33 offset:280 th:TH_LOAD_LU ; 4-byte Folded Reload
	v_or3_b32 v26, v31, v34, v35
	s_wait_loadcnt 0x2
	v_lshlrev_b32_e32 v38, 24, v38
	v_lshl_or_b32 v34, v62, 8, v61
	s_wait_loadcnt 0x1
	v_dual_lshlrev_b32 v35, 16, v63 :: v_dual_lshlrev_b32 v37, 16, v37
	s_wait_loadcnt 0x0
	v_lshlrev_b32_e32 v30, 16, v8
	s_clause 0x1
	scratch_load_b32 v8, off, s33 offset:272 th:TH_LOAD_LU
	scratch_load_b32 v9, off, s33 offset:276 th:TH_LOAD_LU
	v_or3_b32 v28, v36, v37, v38
	v_lshlrev_b32_e32 v36, 24, v72
	v_lshl_or_b32 v37, v58, 8, v65
	v_lshlrev_b32_e32 v38, 16, v59
	s_delay_alu instid0(VALU_DEP_3) | instskip(SKIP_1) | instid1(VALU_DEP_3)
	v_or3_b32 v35, v34, v35, v36
	v_or3_b32 v36, v50, v51, v52
	;; [unrolled: 1-line block ×4, first 2 shown]
	s_wait_loadcnt 0x0
	v_lshl_or_b32 v31, v9, 8, v8
	scratch_load_b64 v[8:9], off, s33 offset:332 ; 8-byte Folded Reload
	v_or3_b32 v29, v31, v30, v29
	scratch_load_b64 v[30:31], off, s33 offset:364 ; 8-byte Folded Reload
	s_wait_loadcnt 0x1
	v_add_nc_u64_e32 v[8:9], v[8:9], v[102:103]
	s_clause 0x1
	global_store_b128 v[8:9], v[26:29], off th:TH_STORE_NT
	global_store_b128 v[8:9], v[4:7], off offset:512 th:TH_STORE_NT
	scratch_load_b64 v[4:5], off, s33 offset:372 ; 8-byte Folded Reload
	s_wait_loadcnt 0x1
	v_sub_nc_u32_e32 v97, v97, v30
	s_clause 0x5
	global_store_b128 v[8:9], v[0:3], off offset:1024 th:TH_STORE_NT
	global_store_b128 v[8:9], v[22:25], off offset:1536 th:TH_STORE_NT
	global_store_b128 v[8:9], v[18:21], off offset:2048 th:TH_STORE_NT
	global_store_b128 v[8:9], v[14:17], off offset:2560 th:TH_STORE_NT
	global_store_b128 v[8:9], v[10:13], off offset:3072 th:TH_STORE_NT
	global_store_b128 v[8:9], v[34:37], off offset:3584 th:TH_STORE_NT
	v_cmp_gt_i32_e32 vcc_lo, 1, v97
	s_or_b32 s23, vcc_lo, s23
	s_wait_loadcnt 0x0
	v_add_nc_u64_e32 v[112:113], v[112:113], v[4:5]
	v_add_nc_u64_e32 v[102:103], v[102:103], v[4:5]
	s_wait_xcnt 0x0
	s_and_not1_b32 exec_lo, exec_lo, s23
	s_cbranch_execz .LBB6_16483
.LBB6_13467:                            ;   Parent Loop BB6_13392 Depth=1
                                        ; =>  This Inner Loop Header: Depth=2
	s_cmp_lt_i32 s24, 0x80
	s_cbranch_scc1 .LBB6_13471
; %bb.13468:                            ;   in Loop: Header=BB6_13467 Depth=2
	s_cmp_eq_u32 s25, 0x80
	s_mov_b32 s10, -1
	s_cbranch_scc0 .LBB6_13470
; %bb.13469:                            ;   in Loop: Header=BB6_13467 Depth=2
	s_mov_b32 s10, 0
.LBB6_13470:                            ;   in Loop: Header=BB6_13467 Depth=2
	s_brev_b32 s26, 1
	s_branch .LBB6_13473
.LBB6_13471:                            ;   in Loop: Header=BB6_13467 Depth=2
	s_mov_b32 s10, 0
	s_brev_b32 s26, 1
	s_cbranch_execz .LBB6_13473
; %bb.13472:                            ;   in Loop: Header=BB6_13467 Depth=2
	s_cmp_lg_u32 s25, 0
	s_mov_b32 s26, 0
	s_cselect_b32 s10, -1, 0
.LBB6_13473:                            ;   in Loop: Header=BB6_13467 Depth=2
	s_delay_alu instid0(SALU_CYCLE_1)
	s_and_not1_b32 vcc_lo, exec_lo, s10
	s_cbranch_vccnz .LBB6_13475
; %bb.13474:                            ;   in Loop: Header=BB6_13467 Depth=2
	s_mov_b32 s26, s22
.LBB6_13475:                            ;   in Loop: Header=BB6_13467 Depth=2
	scratch_load_b64 v[0:1], off, s33 offset:332 ; 8-byte Folded Reload
	s_mov_b32 s10, exec_lo
	s_wait_loadcnt 0x0
	v_add_nc_u64_e32 v[14:15], v[0:1], v[112:113]
	v_mov_b32_e32 v0, 0
	global_load_b128 v[10:13], v[14:15], off th:TH_LOAD_NT
	s_wait_loadcnt 0x0
	v_and_b32_e32 v1, 0xff, v10
	s_wait_xcnt 0x0
	s_delay_alu instid0(VALU_DEP_1)
	v_cmpx_ne_u16_e32 0, v1
	s_cbranch_execz .LBB6_13481
; %bb.13476:                            ;   in Loop: Header=BB6_13467 Depth=2
	v_bfrev_b32_e32 v0, 1
	s_mov_b32 s27, exec_lo
	v_cmpx_ne_u16_e32 0x80, v1
	s_cbranch_execz .LBB6_13480
; %bb.13477:                            ;   in Loop: Header=BB6_13467 Depth=2
	v_and_b32_e32 v1, 0x7f, v10
	v_mov_b32_e32 v0, 0x7f800001
	s_mov_b32 s28, exec_lo
	s_delay_alu instid0(VALU_DEP_2)
	v_cmpx_ne_u32_e32 0x7f, v1
	s_cbranch_execz .LBB6_13479
; %bb.13478:                            ;   in Loop: Header=BB6_13467 Depth=2
	v_dual_lshrrev_b32 v2, 3, v1 :: v_dual_bitop2_b32 v0, 7, v10 bitop3:0x40
	v_cmp_gt_u32_e32 vcc_lo, 8, v1
	s_delay_alu instid0(VALU_DEP_2) | instskip(NEXT) | instid1(VALU_DEP_1)
	v_clz_i32_u32_e32 v0, v0
	v_min_u32_e32 v0, 32, v0
	s_delay_alu instid0(VALU_DEP_1) | instskip(SKIP_1) | instid1(VALU_DEP_1)
	v_subrev_nc_u32_e32 v3, 28, v0
	v_sub_nc_u32_e32 v0, 29, v0
	v_dual_cndmask_b32 v2, v2, v0, vcc_lo :: v_dual_cndmask_b32 v0, 0, v3, vcc_lo
	s_delay_alu instid0(VALU_DEP_1) | instskip(NEXT) | instid1(VALU_DEP_2)
	v_lshl_add_u32 v2, v2, 23, 0x3c000000
	v_lshlrev_b64_e32 v[0:1], v0, v[10:11]
	v_lshlrev_b32_e32 v1, 24, v10
	s_delay_alu instid0(VALU_DEP_1) | instskip(NEXT) | instid1(VALU_DEP_3)
	v_and_b32_e32 v1, 0x80000000, v1
	v_lshlrev_b32_e32 v0, 20, v0
	s_delay_alu instid0(VALU_DEP_1) | instskip(NEXT) | instid1(VALU_DEP_1)
	v_and_b32_e32 v0, 0x700000, v0
	v_or3_b32 v0, v0, v1, v2
.LBB6_13479:                            ;   in Loop: Header=BB6_13467 Depth=2
	s_or_b32 exec_lo, exec_lo, s28
.LBB6_13480:                            ;   in Loop: Header=BB6_13467 Depth=2
	s_delay_alu instid0(SALU_CYCLE_1)
	s_or_b32 exec_lo, exec_lo, s27
.LBB6_13481:                            ;   in Loop: Header=BB6_13467 Depth=2
	s_delay_alu instid0(SALU_CYCLE_1) | instskip(NEXT) | instid1(VALU_DEP_1)
	s_or_b32 exec_lo, exec_lo, s10
	v_mul_f32_e32 v1, s26, v0
                                        ; implicit-def: $vgpr2
                                        ; kill: killed $vgpr2
	s_mov_b32 s10, exec_lo
	s_delay_alu instid0(VALU_DEP_1) | instskip(SKIP_1) | instid1(VALU_DEP_2)
	v_and_b32_e32 v54, 0x7f800000, v1
	v_lshrrev_b32_e32 v0, 24, v1
	v_cmpx_ne_u64_e32 0x7f800000, v[54:55]
	s_xor_b32 s27, exec_lo, s10
	s_cbranch_execz .LBB6_13495
; %bb.13482:                            ;   in Loop: Header=BB6_13467 Depth=2
	v_and_b32_e32 v54, 0x7fffffff, v1
	v_and_b32_e32 v0, 0x80, v0
                                        ; implicit-def: $vgpr2
                                        ; kill: killed $vgpr2
	s_mov_b32 s10, exec_lo
	s_delay_alu instid0(VALU_DEP_2)
	v_cmpx_gt_u64_e32 0x43e00001, v[54:55]
	s_xor_b32 s28, exec_lo, s10
	s_cbranch_execz .LBB6_13492
; %bb.13483:                            ;   in Loop: Header=BB6_13467 Depth=2
	v_mov_b32_e32 v2, 0
	s_mov_b32 s29, exec_lo
	scratch_store_b32 off, v2, s33 offset:212 ; 4-byte Folded Spill
	s_wait_xcnt 0x0
	v_cmpx_ne_u32_e32 0, v1
	s_cbranch_execz .LBB6_13491
; %bb.13484:                            ;   in Loop: Header=BB6_13467 Depth=2
	v_bfe_u32 v2, v1, 23, 8
	v_and_b32_e32 v1, 0x7fffff, v1
	s_mov_b32 s40, exec_lo
	s_delay_alu instid0(VALU_DEP_2) | instskip(NEXT) | instid1(VALU_DEP_2)
	v_cmp_gt_u32_e32 vcc_lo, 0x7a, v2
	v_or_b32_e32 v6, 0x800000, v1
	v_sub_nc_u32_e32 v3, 0x79, v2
	s_delay_alu instid0(VALU_DEP_1) | instskip(SKIP_1) | instid1(VALU_DEP_2)
	v_cndmask_b32_e32 v3, 0, v3, vcc_lo
	v_cmp_eq_u32_e32 vcc_lo, 0, v2
	v_cndmask_b32_e64 v3, v3, 0x78, vcc_lo
	s_delay_alu instid0(VALU_DEP_1) | instskip(SKIP_1) | instid1(VALU_DEP_2)
	v_dual_cndmask_b32 v54, v6, v1, vcc_lo :: v_dual_add_nc_u32 v4, 20, v3
	v_add_nc_u32_e32 v7, 19, v3
	v_lshrrev_b64 v[16:17], v3, v[54:55]
	s_delay_alu instid0(VALU_DEP_3) | instskip(NEXT) | instid1(VALU_DEP_3)
	v_lshlrev_b64_e64 v[4:5], v4, -1
	v_lshlrev_b64_e64 v[6:7], v7, 1
	s_delay_alu instid0(VALU_DEP_3) | instskip(NEXT) | instid1(VALU_DEP_3)
	v_mov_b64_e32 v[18:19], v[16:17]
	v_bfi_b32 v5, v5, 0, 0
	s_delay_alu instid0(VALU_DEP_4) | instskip(NEXT) | instid1(VALU_DEP_1)
	v_bfi_b32 v4, v4, 0, v54
	v_cmpx_eq_u64_e64 v[4:5], v[6:7]
; %bb.13485:                            ;   in Loop: Header=BB6_13467 Depth=2
	v_bfe_u32 v54, v16, 20, 1
	s_delay_alu instid0(VALU_DEP_1) | instskip(NEXT) | instid1(VALU_DEP_1)
	v_add_nc_u64_e32 v[4:5], v[16:17], v[54:55]
	v_add_nc_u64_e32 v[18:19], -1, v[4:5]
; %bb.13486:                            ;   in Loop: Header=BB6_13467 Depth=2
	s_or_b32 exec_lo, exec_lo, s40
	v_add_nc_u32_e32 v1, 0xffffff81, v2
	v_lshrrev_b32_e32 v2, 23, v16
	s_mov_b32 s10, exec_lo
	s_delay_alu instid0(VALU_DEP_2) | instskip(NEXT) | instid1(VALU_DEP_1)
	v_cndmask_b32_e64 v1, v1, 0xffffff82, vcc_lo
	v_add3_u32 v2, v3, v1, v2
	v_and_b32_e32 v1, 0xfffff, v18
	s_delay_alu instid0(VALU_DEP_1) | instskip(NEXT) | instid1(VALU_DEP_1)
	v_dual_add_nc_u32 v3, 6, v2 :: v_dual_add_nc_u32 v54, v1, v16
                                        ; implicit-def: $vgpr16_vgpr17
                                        ; implicit-def: $vgpr1
	v_cmpx_ne_u32_e32 0, v3
	s_xor_b32 s10, exec_lo, s10
; %bb.13487:                            ;   in Loop: Header=BB6_13467 Depth=2
	s_delay_alu instid0(VALU_DEP_2) | instskip(SKIP_2) | instid1(VALU_DEP_2)
	v_cmp_lt_u64_e32 vcc_lo, 0xffffff, v[54:55]
	v_add_nc_u32_e32 v1, 7, v2
	v_cndmask_b32_e64 v2, 0, 1, vcc_lo
	v_cndmask_b32_e32 v1, v3, v1, vcc_lo
	s_delay_alu instid0(VALU_DEP_2)
	v_lshrrev_b64 v[16:17], v2, v[54:55]
; %bb.13488:                            ;   in Loop: Header=BB6_13467 Depth=2
	s_and_not1_saveexec_b32 s10, s10
; %bb.13489:                            ;   in Loop: Header=BB6_13467 Depth=2
	v_mov_b64_e32 v[16:17], v[54:55]
	v_bfe_u32 v1, v54, 23, 1
; %bb.13490:                            ;   in Loop: Header=BB6_13467 Depth=2
	s_or_b32 exec_lo, exec_lo, s10
	s_delay_alu instid0(VALU_DEP_2) | instskip(NEXT) | instid1(VALU_DEP_2)
	v_lshrrev_b64 v[2:3], 20, v[16:17]
	v_cmp_gt_i32_e32 vcc_lo, 16, v1
	v_min_i32_e32 v4, 15, v1
	v_cmp_eq_u32_e64 s10, 0, v1
	s_delay_alu instid0(VALU_DEP_2) | instskip(SKIP_1) | instid1(VALU_DEP_2)
	v_dual_cndmask_b32 v3, 0, v3 :: v_dual_lshlrev_b32 v4, 3, v4
	v_cndmask_b32_e32 v2, 7, v2, vcc_lo
	v_and_b32_e32 v4, 0xf8, v4
	s_delay_alu instid0(VALU_DEP_2) | instskip(NEXT) | instid1(VALU_DEP_2)
	v_cmp_eq_u64_e32 vcc_lo, 0, v[2:3]
	v_and_or_b32 v1, v2, 7, v4
	s_and_b32 s10, s10, vcc_lo
	s_delay_alu instid0(VALU_DEP_1) | instid1(SALU_CYCLE_1)
	v_cndmask_b32_e64 v1, v1, 0, s10
	s_delay_alu instid0(VALU_DEP_1)
	v_or_b32_e32 v0, v1, v0
	scratch_store_b32 off, v0, s33 offset:212 ; 4-byte Folded Spill
.LBB6_13491:                            ;   in Loop: Header=BB6_13467 Depth=2
	s_wait_xcnt 0x0
	s_or_b32 exec_lo, exec_lo, s29
                                        ; implicit-def: $vgpr0
.LBB6_13492:                            ;   in Loop: Header=BB6_13467 Depth=2
	s_and_not1_saveexec_b32 s10, s28
	s_cbranch_execz .LBB6_13494
; %bb.13493:                            ;   in Loop: Header=BB6_13467 Depth=2
	v_or_b32_e32 v0, 0x7e, v0
	scratch_store_b32 off, v0, s33 offset:212 ; 4-byte Folded Spill
.LBB6_13494:                            ;   in Loop: Header=BB6_13467 Depth=2
	s_wait_xcnt 0x0
	s_or_b32 exec_lo, exec_lo, s10
                                        ; implicit-def: $vgpr0
.LBB6_13495:                            ;   in Loop: Header=BB6_13467 Depth=2
	s_and_not1_saveexec_b32 s10, s27
	s_cbranch_execz .LBB6_13497
; %bb.13496:                            ;   in Loop: Header=BB6_13467 Depth=2
	v_or_b32_e32 v0, 0x7f, v0
	scratch_store_b32 off, v0, s33 offset:212 ; 4-byte Folded Spill
.LBB6_13497:                            ;   in Loop: Header=BB6_13467 Depth=2
	s_wait_xcnt 0x0
	s_or_b32 exec_lo, exec_lo, s10
	v_lshrrev_b16 v1, 8, v10
	v_mov_b32_e32 v0, 0
	s_mov_b32 s10, exec_lo
	s_delay_alu instid0(VALU_DEP_2)
	v_cmpx_ne_u16_e32 0, v1
	s_cbranch_execz .LBB6_13505
; %bb.13498:                            ;   in Loop: Header=BB6_13467 Depth=2
	v_bfrev_b32_e32 v0, 1
	s_mov_b32 s27, exec_lo
	v_cmpx_ne_u16_e32 0x80, v1
	s_cbranch_execz .LBB6_13504
; %bb.13499:                            ;   in Loop: Header=BB6_13467 Depth=2
	v_and_b32_e32 v2, 0xffff, v1
	v_mov_b32_e32 v0, 0x7f800001
	s_mov_b32 s28, exec_lo
	s_delay_alu instid0(VALU_DEP_2) | instskip(NEXT) | instid1(VALU_DEP_1)
	v_and_b32_e32 v1, 0x7f, v2
	v_cmpx_ne_u32_e32 0x7f, v1
	s_cbranch_execz .LBB6_13503
; %bb.13500:                            ;   in Loop: Header=BB6_13467 Depth=2
	v_dual_lshrrev_b32 v0, 3, v1 :: v_dual_bitop2_b32 v54, 7, v2 bitop3:0x40
	s_mov_b32 s29, exec_lo
	v_cmpx_gt_u32_e32 8, v1
; %bb.13501:                            ;   in Loop: Header=BB6_13467 Depth=2
	s_delay_alu instid0(VALU_DEP_2) | instskip(NEXT) | instid1(VALU_DEP_1)
	v_clz_i32_u32_e32 v0, v54
	v_min_u32_e32 v0, 32, v0
	s_delay_alu instid0(VALU_DEP_1) | instskip(NEXT) | instid1(VALU_DEP_1)
	v_subrev_nc_u32_e32 v1, 28, v0
	v_lshlrev_b64_e32 v[2:3], v1, v[54:55]
	s_delay_alu instid0(VALU_DEP_1)
	v_dual_sub_nc_u32 v0, 29, v0 :: v_dual_bitop2_b32 v54, 7, v2 bitop3:0x40
; %bb.13502:                            ;   in Loop: Header=BB6_13467 Depth=2
	s_or_b32 exec_lo, exec_lo, s29
	v_lshlrev_b32_e32 v1, 16, v10
	s_delay_alu instid0(VALU_DEP_2) | instskip(NEXT) | instid1(VALU_DEP_3)
	v_lshlrev_b32_e32 v2, 20, v54
	v_lshl_add_u32 v0, v0, 23, 0x3c000000
	s_delay_alu instid0(VALU_DEP_3) | instskip(NEXT) | instid1(VALU_DEP_1)
	v_and_b32_e32 v1, 0x80000000, v1
	v_or3_b32 v0, v2, v1, v0
.LBB6_13503:                            ;   in Loop: Header=BB6_13467 Depth=2
	s_or_b32 exec_lo, exec_lo, s28
.LBB6_13504:                            ;   in Loop: Header=BB6_13467 Depth=2
	s_delay_alu instid0(SALU_CYCLE_1)
	s_or_b32 exec_lo, exec_lo, s27
.LBB6_13505:                            ;   in Loop: Header=BB6_13467 Depth=2
	s_delay_alu instid0(SALU_CYCLE_1) | instskip(NEXT) | instid1(VALU_DEP_1)
	s_or_b32 exec_lo, exec_lo, s10
	v_mul_f32_e32 v1, s26, v0
                                        ; implicit-def: $vgpr2
                                        ; kill: killed $vgpr2
	s_mov_b32 s10, exec_lo
	s_delay_alu instid0(VALU_DEP_1) | instskip(SKIP_1) | instid1(VALU_DEP_2)
	v_and_b32_e32 v54, 0x7f800000, v1
	v_lshrrev_b32_e32 v0, 24, v1
	v_cmpx_ne_u64_e32 0x7f800000, v[54:55]
	s_xor_b32 s27, exec_lo, s10
	s_cbranch_execz .LBB6_13519
; %bb.13506:                            ;   in Loop: Header=BB6_13467 Depth=2
	v_and_b32_e32 v54, 0x7fffffff, v1
	v_and_b32_e32 v0, 0x80, v0
                                        ; implicit-def: $vgpr2
                                        ; kill: killed $vgpr2
	s_mov_b32 s10, exec_lo
	s_delay_alu instid0(VALU_DEP_2)
	v_cmpx_gt_u64_e32 0x43e00001, v[54:55]
	s_xor_b32 s28, exec_lo, s10
	s_cbranch_execz .LBB6_13516
; %bb.13507:                            ;   in Loop: Header=BB6_13467 Depth=2
	v_mov_b32_e32 v2, 0
	s_mov_b32 s29, exec_lo
	scratch_store_b32 off, v2, s33 offset:216 ; 4-byte Folded Spill
	s_wait_xcnt 0x0
	v_cmpx_ne_u32_e32 0, v1
	s_cbranch_execz .LBB6_13515
; %bb.13508:                            ;   in Loop: Header=BB6_13467 Depth=2
	v_bfe_u32 v2, v1, 23, 8
	v_and_b32_e32 v1, 0x7fffff, v1
	s_mov_b32 s40, exec_lo
	s_delay_alu instid0(VALU_DEP_2) | instskip(NEXT) | instid1(VALU_DEP_2)
	v_cmp_gt_u32_e32 vcc_lo, 0x7a, v2
	v_or_b32_e32 v6, 0x800000, v1
	v_sub_nc_u32_e32 v3, 0x79, v2
	s_delay_alu instid0(VALU_DEP_1) | instskip(SKIP_1) | instid1(VALU_DEP_2)
	v_cndmask_b32_e32 v3, 0, v3, vcc_lo
	v_cmp_eq_u32_e32 vcc_lo, 0, v2
	v_cndmask_b32_e64 v3, v3, 0x78, vcc_lo
	s_delay_alu instid0(VALU_DEP_1) | instskip(SKIP_1) | instid1(VALU_DEP_2)
	v_dual_cndmask_b32 v54, v6, v1, vcc_lo :: v_dual_add_nc_u32 v4, 20, v3
	v_add_nc_u32_e32 v7, 19, v3
	v_lshrrev_b64 v[16:17], v3, v[54:55]
	s_delay_alu instid0(VALU_DEP_3) | instskip(NEXT) | instid1(VALU_DEP_3)
	v_lshlrev_b64_e64 v[4:5], v4, -1
	v_lshlrev_b64_e64 v[6:7], v7, 1
	s_delay_alu instid0(VALU_DEP_3) | instskip(NEXT) | instid1(VALU_DEP_3)
	v_mov_b64_e32 v[18:19], v[16:17]
	v_bfi_b32 v5, v5, 0, 0
	s_delay_alu instid0(VALU_DEP_4) | instskip(NEXT) | instid1(VALU_DEP_1)
	v_bfi_b32 v4, v4, 0, v54
	v_cmpx_eq_u64_e64 v[4:5], v[6:7]
; %bb.13509:                            ;   in Loop: Header=BB6_13467 Depth=2
	v_bfe_u32 v54, v16, 20, 1
	s_delay_alu instid0(VALU_DEP_1) | instskip(NEXT) | instid1(VALU_DEP_1)
	v_add_nc_u64_e32 v[4:5], v[16:17], v[54:55]
	v_add_nc_u64_e32 v[18:19], -1, v[4:5]
; %bb.13510:                            ;   in Loop: Header=BB6_13467 Depth=2
	s_or_b32 exec_lo, exec_lo, s40
	v_add_nc_u32_e32 v1, 0xffffff81, v2
	v_lshrrev_b32_e32 v2, 23, v16
	s_mov_b32 s10, exec_lo
	s_delay_alu instid0(VALU_DEP_2) | instskip(NEXT) | instid1(VALU_DEP_1)
	v_cndmask_b32_e64 v1, v1, 0xffffff82, vcc_lo
	v_add3_u32 v2, v3, v1, v2
	v_and_b32_e32 v1, 0xfffff, v18
	s_delay_alu instid0(VALU_DEP_1) | instskip(NEXT) | instid1(VALU_DEP_1)
	v_dual_add_nc_u32 v3, 6, v2 :: v_dual_add_nc_u32 v54, v1, v16
                                        ; implicit-def: $vgpr16_vgpr17
                                        ; implicit-def: $vgpr1
	v_cmpx_ne_u32_e32 0, v3
	s_xor_b32 s10, exec_lo, s10
; %bb.13511:                            ;   in Loop: Header=BB6_13467 Depth=2
	s_delay_alu instid0(VALU_DEP_2) | instskip(SKIP_2) | instid1(VALU_DEP_2)
	v_cmp_lt_u64_e32 vcc_lo, 0xffffff, v[54:55]
	v_add_nc_u32_e32 v1, 7, v2
	v_cndmask_b32_e64 v2, 0, 1, vcc_lo
	v_cndmask_b32_e32 v1, v3, v1, vcc_lo
	s_delay_alu instid0(VALU_DEP_2)
	v_lshrrev_b64 v[16:17], v2, v[54:55]
; %bb.13512:                            ;   in Loop: Header=BB6_13467 Depth=2
	s_and_not1_saveexec_b32 s10, s10
; %bb.13513:                            ;   in Loop: Header=BB6_13467 Depth=2
	v_mov_b64_e32 v[16:17], v[54:55]
	v_bfe_u32 v1, v54, 23, 1
; %bb.13514:                            ;   in Loop: Header=BB6_13467 Depth=2
	s_or_b32 exec_lo, exec_lo, s10
	s_delay_alu instid0(VALU_DEP_2) | instskip(NEXT) | instid1(VALU_DEP_2)
	v_lshrrev_b64 v[2:3], 20, v[16:17]
	v_cmp_gt_i32_e32 vcc_lo, 16, v1
	v_min_i32_e32 v4, 15, v1
	v_cmp_eq_u32_e64 s10, 0, v1
	s_delay_alu instid0(VALU_DEP_2) | instskip(SKIP_1) | instid1(VALU_DEP_2)
	v_dual_cndmask_b32 v3, 0, v3 :: v_dual_lshlrev_b32 v4, 3, v4
	v_cndmask_b32_e32 v2, 7, v2, vcc_lo
	v_and_b32_e32 v4, 0xf8, v4
	s_delay_alu instid0(VALU_DEP_2) | instskip(NEXT) | instid1(VALU_DEP_2)
	v_cmp_eq_u64_e32 vcc_lo, 0, v[2:3]
	v_and_or_b32 v1, v2, 7, v4
	s_and_b32 s10, s10, vcc_lo
	s_delay_alu instid0(VALU_DEP_1) | instid1(SALU_CYCLE_1)
	v_cndmask_b32_e64 v1, v1, 0, s10
	s_delay_alu instid0(VALU_DEP_1)
	v_or_b32_e32 v0, v1, v0
	scratch_store_b32 off, v0, s33 offset:216 ; 4-byte Folded Spill
.LBB6_13515:                            ;   in Loop: Header=BB6_13467 Depth=2
	s_wait_xcnt 0x0
	s_or_b32 exec_lo, exec_lo, s29
                                        ; implicit-def: $vgpr0
.LBB6_13516:                            ;   in Loop: Header=BB6_13467 Depth=2
	s_and_not1_saveexec_b32 s10, s28
	s_cbranch_execz .LBB6_13518
; %bb.13517:                            ;   in Loop: Header=BB6_13467 Depth=2
	v_or_b32_e32 v0, 0x7e, v0
	scratch_store_b32 off, v0, s33 offset:216 ; 4-byte Folded Spill
.LBB6_13518:                            ;   in Loop: Header=BB6_13467 Depth=2
	s_wait_xcnt 0x0
	s_or_b32 exec_lo, exec_lo, s10
                                        ; implicit-def: $vgpr0
.LBB6_13519:                            ;   in Loop: Header=BB6_13467 Depth=2
	s_and_not1_saveexec_b32 s10, s27
	s_cbranch_execz .LBB6_13521
; %bb.13520:                            ;   in Loop: Header=BB6_13467 Depth=2
	v_or_b32_e32 v0, 0x7f, v0
	scratch_store_b32 off, v0, s33 offset:216 ; 4-byte Folded Spill
.LBB6_13521:                            ;   in Loop: Header=BB6_13467 Depth=2
	s_wait_xcnt 0x0
	s_or_b32 exec_lo, exec_lo, s10
	v_dual_mov_b32 v1, 0 :: v_dual_lshrrev_b32 v0, 16, v10
	s_mov_b32 s10, exec_lo
	s_delay_alu instid0(VALU_DEP_1) | instskip(NEXT) | instid1(VALU_DEP_1)
	v_and_b32_e32 v2, 0xff, v0
	v_cmpx_ne_u16_e32 0, v2
	s_cbranch_execz .LBB6_13529
; %bb.13522:                            ;   in Loop: Header=BB6_13467 Depth=2
	v_bfrev_b32_e32 v1, 1
	s_mov_b32 s27, exec_lo
	v_cmpx_ne_u16_e32 0x80, v2
	s_cbranch_execz .LBB6_13528
; %bb.13523:                            ;   in Loop: Header=BB6_13467 Depth=2
	v_bfe_u32 v2, v10, 16, 7
	v_mov_b32_e32 v1, 0x7f800001
	s_mov_b32 s28, exec_lo
	s_delay_alu instid0(VALU_DEP_2)
	v_cmpx_ne_u32_e32 0x7f, v2
	s_cbranch_execz .LBB6_13527
; %bb.13524:                            ;   in Loop: Header=BB6_13467 Depth=2
	v_dual_lshrrev_b32 v1, 3, v2 :: v_dual_bitop2_b32 v54, 7, v0 bitop3:0x40
	s_mov_b32 s29, exec_lo
	v_cmpx_gt_u32_e32 8, v2
; %bb.13525:                            ;   in Loop: Header=BB6_13467 Depth=2
	s_delay_alu instid0(VALU_DEP_2) | instskip(NEXT) | instid1(VALU_DEP_1)
	v_clz_i32_u32_e32 v1, v54
	v_min_u32_e32 v1, 32, v1
	s_delay_alu instid0(VALU_DEP_1) | instskip(NEXT) | instid1(VALU_DEP_1)
	v_subrev_nc_u32_e32 v2, 28, v1
	v_lshlrev_b64_e32 v[2:3], v2, v[54:55]
	s_delay_alu instid0(VALU_DEP_1)
	v_dual_sub_nc_u32 v1, 29, v1 :: v_dual_bitop2_b32 v54, 7, v2 bitop3:0x40
; %bb.13526:                            ;   in Loop: Header=BB6_13467 Depth=2
	s_or_b32 exec_lo, exec_lo, s29
	s_delay_alu instid0(VALU_DEP_1) | instskip(NEXT) | instid1(VALU_DEP_2)
	v_dual_lshlrev_b32 v0, 24, v0 :: v_dual_lshlrev_b32 v2, 20, v54
	v_lshl_add_u32 v1, v1, 23, 0x3c000000
	s_delay_alu instid0(VALU_DEP_2) | instskip(NEXT) | instid1(VALU_DEP_1)
	v_and_b32_e32 v0, 0x80000000, v0
	v_or3_b32 v1, v2, v0, v1
.LBB6_13527:                            ;   in Loop: Header=BB6_13467 Depth=2
	s_or_b32 exec_lo, exec_lo, s28
.LBB6_13528:                            ;   in Loop: Header=BB6_13467 Depth=2
	s_delay_alu instid0(SALU_CYCLE_1)
	s_or_b32 exec_lo, exec_lo, s27
.LBB6_13529:                            ;   in Loop: Header=BB6_13467 Depth=2
	s_delay_alu instid0(SALU_CYCLE_1) | instskip(NEXT) | instid1(VALU_DEP_1)
	s_or_b32 exec_lo, exec_lo, s10
	v_mul_f32_e32 v1, s26, v1
                                        ; implicit-def: $vgpr2
                                        ; kill: killed $vgpr2
	s_mov_b32 s10, exec_lo
	s_delay_alu instid0(VALU_DEP_1) | instskip(SKIP_1) | instid1(VALU_DEP_2)
	v_and_b32_e32 v54, 0x7f800000, v1
	v_lshrrev_b32_e32 v0, 24, v1
	v_cmpx_ne_u64_e32 0x7f800000, v[54:55]
	s_xor_b32 s27, exec_lo, s10
	s_cbranch_execz .LBB6_13543
; %bb.13530:                            ;   in Loop: Header=BB6_13467 Depth=2
	v_and_b32_e32 v54, 0x7fffffff, v1
	v_and_b32_e32 v0, 0x80, v0
                                        ; implicit-def: $vgpr2
                                        ; kill: killed $vgpr2
	s_mov_b32 s10, exec_lo
	s_delay_alu instid0(VALU_DEP_2)
	v_cmpx_gt_u64_e32 0x43e00001, v[54:55]
	s_xor_b32 s28, exec_lo, s10
	s_cbranch_execz .LBB6_13540
; %bb.13531:                            ;   in Loop: Header=BB6_13467 Depth=2
	v_mov_b32_e32 v2, 0
	s_mov_b32 s29, exec_lo
	scratch_store_b32 off, v2, s33 offset:224 ; 4-byte Folded Spill
	s_wait_xcnt 0x0
	v_cmpx_ne_u32_e32 0, v1
	s_cbranch_execz .LBB6_13539
; %bb.13532:                            ;   in Loop: Header=BB6_13467 Depth=2
	v_bfe_u32 v2, v1, 23, 8
	v_and_b32_e32 v1, 0x7fffff, v1
	s_mov_b32 s40, exec_lo
	s_delay_alu instid0(VALU_DEP_2) | instskip(NEXT) | instid1(VALU_DEP_2)
	v_cmp_gt_u32_e32 vcc_lo, 0x7a, v2
	v_or_b32_e32 v6, 0x800000, v1
	v_sub_nc_u32_e32 v3, 0x79, v2
	s_delay_alu instid0(VALU_DEP_1) | instskip(SKIP_1) | instid1(VALU_DEP_2)
	v_cndmask_b32_e32 v3, 0, v3, vcc_lo
	v_cmp_eq_u32_e32 vcc_lo, 0, v2
	v_cndmask_b32_e64 v3, v3, 0x78, vcc_lo
	s_delay_alu instid0(VALU_DEP_1) | instskip(SKIP_1) | instid1(VALU_DEP_2)
	v_dual_cndmask_b32 v54, v6, v1, vcc_lo :: v_dual_add_nc_u32 v4, 20, v3
	v_add_nc_u32_e32 v7, 19, v3
	v_lshrrev_b64 v[16:17], v3, v[54:55]
	s_delay_alu instid0(VALU_DEP_3) | instskip(NEXT) | instid1(VALU_DEP_3)
	v_lshlrev_b64_e64 v[4:5], v4, -1
	v_lshlrev_b64_e64 v[6:7], v7, 1
	s_delay_alu instid0(VALU_DEP_3) | instskip(NEXT) | instid1(VALU_DEP_3)
	v_mov_b64_e32 v[18:19], v[16:17]
	v_bfi_b32 v5, v5, 0, 0
	s_delay_alu instid0(VALU_DEP_4) | instskip(NEXT) | instid1(VALU_DEP_1)
	v_bfi_b32 v4, v4, 0, v54
	v_cmpx_eq_u64_e64 v[4:5], v[6:7]
; %bb.13533:                            ;   in Loop: Header=BB6_13467 Depth=2
	v_bfe_u32 v54, v16, 20, 1
	s_delay_alu instid0(VALU_DEP_1) | instskip(NEXT) | instid1(VALU_DEP_1)
	v_add_nc_u64_e32 v[4:5], v[16:17], v[54:55]
	v_add_nc_u64_e32 v[18:19], -1, v[4:5]
; %bb.13534:                            ;   in Loop: Header=BB6_13467 Depth=2
	s_or_b32 exec_lo, exec_lo, s40
	v_add_nc_u32_e32 v1, 0xffffff81, v2
	v_lshrrev_b32_e32 v2, 23, v16
	s_mov_b32 s10, exec_lo
	s_delay_alu instid0(VALU_DEP_2) | instskip(NEXT) | instid1(VALU_DEP_1)
	v_cndmask_b32_e64 v1, v1, 0xffffff82, vcc_lo
	v_add3_u32 v2, v3, v1, v2
	v_and_b32_e32 v1, 0xfffff, v18
	s_delay_alu instid0(VALU_DEP_1) | instskip(NEXT) | instid1(VALU_DEP_1)
	v_dual_add_nc_u32 v3, 6, v2 :: v_dual_add_nc_u32 v54, v1, v16
                                        ; implicit-def: $vgpr16_vgpr17
                                        ; implicit-def: $vgpr1
	v_cmpx_ne_u32_e32 0, v3
	s_xor_b32 s10, exec_lo, s10
; %bb.13535:                            ;   in Loop: Header=BB6_13467 Depth=2
	s_delay_alu instid0(VALU_DEP_2) | instskip(SKIP_2) | instid1(VALU_DEP_2)
	v_cmp_lt_u64_e32 vcc_lo, 0xffffff, v[54:55]
	v_add_nc_u32_e32 v1, 7, v2
	v_cndmask_b32_e64 v2, 0, 1, vcc_lo
	v_cndmask_b32_e32 v1, v3, v1, vcc_lo
	s_delay_alu instid0(VALU_DEP_2)
	v_lshrrev_b64 v[16:17], v2, v[54:55]
; %bb.13536:                            ;   in Loop: Header=BB6_13467 Depth=2
	s_and_not1_saveexec_b32 s10, s10
; %bb.13537:                            ;   in Loop: Header=BB6_13467 Depth=2
	v_mov_b64_e32 v[16:17], v[54:55]
	v_bfe_u32 v1, v54, 23, 1
; %bb.13538:                            ;   in Loop: Header=BB6_13467 Depth=2
	s_or_b32 exec_lo, exec_lo, s10
	s_delay_alu instid0(VALU_DEP_2) | instskip(NEXT) | instid1(VALU_DEP_2)
	v_lshrrev_b64 v[2:3], 20, v[16:17]
	v_cmp_gt_i32_e32 vcc_lo, 16, v1
	v_min_i32_e32 v4, 15, v1
	v_cmp_eq_u32_e64 s10, 0, v1
	s_delay_alu instid0(VALU_DEP_2) | instskip(SKIP_1) | instid1(VALU_DEP_2)
	v_dual_cndmask_b32 v3, 0, v3 :: v_dual_lshlrev_b32 v4, 3, v4
	v_cndmask_b32_e32 v2, 7, v2, vcc_lo
	v_and_b32_e32 v4, 0xf8, v4
	s_delay_alu instid0(VALU_DEP_2) | instskip(NEXT) | instid1(VALU_DEP_2)
	v_cmp_eq_u64_e32 vcc_lo, 0, v[2:3]
	v_and_or_b32 v1, v2, 7, v4
	s_and_b32 s10, s10, vcc_lo
	s_delay_alu instid0(VALU_DEP_1) | instid1(SALU_CYCLE_1)
	v_cndmask_b32_e64 v1, v1, 0, s10
	s_delay_alu instid0(VALU_DEP_1)
	v_or_b32_e32 v0, v1, v0
	scratch_store_b32 off, v0, s33 offset:224 ; 4-byte Folded Spill
.LBB6_13539:                            ;   in Loop: Header=BB6_13467 Depth=2
	s_wait_xcnt 0x0
	s_or_b32 exec_lo, exec_lo, s29
                                        ; implicit-def: $vgpr0
.LBB6_13540:                            ;   in Loop: Header=BB6_13467 Depth=2
	s_and_not1_saveexec_b32 s10, s28
	s_cbranch_execz .LBB6_13542
; %bb.13541:                            ;   in Loop: Header=BB6_13467 Depth=2
	v_or_b32_e32 v0, 0x7e, v0
	scratch_store_b32 off, v0, s33 offset:224 ; 4-byte Folded Spill
.LBB6_13542:                            ;   in Loop: Header=BB6_13467 Depth=2
	s_wait_xcnt 0x0
	s_or_b32 exec_lo, exec_lo, s10
                                        ; implicit-def: $vgpr0
.LBB6_13543:                            ;   in Loop: Header=BB6_13467 Depth=2
	s_and_not1_saveexec_b32 s10, s27
	s_cbranch_execz .LBB6_13545
; %bb.13544:                            ;   in Loop: Header=BB6_13467 Depth=2
	v_or_b32_e32 v0, 0x7f, v0
	scratch_store_b32 off, v0, s33 offset:224 ; 4-byte Folded Spill
.LBB6_13545:                            ;   in Loop: Header=BB6_13467 Depth=2
	s_wait_xcnt 0x0
	s_or_b32 exec_lo, exec_lo, s10
	v_mov_b32_e32 v1, 0
	s_mov_b32 s10, exec_lo
	v_cmpx_lt_u32_e32 0xffffff, v10
	s_cbranch_execz .LBB6_13553
; %bb.13546:                            ;   in Loop: Header=BB6_13467 Depth=2
	v_lshrrev_b32_e32 v0, 24, v10
	v_bfrev_b32_e32 v1, 1
	s_mov_b32 s27, exec_lo
	s_delay_alu instid0(VALU_DEP_2)
	v_cmpx_ne_u32_e32 0x80, v0
	s_cbranch_execz .LBB6_13552
; %bb.13547:                            ;   in Loop: Header=BB6_13467 Depth=2
	v_bfe_u32 v2, v10, 24, 7
	v_mov_b32_e32 v1, 0x7f800001
	s_mov_b32 s28, exec_lo
	s_delay_alu instid0(VALU_DEP_2)
	v_cmpx_ne_u32_e32 0x7f, v2
	s_cbranch_execz .LBB6_13551
; %bb.13548:                            ;   in Loop: Header=BB6_13467 Depth=2
	v_dual_lshrrev_b32 v1, 3, v2 :: v_dual_bitop2_b32 v54, 7, v0 bitop3:0x40
	s_mov_b32 s29, exec_lo
	v_cmpx_gt_u32_e32 8, v2
; %bb.13549:                            ;   in Loop: Header=BB6_13467 Depth=2
	s_delay_alu instid0(VALU_DEP_2) | instskip(NEXT) | instid1(VALU_DEP_1)
	v_clz_i32_u32_e32 v1, v54
	v_min_u32_e32 v1, 32, v1
	s_delay_alu instid0(VALU_DEP_1) | instskip(NEXT) | instid1(VALU_DEP_1)
	v_subrev_nc_u32_e32 v2, 28, v1
	v_lshlrev_b64_e32 v[2:3], v2, v[54:55]
	s_delay_alu instid0(VALU_DEP_1)
	v_dual_sub_nc_u32 v1, 29, v1 :: v_dual_bitop2_b32 v54, 7, v2 bitop3:0x40
; %bb.13550:                            ;   in Loop: Header=BB6_13467 Depth=2
	s_or_b32 exec_lo, exec_lo, s29
	s_delay_alu instid0(VALU_DEP_1) | instskip(NEXT) | instid1(VALU_DEP_2)
	v_dual_lshlrev_b32 v0, 24, v0 :: v_dual_lshlrev_b32 v2, 20, v54
	v_lshl_add_u32 v1, v1, 23, 0x3c000000
	s_delay_alu instid0(VALU_DEP_2) | instskip(NEXT) | instid1(VALU_DEP_1)
	v_and_b32_e32 v0, 0x80000000, v0
	v_or3_b32 v1, v2, v0, v1
.LBB6_13551:                            ;   in Loop: Header=BB6_13467 Depth=2
	s_or_b32 exec_lo, exec_lo, s28
.LBB6_13552:                            ;   in Loop: Header=BB6_13467 Depth=2
	s_delay_alu instid0(SALU_CYCLE_1)
	s_or_b32 exec_lo, exec_lo, s27
.LBB6_13553:                            ;   in Loop: Header=BB6_13467 Depth=2
	s_delay_alu instid0(SALU_CYCLE_1) | instskip(NEXT) | instid1(VALU_DEP_1)
	s_or_b32 exec_lo, exec_lo, s10
	v_mul_f32_e32 v1, s26, v1
                                        ; implicit-def: $vgpr2
                                        ; kill: killed $vgpr2
	s_mov_b32 s10, exec_lo
	s_delay_alu instid0(VALU_DEP_1) | instskip(SKIP_1) | instid1(VALU_DEP_2)
	v_and_b32_e32 v54, 0x7f800000, v1
	v_lshrrev_b32_e32 v0, 24, v1
	v_cmpx_ne_u64_e32 0x7f800000, v[54:55]
	s_xor_b32 s27, exec_lo, s10
	s_cbranch_execz .LBB6_13567
; %bb.13554:                            ;   in Loop: Header=BB6_13467 Depth=2
	v_and_b32_e32 v54, 0x7fffffff, v1
	v_and_b32_e32 v0, 0x80, v0
                                        ; implicit-def: $vgpr2
                                        ; kill: killed $vgpr2
	s_mov_b32 s10, exec_lo
	s_delay_alu instid0(VALU_DEP_2)
	v_cmpx_gt_u64_e32 0x43e00001, v[54:55]
	s_xor_b32 s28, exec_lo, s10
	s_cbranch_execz .LBB6_13564
; %bb.13555:                            ;   in Loop: Header=BB6_13467 Depth=2
	v_mov_b32_e32 v2, 0
	s_mov_b32 s29, exec_lo
	scratch_store_b32 off, v2, s33 offset:232 ; 4-byte Folded Spill
	s_wait_xcnt 0x0
	v_cmpx_ne_u32_e32 0, v1
	s_cbranch_execz .LBB6_13563
; %bb.13556:                            ;   in Loop: Header=BB6_13467 Depth=2
	v_bfe_u32 v2, v1, 23, 8
	v_and_b32_e32 v1, 0x7fffff, v1
	s_mov_b32 s40, exec_lo
	s_delay_alu instid0(VALU_DEP_2) | instskip(NEXT) | instid1(VALU_DEP_2)
	v_cmp_gt_u32_e32 vcc_lo, 0x7a, v2
	v_or_b32_e32 v6, 0x800000, v1
	v_sub_nc_u32_e32 v3, 0x79, v2
	s_delay_alu instid0(VALU_DEP_1) | instskip(SKIP_1) | instid1(VALU_DEP_2)
	v_cndmask_b32_e32 v3, 0, v3, vcc_lo
	v_cmp_eq_u32_e32 vcc_lo, 0, v2
	v_cndmask_b32_e64 v3, v3, 0x78, vcc_lo
	s_delay_alu instid0(VALU_DEP_1) | instskip(SKIP_1) | instid1(VALU_DEP_2)
	v_dual_cndmask_b32 v54, v6, v1, vcc_lo :: v_dual_add_nc_u32 v4, 20, v3
	v_add_nc_u32_e32 v7, 19, v3
	v_lshrrev_b64 v[16:17], v3, v[54:55]
	s_delay_alu instid0(VALU_DEP_3) | instskip(NEXT) | instid1(VALU_DEP_3)
	v_lshlrev_b64_e64 v[4:5], v4, -1
	v_lshlrev_b64_e64 v[6:7], v7, 1
	s_delay_alu instid0(VALU_DEP_3) | instskip(NEXT) | instid1(VALU_DEP_3)
	v_mov_b64_e32 v[18:19], v[16:17]
	v_bfi_b32 v5, v5, 0, 0
	s_delay_alu instid0(VALU_DEP_4) | instskip(NEXT) | instid1(VALU_DEP_1)
	v_bfi_b32 v4, v4, 0, v54
	v_cmpx_eq_u64_e64 v[4:5], v[6:7]
; %bb.13557:                            ;   in Loop: Header=BB6_13467 Depth=2
	v_bfe_u32 v54, v16, 20, 1
	s_delay_alu instid0(VALU_DEP_1) | instskip(NEXT) | instid1(VALU_DEP_1)
	v_add_nc_u64_e32 v[4:5], v[16:17], v[54:55]
	v_add_nc_u64_e32 v[18:19], -1, v[4:5]
; %bb.13558:                            ;   in Loop: Header=BB6_13467 Depth=2
	s_or_b32 exec_lo, exec_lo, s40
	v_add_nc_u32_e32 v1, 0xffffff81, v2
	v_lshrrev_b32_e32 v2, 23, v16
	s_mov_b32 s10, exec_lo
	s_delay_alu instid0(VALU_DEP_2) | instskip(NEXT) | instid1(VALU_DEP_1)
	v_cndmask_b32_e64 v1, v1, 0xffffff82, vcc_lo
	v_add3_u32 v2, v3, v1, v2
	v_and_b32_e32 v1, 0xfffff, v18
	s_delay_alu instid0(VALU_DEP_1) | instskip(NEXT) | instid1(VALU_DEP_1)
	v_dual_add_nc_u32 v3, 6, v2 :: v_dual_add_nc_u32 v54, v1, v16
                                        ; implicit-def: $vgpr16_vgpr17
                                        ; implicit-def: $vgpr1
	v_cmpx_ne_u32_e32 0, v3
	s_xor_b32 s10, exec_lo, s10
; %bb.13559:                            ;   in Loop: Header=BB6_13467 Depth=2
	s_delay_alu instid0(VALU_DEP_2) | instskip(SKIP_2) | instid1(VALU_DEP_2)
	v_cmp_lt_u64_e32 vcc_lo, 0xffffff, v[54:55]
	v_add_nc_u32_e32 v1, 7, v2
	v_cndmask_b32_e64 v2, 0, 1, vcc_lo
	v_cndmask_b32_e32 v1, v3, v1, vcc_lo
	s_delay_alu instid0(VALU_DEP_2)
	v_lshrrev_b64 v[16:17], v2, v[54:55]
; %bb.13560:                            ;   in Loop: Header=BB6_13467 Depth=2
	s_and_not1_saveexec_b32 s10, s10
; %bb.13561:                            ;   in Loop: Header=BB6_13467 Depth=2
	v_mov_b64_e32 v[16:17], v[54:55]
	v_bfe_u32 v1, v54, 23, 1
; %bb.13562:                            ;   in Loop: Header=BB6_13467 Depth=2
	s_or_b32 exec_lo, exec_lo, s10
	s_delay_alu instid0(VALU_DEP_2) | instskip(NEXT) | instid1(VALU_DEP_2)
	v_lshrrev_b64 v[2:3], 20, v[16:17]
	v_cmp_gt_i32_e32 vcc_lo, 16, v1
	v_min_i32_e32 v4, 15, v1
	v_cmp_eq_u32_e64 s10, 0, v1
	s_delay_alu instid0(VALU_DEP_2) | instskip(SKIP_1) | instid1(VALU_DEP_2)
	v_dual_cndmask_b32 v3, 0, v3 :: v_dual_lshlrev_b32 v4, 3, v4
	v_cndmask_b32_e32 v2, 7, v2, vcc_lo
	v_and_b32_e32 v4, 0xf8, v4
	s_delay_alu instid0(VALU_DEP_2) | instskip(NEXT) | instid1(VALU_DEP_2)
	v_cmp_eq_u64_e32 vcc_lo, 0, v[2:3]
	v_and_or_b32 v1, v2, 7, v4
	s_and_b32 s10, s10, vcc_lo
	s_delay_alu instid0(VALU_DEP_1) | instid1(SALU_CYCLE_1)
	v_cndmask_b32_e64 v1, v1, 0, s10
	s_delay_alu instid0(VALU_DEP_1)
	v_or_b32_e32 v0, v1, v0
	scratch_store_b32 off, v0, s33 offset:232 ; 4-byte Folded Spill
.LBB6_13563:                            ;   in Loop: Header=BB6_13467 Depth=2
	s_wait_xcnt 0x0
	s_or_b32 exec_lo, exec_lo, s29
                                        ; implicit-def: $vgpr0
.LBB6_13564:                            ;   in Loop: Header=BB6_13467 Depth=2
	s_and_not1_saveexec_b32 s10, s28
	s_cbranch_execz .LBB6_13566
; %bb.13565:                            ;   in Loop: Header=BB6_13467 Depth=2
	v_or_b32_e32 v0, 0x7e, v0
	scratch_store_b32 off, v0, s33 offset:232 ; 4-byte Folded Spill
.LBB6_13566:                            ;   in Loop: Header=BB6_13467 Depth=2
	s_wait_xcnt 0x0
	s_or_b32 exec_lo, exec_lo, s10
                                        ; implicit-def: $vgpr0
.LBB6_13567:                            ;   in Loop: Header=BB6_13467 Depth=2
	s_and_not1_saveexec_b32 s10, s27
	s_cbranch_execz .LBB6_13569
; %bb.13568:                            ;   in Loop: Header=BB6_13467 Depth=2
	v_or_b32_e32 v0, 0x7f, v0
	scratch_store_b32 off, v0, s33 offset:232 ; 4-byte Folded Spill
.LBB6_13569:                            ;   in Loop: Header=BB6_13467 Depth=2
	s_wait_xcnt 0x0
	s_or_b32 exec_lo, exec_lo, s10
	v_and_b32_e32 v1, 0xff, v11
	v_dual_mov_b32 v54, v11 :: v_dual_mov_b32 v0, 0
	s_mov_b32 s10, exec_lo
	s_delay_alu instid0(VALU_DEP_2)
	v_cmpx_ne_u16_e32 0, v1
	s_cbranch_execz .LBB6_13575
; %bb.13570:                            ;   in Loop: Header=BB6_13467 Depth=2
	v_bfrev_b32_e32 v0, 1
	s_mov_b32 s27, exec_lo
	v_cmpx_ne_u16_e32 0x80, v1
	s_cbranch_execz .LBB6_13574
; %bb.13571:                            ;   in Loop: Header=BB6_13467 Depth=2
	v_and_b32_e32 v1, 0x7f, v11
	v_mov_b32_e32 v0, 0x7f800001
	s_mov_b32 s28, exec_lo
	s_delay_alu instid0(VALU_DEP_2)
	v_cmpx_ne_u32_e32 0x7f, v1
	s_cbranch_execz .LBB6_13573
; %bb.13572:                            ;   in Loop: Header=BB6_13467 Depth=2
	v_dual_lshrrev_b32 v2, 3, v1 :: v_dual_bitop2_b32 v0, 7, v11 bitop3:0x40
	v_cmp_gt_u32_e32 vcc_lo, 8, v1
	s_delay_alu instid0(VALU_DEP_2) | instskip(NEXT) | instid1(VALU_DEP_1)
	v_clz_i32_u32_e32 v0, v0
	v_min_u32_e32 v0, 32, v0
	s_delay_alu instid0(VALU_DEP_1) | instskip(SKIP_1) | instid1(VALU_DEP_1)
	v_subrev_nc_u32_e32 v3, 28, v0
	v_sub_nc_u32_e32 v0, 29, v0
	v_dual_cndmask_b32 v2, v2, v0, vcc_lo :: v_dual_cndmask_b32 v0, 0, v3, vcc_lo
	s_delay_alu instid0(VALU_DEP_1) | instskip(NEXT) | instid1(VALU_DEP_2)
	v_lshl_add_u32 v2, v2, 23, 0x3c000000
	v_lshlrev_b64_e32 v[0:1], v0, v[54:55]
	v_lshlrev_b32_e32 v1, 24, v54
	s_delay_alu instid0(VALU_DEP_1) | instskip(NEXT) | instid1(VALU_DEP_3)
	v_and_b32_e32 v1, 0x80000000, v1
	v_lshlrev_b32_e32 v0, 20, v0
	s_delay_alu instid0(VALU_DEP_1) | instskip(NEXT) | instid1(VALU_DEP_1)
	v_and_b32_e32 v0, 0x700000, v0
	v_or3_b32 v0, v0, v1, v2
.LBB6_13573:                            ;   in Loop: Header=BB6_13467 Depth=2
	s_or_b32 exec_lo, exec_lo, s28
.LBB6_13574:                            ;   in Loop: Header=BB6_13467 Depth=2
	s_delay_alu instid0(SALU_CYCLE_1)
	s_or_b32 exec_lo, exec_lo, s27
.LBB6_13575:                            ;   in Loop: Header=BB6_13467 Depth=2
	s_delay_alu instid0(SALU_CYCLE_1) | instskip(NEXT) | instid1(VALU_DEP_1)
	s_or_b32 exec_lo, exec_lo, s10
	v_dual_mul_f32 v1, s26, v0 :: v_dual_mov_b32 v3, v55
	s_delay_alu instid0(VALU_DEP_1) | instskip(SKIP_1) | instid1(VALU_DEP_2)
	v_and_b32_e32 v2, 0x7f800000, v1
	v_lshrrev_b32_e32 v0, 24, v1
	v_cmp_ne_u64_e32 vcc_lo, 0x7f800000, v[2:3]
                                        ; implicit-def: $vgpr2
                                        ; kill: killed $vgpr2
	s_and_saveexec_b32 s10, vcc_lo
	s_delay_alu instid0(SALU_CYCLE_1)
	s_xor_b32 s27, exec_lo, s10
	s_cbranch_execz .LBB6_13589
; %bb.13576:                            ;   in Loop: Header=BB6_13467 Depth=2
	v_and_b32_e32 v2, 0x7fffffff, v1
	v_mov_b32_e32 v3, v55
	v_and_b32_e32 v0, 0x80, v0
	s_delay_alu instid0(VALU_DEP_2) | instskip(SKIP_1) | instid1(SALU_CYCLE_1)
	v_cmp_gt_u64_e32 vcc_lo, 0x43e00001, v[2:3]
                                        ; implicit-def: $vgpr2
                                        ; kill: killed $vgpr2
	s_and_saveexec_b32 s10, vcc_lo
	s_xor_b32 s28, exec_lo, s10
	s_cbranch_execz .LBB6_13586
; %bb.13577:                            ;   in Loop: Header=BB6_13467 Depth=2
	v_mov_b32_e32 v2, 0
	s_mov_b32 s29, exec_lo
	scratch_store_b32 off, v2, s33 offset:240 ; 4-byte Folded Spill
	s_wait_xcnt 0x0
	v_cmpx_ne_u32_e32 0, v1
	s_cbranch_execz .LBB6_13585
; %bb.13578:                            ;   in Loop: Header=BB6_13467 Depth=2
	v_bfe_u32 v2, v1, 23, 8
	v_and_b32_e32 v1, 0x7fffff, v1
	s_mov_b32 s40, exec_lo
	v_mov_b32_e32 v7, v55
	s_delay_alu instid0(VALU_DEP_3) | instskip(NEXT) | instid1(VALU_DEP_3)
	v_cmp_gt_u32_e32 vcc_lo, 0x7a, v2
	v_or_b32_e32 v6, 0x800000, v1
	v_sub_nc_u32_e32 v3, 0x79, v2
	s_delay_alu instid0(VALU_DEP_1) | instskip(SKIP_1) | instid1(VALU_DEP_2)
	v_cndmask_b32_e32 v3, 0, v3, vcc_lo
	v_cmp_eq_u32_e32 vcc_lo, 0, v2
	v_cndmask_b32_e64 v3, v3, 0x78, vcc_lo
	s_delay_alu instid0(VALU_DEP_1) | instskip(SKIP_1) | instid1(VALU_DEP_2)
	v_dual_cndmask_b32 v6, v6, v1, vcc_lo :: v_dual_add_nc_u32 v4, 20, v3
	v_add_nc_u32_e32 v8, 19, v3
	v_lshrrev_b64 v[16:17], v3, v[6:7]
	s_delay_alu instid0(VALU_DEP_3) | instskip(NEXT) | instid1(VALU_DEP_3)
	v_lshlrev_b64_e64 v[4:5], v4, -1
	v_lshlrev_b64_e64 v[8:9], v8, 1
	s_delay_alu instid0(VALU_DEP_3) | instskip(NEXT) | instid1(VALU_DEP_3)
	v_mov_b64_e32 v[18:19], v[16:17]
	v_bfi_b32 v5, v5, 0, 0
	s_delay_alu instid0(VALU_DEP_4) | instskip(NEXT) | instid1(VALU_DEP_1)
	v_bfi_b32 v4, v4, 0, v6
	v_cmpx_eq_u64_e64 v[4:5], v[8:9]
; %bb.13579:                            ;   in Loop: Header=BB6_13467 Depth=2
	v_bfe_u32 v4, v16, 20, 1
	v_mov_b32_e32 v5, v55
	s_delay_alu instid0(VALU_DEP_1) | instskip(NEXT) | instid1(VALU_DEP_1)
	v_add_nc_u64_e32 v[4:5], v[16:17], v[4:5]
	v_add_nc_u64_e32 v[18:19], -1, v[4:5]
; %bb.13580:                            ;   in Loop: Header=BB6_13467 Depth=2
	s_or_b32 exec_lo, exec_lo, s40
	v_add_nc_u32_e32 v1, 0xffffff81, v2
	v_lshrrev_b32_e32 v2, 23, v16
	s_mov_b32 s10, exec_lo
	v_mov_b32_e32 v17, v55
	s_delay_alu instid0(VALU_DEP_3) | instskip(NEXT) | instid1(VALU_DEP_1)
	v_cndmask_b32_e64 v1, v1, 0xffffff82, vcc_lo
	v_add3_u32 v2, v3, v1, v2
	v_and_b32_e32 v1, 0xfffff, v18
	s_delay_alu instid0(VALU_DEP_1) | instskip(NEXT) | instid1(VALU_DEP_1)
	v_dual_add_nc_u32 v3, 6, v2 :: v_dual_add_nc_u32 v16, v1, v16
                                        ; implicit-def: $vgpr1
	v_cmpx_ne_u32_e32 0, v3
	s_xor_b32 s10, exec_lo, s10
; %bb.13581:                            ;   in Loop: Header=BB6_13467 Depth=2
	s_delay_alu instid0(VALU_DEP_2) | instskip(SKIP_2) | instid1(VALU_DEP_2)
	v_cmp_lt_u64_e32 vcc_lo, 0xffffff, v[16:17]
	v_add_nc_u32_e32 v1, 7, v2
	v_cndmask_b32_e64 v2, 0, 1, vcc_lo
	v_cndmask_b32_e32 v1, v3, v1, vcc_lo
	s_delay_alu instid0(VALU_DEP_2)
	v_lshrrev_b64 v[16:17], v2, v[16:17]
; %bb.13582:                            ;   in Loop: Header=BB6_13467 Depth=2
	s_and_not1_saveexec_b32 s10, s10
; %bb.13583:                            ;   in Loop: Header=BB6_13467 Depth=2
	s_delay_alu instid0(VALU_DEP_1)
	v_bfe_u32 v1, v16, 23, 1
; %bb.13584:                            ;   in Loop: Header=BB6_13467 Depth=2
	s_or_b32 exec_lo, exec_lo, s10
	s_delay_alu instid0(VALU_DEP_2) | instskip(NEXT) | instid1(VALU_DEP_2)
	v_lshrrev_b64 v[2:3], 20, v[16:17]
	v_cmp_gt_i32_e32 vcc_lo, 16, v1
	v_min_i32_e32 v4, 15, v1
	v_cmp_eq_u32_e64 s10, 0, v1
	s_delay_alu instid0(VALU_DEP_2) | instskip(SKIP_1) | instid1(VALU_DEP_2)
	v_dual_cndmask_b32 v3, 0, v3 :: v_dual_lshlrev_b32 v4, 3, v4
	v_cndmask_b32_e32 v2, 7, v2, vcc_lo
	v_and_b32_e32 v4, 0xf8, v4
	s_delay_alu instid0(VALU_DEP_2) | instskip(NEXT) | instid1(VALU_DEP_2)
	v_cmp_eq_u64_e32 vcc_lo, 0, v[2:3]
	v_and_or_b32 v1, v2, 7, v4
	s_and_b32 s10, s10, vcc_lo
	s_delay_alu instid0(VALU_DEP_1) | instid1(SALU_CYCLE_1)
	v_cndmask_b32_e64 v1, v1, 0, s10
	s_delay_alu instid0(VALU_DEP_1)
	v_or_b32_e32 v0, v1, v0
	scratch_store_b32 off, v0, s33 offset:240 ; 4-byte Folded Spill
.LBB6_13585:                            ;   in Loop: Header=BB6_13467 Depth=2
	s_wait_xcnt 0x0
	s_or_b32 exec_lo, exec_lo, s29
                                        ; implicit-def: $vgpr0
.LBB6_13586:                            ;   in Loop: Header=BB6_13467 Depth=2
	s_and_not1_saveexec_b32 s10, s28
	s_cbranch_execz .LBB6_13588
; %bb.13587:                            ;   in Loop: Header=BB6_13467 Depth=2
	v_or_b32_e32 v0, 0x7e, v0
	scratch_store_b32 off, v0, s33 offset:240 ; 4-byte Folded Spill
.LBB6_13588:                            ;   in Loop: Header=BB6_13467 Depth=2
	s_wait_xcnt 0x0
	s_or_b32 exec_lo, exec_lo, s10
                                        ; implicit-def: $vgpr0
.LBB6_13589:                            ;   in Loop: Header=BB6_13467 Depth=2
	s_and_not1_saveexec_b32 s10, s27
	s_cbranch_execz .LBB6_13591
; %bb.13590:                            ;   in Loop: Header=BB6_13467 Depth=2
	v_or_b32_e32 v0, 0x7f, v0
	scratch_store_b32 off, v0, s33 offset:240 ; 4-byte Folded Spill
.LBB6_13591:                            ;   in Loop: Header=BB6_13467 Depth=2
	s_wait_xcnt 0x0
	s_or_b32 exec_lo, exec_lo, s10
	v_lshrrev_b16 v1, 8, v54
	v_mov_b32_e32 v0, 0
	s_mov_b32 s10, exec_lo
	s_delay_alu instid0(VALU_DEP_2)
	v_cmpx_ne_u16_e32 0, v1
	s_cbranch_execz .LBB6_13599
; %bb.13592:                            ;   in Loop: Header=BB6_13467 Depth=2
	v_bfrev_b32_e32 v0, 1
	s_mov_b32 s27, exec_lo
	v_cmpx_ne_u16_e32 0x80, v1
	s_cbranch_execz .LBB6_13598
; %bb.13593:                            ;   in Loop: Header=BB6_13467 Depth=2
	v_and_b32_e32 v2, 0xffff, v1
	v_mov_b32_e32 v0, 0x7f800001
	s_mov_b32 s28, exec_lo
	s_delay_alu instid0(VALU_DEP_2) | instskip(NEXT) | instid1(VALU_DEP_1)
	v_and_b32_e32 v1, 0x7f, v2
	v_cmpx_ne_u32_e32 0x7f, v1
	s_cbranch_execz .LBB6_13597
; %bb.13594:                            ;   in Loop: Header=BB6_13467 Depth=2
	v_dual_mov_b32 v17, v55 :: v_dual_bitop2_b32 v16, 7, v2 bitop3:0x40
	v_lshrrev_b32_e32 v0, 3, v1
	s_mov_b32 s29, exec_lo
	v_cmpx_gt_u32_e32 8, v1
; %bb.13595:                            ;   in Loop: Header=BB6_13467 Depth=2
	s_delay_alu instid0(VALU_DEP_3) | instskip(NEXT) | instid1(VALU_DEP_1)
	v_clz_i32_u32_e32 v0, v16
	v_min_u32_e32 v0, 32, v0
	s_delay_alu instid0(VALU_DEP_1) | instskip(NEXT) | instid1(VALU_DEP_1)
	v_subrev_nc_u32_e32 v1, 28, v0
	v_lshlrev_b64_e32 v[2:3], v1, v[16:17]
	s_delay_alu instid0(VALU_DEP_1)
	v_dual_sub_nc_u32 v0, 29, v0 :: v_dual_bitop2_b32 v16, 7, v2 bitop3:0x40
; %bb.13596:                            ;   in Loop: Header=BB6_13467 Depth=2
	s_or_b32 exec_lo, exec_lo, s29
	s_delay_alu instid0(VALU_DEP_1) | instskip(NEXT) | instid1(VALU_DEP_2)
	v_dual_lshlrev_b32 v1, 16, v54 :: v_dual_lshlrev_b32 v2, 20, v16
	v_lshl_add_u32 v0, v0, 23, 0x3c000000
	s_delay_alu instid0(VALU_DEP_2) | instskip(NEXT) | instid1(VALU_DEP_1)
	v_and_b32_e32 v1, 0x80000000, v1
	v_or3_b32 v0, v2, v1, v0
.LBB6_13597:                            ;   in Loop: Header=BB6_13467 Depth=2
	s_or_b32 exec_lo, exec_lo, s28
.LBB6_13598:                            ;   in Loop: Header=BB6_13467 Depth=2
	s_delay_alu instid0(SALU_CYCLE_1)
	s_or_b32 exec_lo, exec_lo, s27
.LBB6_13599:                            ;   in Loop: Header=BB6_13467 Depth=2
	s_delay_alu instid0(SALU_CYCLE_1) | instskip(NEXT) | instid1(VALU_DEP_1)
	s_or_b32 exec_lo, exec_lo, s10
	v_mul_f32_e32 v1, s26, v0
                                        ; implicit-def: $vgpr2
                                        ; kill: killed $vgpr2
	s_mov_b32 s10, exec_lo
	s_delay_alu instid0(VALU_DEP_1) | instskip(SKIP_1) | instid1(VALU_DEP_2)
	v_and_b32_e32 v54, 0x7f800000, v1
	v_lshrrev_b32_e32 v0, 24, v1
	v_cmpx_ne_u64_e32 0x7f800000, v[54:55]
	s_xor_b32 s27, exec_lo, s10
	s_cbranch_execz .LBB6_13613
; %bb.13600:                            ;   in Loop: Header=BB6_13467 Depth=2
	v_and_b32_e32 v54, 0x7fffffff, v1
	v_and_b32_e32 v0, 0x80, v0
                                        ; implicit-def: $vgpr2
                                        ; kill: killed $vgpr2
	s_mov_b32 s10, exec_lo
	s_delay_alu instid0(VALU_DEP_2)
	v_cmpx_gt_u64_e32 0x43e00001, v[54:55]
	s_xor_b32 s28, exec_lo, s10
	s_cbranch_execz .LBB6_13610
; %bb.13601:                            ;   in Loop: Header=BB6_13467 Depth=2
	v_mov_b32_e32 v2, 0
	s_mov_b32 s29, exec_lo
	scratch_store_b32 off, v2, s33 offset:244 ; 4-byte Folded Spill
	s_wait_xcnt 0x0
	v_cmpx_ne_u32_e32 0, v1
	s_cbranch_execz .LBB6_13609
; %bb.13602:                            ;   in Loop: Header=BB6_13467 Depth=2
	v_bfe_u32 v2, v1, 23, 8
	v_and_b32_e32 v1, 0x7fffff, v1
	s_mov_b32 s40, exec_lo
	s_delay_alu instid0(VALU_DEP_2) | instskip(NEXT) | instid1(VALU_DEP_2)
	v_cmp_gt_u32_e32 vcc_lo, 0x7a, v2
	v_or_b32_e32 v6, 0x800000, v1
	v_sub_nc_u32_e32 v3, 0x79, v2
	s_delay_alu instid0(VALU_DEP_1) | instskip(SKIP_1) | instid1(VALU_DEP_2)
	v_cndmask_b32_e32 v3, 0, v3, vcc_lo
	v_cmp_eq_u32_e32 vcc_lo, 0, v2
	v_cndmask_b32_e64 v3, v3, 0x78, vcc_lo
	s_delay_alu instid0(VALU_DEP_1) | instskip(SKIP_1) | instid1(VALU_DEP_2)
	v_dual_cndmask_b32 v54, v6, v1, vcc_lo :: v_dual_add_nc_u32 v4, 20, v3
	v_add_nc_u32_e32 v7, 19, v3
	v_lshrrev_b64 v[16:17], v3, v[54:55]
	s_delay_alu instid0(VALU_DEP_3) | instskip(NEXT) | instid1(VALU_DEP_3)
	v_lshlrev_b64_e64 v[4:5], v4, -1
	v_lshlrev_b64_e64 v[6:7], v7, 1
	s_delay_alu instid0(VALU_DEP_3) | instskip(NEXT) | instid1(VALU_DEP_3)
	v_mov_b64_e32 v[18:19], v[16:17]
	v_bfi_b32 v5, v5, 0, 0
	s_delay_alu instid0(VALU_DEP_4) | instskip(NEXT) | instid1(VALU_DEP_1)
	v_bfi_b32 v4, v4, 0, v54
	v_cmpx_eq_u64_e64 v[4:5], v[6:7]
; %bb.13603:                            ;   in Loop: Header=BB6_13467 Depth=2
	v_bfe_u32 v54, v16, 20, 1
	s_delay_alu instid0(VALU_DEP_1) | instskip(NEXT) | instid1(VALU_DEP_1)
	v_add_nc_u64_e32 v[4:5], v[16:17], v[54:55]
	v_add_nc_u64_e32 v[18:19], -1, v[4:5]
; %bb.13604:                            ;   in Loop: Header=BB6_13467 Depth=2
	s_or_b32 exec_lo, exec_lo, s40
	v_add_nc_u32_e32 v1, 0xffffff81, v2
	v_lshrrev_b32_e32 v2, 23, v16
	s_mov_b32 s10, exec_lo
	s_delay_alu instid0(VALU_DEP_2) | instskip(NEXT) | instid1(VALU_DEP_1)
	v_cndmask_b32_e64 v1, v1, 0xffffff82, vcc_lo
	v_add3_u32 v2, v3, v1, v2
	v_and_b32_e32 v1, 0xfffff, v18
	s_delay_alu instid0(VALU_DEP_1) | instskip(NEXT) | instid1(VALU_DEP_1)
	v_dual_add_nc_u32 v3, 6, v2 :: v_dual_add_nc_u32 v54, v1, v16
                                        ; implicit-def: $vgpr16_vgpr17
                                        ; implicit-def: $vgpr1
	v_cmpx_ne_u32_e32 0, v3
	s_xor_b32 s10, exec_lo, s10
; %bb.13605:                            ;   in Loop: Header=BB6_13467 Depth=2
	s_delay_alu instid0(VALU_DEP_2) | instskip(SKIP_2) | instid1(VALU_DEP_2)
	v_cmp_lt_u64_e32 vcc_lo, 0xffffff, v[54:55]
	v_add_nc_u32_e32 v1, 7, v2
	v_cndmask_b32_e64 v2, 0, 1, vcc_lo
	v_cndmask_b32_e32 v1, v3, v1, vcc_lo
	s_delay_alu instid0(VALU_DEP_2)
	v_lshrrev_b64 v[16:17], v2, v[54:55]
; %bb.13606:                            ;   in Loop: Header=BB6_13467 Depth=2
	s_and_not1_saveexec_b32 s10, s10
; %bb.13607:                            ;   in Loop: Header=BB6_13467 Depth=2
	v_mov_b64_e32 v[16:17], v[54:55]
	v_bfe_u32 v1, v54, 23, 1
; %bb.13608:                            ;   in Loop: Header=BB6_13467 Depth=2
	s_or_b32 exec_lo, exec_lo, s10
	s_delay_alu instid0(VALU_DEP_2) | instskip(NEXT) | instid1(VALU_DEP_2)
	v_lshrrev_b64 v[2:3], 20, v[16:17]
	v_cmp_gt_i32_e32 vcc_lo, 16, v1
	v_min_i32_e32 v4, 15, v1
	v_cmp_eq_u32_e64 s10, 0, v1
	s_delay_alu instid0(VALU_DEP_2) | instskip(SKIP_1) | instid1(VALU_DEP_2)
	v_dual_cndmask_b32 v3, 0, v3 :: v_dual_lshlrev_b32 v4, 3, v4
	v_cndmask_b32_e32 v2, 7, v2, vcc_lo
	v_and_b32_e32 v4, 0xf8, v4
	s_delay_alu instid0(VALU_DEP_2) | instskip(NEXT) | instid1(VALU_DEP_2)
	v_cmp_eq_u64_e32 vcc_lo, 0, v[2:3]
	v_and_or_b32 v1, v2, 7, v4
	s_and_b32 s10, s10, vcc_lo
	s_delay_alu instid0(VALU_DEP_1) | instid1(SALU_CYCLE_1)
	v_cndmask_b32_e64 v1, v1, 0, s10
	s_delay_alu instid0(VALU_DEP_1)
	v_or_b32_e32 v0, v1, v0
	scratch_store_b32 off, v0, s33 offset:244 ; 4-byte Folded Spill
.LBB6_13609:                            ;   in Loop: Header=BB6_13467 Depth=2
	s_wait_xcnt 0x0
	s_or_b32 exec_lo, exec_lo, s29
                                        ; implicit-def: $vgpr0
.LBB6_13610:                            ;   in Loop: Header=BB6_13467 Depth=2
	s_and_not1_saveexec_b32 s10, s28
	s_cbranch_execz .LBB6_13612
; %bb.13611:                            ;   in Loop: Header=BB6_13467 Depth=2
	v_or_b32_e32 v0, 0x7e, v0
	scratch_store_b32 off, v0, s33 offset:244 ; 4-byte Folded Spill
.LBB6_13612:                            ;   in Loop: Header=BB6_13467 Depth=2
	s_wait_xcnt 0x0
	s_or_b32 exec_lo, exec_lo, s10
                                        ; implicit-def: $vgpr0
.LBB6_13613:                            ;   in Loop: Header=BB6_13467 Depth=2
	s_and_not1_saveexec_b32 s10, s27
	s_cbranch_execz .LBB6_13615
; %bb.13614:                            ;   in Loop: Header=BB6_13467 Depth=2
	v_or_b32_e32 v0, 0x7f, v0
	scratch_store_b32 off, v0, s33 offset:244 ; 4-byte Folded Spill
.LBB6_13615:                            ;   in Loop: Header=BB6_13467 Depth=2
	s_wait_xcnt 0x0
	s_or_b32 exec_lo, exec_lo, s10
	v_dual_mov_b32 v1, 0 :: v_dual_lshrrev_b32 v0, 16, v11
	s_mov_b32 s10, exec_lo
	s_delay_alu instid0(VALU_DEP_1) | instskip(NEXT) | instid1(VALU_DEP_1)
	v_and_b32_e32 v2, 0xff, v0
	v_cmpx_ne_u16_e32 0, v2
	s_cbranch_execz .LBB6_13623
; %bb.13616:                            ;   in Loop: Header=BB6_13467 Depth=2
	v_bfrev_b32_e32 v1, 1
	s_mov_b32 s27, exec_lo
	v_cmpx_ne_u16_e32 0x80, v2
	s_cbranch_execz .LBB6_13622
; %bb.13617:                            ;   in Loop: Header=BB6_13467 Depth=2
	v_bfe_u32 v2, v11, 16, 7
	v_mov_b32_e32 v1, 0x7f800001
	s_mov_b32 s28, exec_lo
	s_delay_alu instid0(VALU_DEP_2)
	v_cmpx_ne_u32_e32 0x7f, v2
	s_cbranch_execz .LBB6_13621
; %bb.13618:                            ;   in Loop: Header=BB6_13467 Depth=2
	v_dual_lshrrev_b32 v1, 3, v2 :: v_dual_bitop2_b32 v54, 7, v0 bitop3:0x40
	s_mov_b32 s29, exec_lo
	v_cmpx_gt_u32_e32 8, v2
; %bb.13619:                            ;   in Loop: Header=BB6_13467 Depth=2
	s_delay_alu instid0(VALU_DEP_2) | instskip(NEXT) | instid1(VALU_DEP_1)
	v_clz_i32_u32_e32 v1, v54
	v_min_u32_e32 v1, 32, v1
	s_delay_alu instid0(VALU_DEP_1) | instskip(NEXT) | instid1(VALU_DEP_1)
	v_subrev_nc_u32_e32 v2, 28, v1
	v_lshlrev_b64_e32 v[2:3], v2, v[54:55]
	s_delay_alu instid0(VALU_DEP_1)
	v_dual_sub_nc_u32 v1, 29, v1 :: v_dual_bitop2_b32 v54, 7, v2 bitop3:0x40
; %bb.13620:                            ;   in Loop: Header=BB6_13467 Depth=2
	s_or_b32 exec_lo, exec_lo, s29
	s_delay_alu instid0(VALU_DEP_1) | instskip(NEXT) | instid1(VALU_DEP_2)
	v_dual_lshlrev_b32 v0, 24, v0 :: v_dual_lshlrev_b32 v2, 20, v54
	v_lshl_add_u32 v1, v1, 23, 0x3c000000
	s_delay_alu instid0(VALU_DEP_2) | instskip(NEXT) | instid1(VALU_DEP_1)
	v_and_b32_e32 v0, 0x80000000, v0
	v_or3_b32 v1, v2, v0, v1
.LBB6_13621:                            ;   in Loop: Header=BB6_13467 Depth=2
	s_or_b32 exec_lo, exec_lo, s28
.LBB6_13622:                            ;   in Loop: Header=BB6_13467 Depth=2
	s_delay_alu instid0(SALU_CYCLE_1)
	s_or_b32 exec_lo, exec_lo, s27
.LBB6_13623:                            ;   in Loop: Header=BB6_13467 Depth=2
	s_delay_alu instid0(SALU_CYCLE_1) | instskip(NEXT) | instid1(VALU_DEP_1)
	s_or_b32 exec_lo, exec_lo, s10
	v_mul_f32_e32 v1, s26, v1
                                        ; implicit-def: $vgpr2
                                        ; kill: killed $vgpr2
	s_mov_b32 s10, exec_lo
	s_delay_alu instid0(VALU_DEP_1) | instskip(SKIP_1) | instid1(VALU_DEP_2)
	v_and_b32_e32 v54, 0x7f800000, v1
	v_lshrrev_b32_e32 v0, 24, v1
	v_cmpx_ne_u64_e32 0x7f800000, v[54:55]
	s_xor_b32 s27, exec_lo, s10
	s_cbranch_execz .LBB6_13637
; %bb.13624:                            ;   in Loop: Header=BB6_13467 Depth=2
	v_and_b32_e32 v54, 0x7fffffff, v1
	v_and_b32_e32 v0, 0x80, v0
                                        ; implicit-def: $vgpr2
                                        ; kill: killed $vgpr2
	s_mov_b32 s10, exec_lo
	s_delay_alu instid0(VALU_DEP_2)
	v_cmpx_gt_u64_e32 0x43e00001, v[54:55]
	s_xor_b32 s28, exec_lo, s10
	s_cbranch_execz .LBB6_13634
; %bb.13625:                            ;   in Loop: Header=BB6_13467 Depth=2
	v_mov_b32_e32 v2, 0
	s_mov_b32 s29, exec_lo
	scratch_store_b32 off, v2, s33 offset:248 ; 4-byte Folded Spill
	s_wait_xcnt 0x0
	v_cmpx_ne_u32_e32 0, v1
	s_cbranch_execz .LBB6_13633
; %bb.13626:                            ;   in Loop: Header=BB6_13467 Depth=2
	v_bfe_u32 v2, v1, 23, 8
	v_and_b32_e32 v1, 0x7fffff, v1
	s_mov_b32 s40, exec_lo
	s_delay_alu instid0(VALU_DEP_2) | instskip(NEXT) | instid1(VALU_DEP_2)
	v_cmp_gt_u32_e32 vcc_lo, 0x7a, v2
	v_or_b32_e32 v6, 0x800000, v1
	v_sub_nc_u32_e32 v3, 0x79, v2
	s_delay_alu instid0(VALU_DEP_1) | instskip(SKIP_1) | instid1(VALU_DEP_2)
	v_cndmask_b32_e32 v3, 0, v3, vcc_lo
	v_cmp_eq_u32_e32 vcc_lo, 0, v2
	v_cndmask_b32_e64 v3, v3, 0x78, vcc_lo
	s_delay_alu instid0(VALU_DEP_1) | instskip(SKIP_1) | instid1(VALU_DEP_2)
	v_dual_cndmask_b32 v54, v6, v1, vcc_lo :: v_dual_add_nc_u32 v4, 20, v3
	v_add_nc_u32_e32 v7, 19, v3
	v_lshrrev_b64 v[16:17], v3, v[54:55]
	s_delay_alu instid0(VALU_DEP_3) | instskip(NEXT) | instid1(VALU_DEP_3)
	v_lshlrev_b64_e64 v[4:5], v4, -1
	v_lshlrev_b64_e64 v[6:7], v7, 1
	s_delay_alu instid0(VALU_DEP_3) | instskip(NEXT) | instid1(VALU_DEP_3)
	v_mov_b64_e32 v[18:19], v[16:17]
	v_bfi_b32 v5, v5, 0, 0
	s_delay_alu instid0(VALU_DEP_4) | instskip(NEXT) | instid1(VALU_DEP_1)
	v_bfi_b32 v4, v4, 0, v54
	v_cmpx_eq_u64_e64 v[4:5], v[6:7]
; %bb.13627:                            ;   in Loop: Header=BB6_13467 Depth=2
	v_bfe_u32 v54, v16, 20, 1
	s_delay_alu instid0(VALU_DEP_1) | instskip(NEXT) | instid1(VALU_DEP_1)
	v_add_nc_u64_e32 v[4:5], v[16:17], v[54:55]
	v_add_nc_u64_e32 v[18:19], -1, v[4:5]
; %bb.13628:                            ;   in Loop: Header=BB6_13467 Depth=2
	s_or_b32 exec_lo, exec_lo, s40
	v_add_nc_u32_e32 v1, 0xffffff81, v2
	v_lshrrev_b32_e32 v2, 23, v16
	s_mov_b32 s10, exec_lo
	s_delay_alu instid0(VALU_DEP_2) | instskip(NEXT) | instid1(VALU_DEP_1)
	v_cndmask_b32_e64 v1, v1, 0xffffff82, vcc_lo
	v_add3_u32 v2, v3, v1, v2
	v_and_b32_e32 v1, 0xfffff, v18
	s_delay_alu instid0(VALU_DEP_1) | instskip(NEXT) | instid1(VALU_DEP_1)
	v_dual_add_nc_u32 v3, 6, v2 :: v_dual_add_nc_u32 v54, v1, v16
                                        ; implicit-def: $vgpr16_vgpr17
                                        ; implicit-def: $vgpr1
	v_cmpx_ne_u32_e32 0, v3
	s_xor_b32 s10, exec_lo, s10
; %bb.13629:                            ;   in Loop: Header=BB6_13467 Depth=2
	s_delay_alu instid0(VALU_DEP_2) | instskip(SKIP_2) | instid1(VALU_DEP_2)
	v_cmp_lt_u64_e32 vcc_lo, 0xffffff, v[54:55]
	v_add_nc_u32_e32 v1, 7, v2
	v_cndmask_b32_e64 v2, 0, 1, vcc_lo
	v_cndmask_b32_e32 v1, v3, v1, vcc_lo
	s_delay_alu instid0(VALU_DEP_2)
	v_lshrrev_b64 v[16:17], v2, v[54:55]
; %bb.13630:                            ;   in Loop: Header=BB6_13467 Depth=2
	s_and_not1_saveexec_b32 s10, s10
; %bb.13631:                            ;   in Loop: Header=BB6_13467 Depth=2
	v_mov_b64_e32 v[16:17], v[54:55]
	v_bfe_u32 v1, v54, 23, 1
; %bb.13632:                            ;   in Loop: Header=BB6_13467 Depth=2
	s_or_b32 exec_lo, exec_lo, s10
	s_delay_alu instid0(VALU_DEP_2) | instskip(NEXT) | instid1(VALU_DEP_2)
	v_lshrrev_b64 v[2:3], 20, v[16:17]
	v_cmp_gt_i32_e32 vcc_lo, 16, v1
	v_min_i32_e32 v4, 15, v1
	v_cmp_eq_u32_e64 s10, 0, v1
	s_delay_alu instid0(VALU_DEP_2) | instskip(SKIP_1) | instid1(VALU_DEP_2)
	v_dual_cndmask_b32 v3, 0, v3 :: v_dual_lshlrev_b32 v4, 3, v4
	v_cndmask_b32_e32 v2, 7, v2, vcc_lo
	v_and_b32_e32 v4, 0xf8, v4
	s_delay_alu instid0(VALU_DEP_2) | instskip(NEXT) | instid1(VALU_DEP_2)
	v_cmp_eq_u64_e32 vcc_lo, 0, v[2:3]
	v_and_or_b32 v1, v2, 7, v4
	s_and_b32 s10, s10, vcc_lo
	s_delay_alu instid0(VALU_DEP_1) | instid1(SALU_CYCLE_1)
	v_cndmask_b32_e64 v1, v1, 0, s10
	s_delay_alu instid0(VALU_DEP_1)
	v_or_b32_e32 v0, v1, v0
	scratch_store_b32 off, v0, s33 offset:248 ; 4-byte Folded Spill
.LBB6_13633:                            ;   in Loop: Header=BB6_13467 Depth=2
	s_wait_xcnt 0x0
	s_or_b32 exec_lo, exec_lo, s29
                                        ; implicit-def: $vgpr0
.LBB6_13634:                            ;   in Loop: Header=BB6_13467 Depth=2
	s_and_not1_saveexec_b32 s10, s28
	s_cbranch_execz .LBB6_13636
; %bb.13635:                            ;   in Loop: Header=BB6_13467 Depth=2
	v_or_b32_e32 v0, 0x7e, v0
	scratch_store_b32 off, v0, s33 offset:248 ; 4-byte Folded Spill
.LBB6_13636:                            ;   in Loop: Header=BB6_13467 Depth=2
	s_wait_xcnt 0x0
	s_or_b32 exec_lo, exec_lo, s10
                                        ; implicit-def: $vgpr0
.LBB6_13637:                            ;   in Loop: Header=BB6_13467 Depth=2
	s_and_not1_saveexec_b32 s10, s27
	s_cbranch_execz .LBB6_13639
; %bb.13638:                            ;   in Loop: Header=BB6_13467 Depth=2
	v_or_b32_e32 v0, 0x7f, v0
	scratch_store_b32 off, v0, s33 offset:248 ; 4-byte Folded Spill
.LBB6_13639:                            ;   in Loop: Header=BB6_13467 Depth=2
	s_wait_xcnt 0x0
	s_or_b32 exec_lo, exec_lo, s10
	v_mov_b32_e32 v1, 0
	s_mov_b32 s10, exec_lo
	v_cmpx_lt_u64_e64 s[12:13], v[10:11]
	s_cbranch_execz .LBB6_13647
; %bb.13640:                            ;   in Loop: Header=BB6_13467 Depth=2
	v_lshrrev_b32_e32 v0, 24, v11
	v_bfrev_b32_e32 v1, 1
	s_mov_b32 s27, exec_lo
	s_delay_alu instid0(VALU_DEP_2)
	v_cmpx_ne_u32_e32 0x80, v0
	s_cbranch_execz .LBB6_13646
; %bb.13641:                            ;   in Loop: Header=BB6_13467 Depth=2
	v_bfe_u32 v2, v11, 24, 7
	v_mov_b32_e32 v1, 0x7f800001
	s_mov_b32 s28, exec_lo
	s_delay_alu instid0(VALU_DEP_2)
	v_cmpx_ne_u32_e32 0x7f, v2
	s_cbranch_execz .LBB6_13645
; %bb.13642:                            ;   in Loop: Header=BB6_13467 Depth=2
	v_dual_lshrrev_b32 v1, 3, v2 :: v_dual_bitop2_b32 v54, 7, v0 bitop3:0x40
	s_mov_b32 s29, exec_lo
	v_cmpx_gt_u32_e32 8, v2
; %bb.13643:                            ;   in Loop: Header=BB6_13467 Depth=2
	s_delay_alu instid0(VALU_DEP_2) | instskip(NEXT) | instid1(VALU_DEP_1)
	v_clz_i32_u32_e32 v1, v54
	v_min_u32_e32 v1, 32, v1
	s_delay_alu instid0(VALU_DEP_1) | instskip(NEXT) | instid1(VALU_DEP_1)
	v_subrev_nc_u32_e32 v2, 28, v1
	v_lshlrev_b64_e32 v[2:3], v2, v[54:55]
	s_delay_alu instid0(VALU_DEP_1)
	v_dual_sub_nc_u32 v1, 29, v1 :: v_dual_bitop2_b32 v54, 7, v2 bitop3:0x40
; %bb.13644:                            ;   in Loop: Header=BB6_13467 Depth=2
	s_or_b32 exec_lo, exec_lo, s29
	s_delay_alu instid0(VALU_DEP_1) | instskip(NEXT) | instid1(VALU_DEP_2)
	v_dual_lshlrev_b32 v0, 24, v0 :: v_dual_lshlrev_b32 v2, 20, v54
	v_lshl_add_u32 v1, v1, 23, 0x3c000000
	s_delay_alu instid0(VALU_DEP_2) | instskip(NEXT) | instid1(VALU_DEP_1)
	v_and_b32_e32 v0, 0x80000000, v0
	v_or3_b32 v1, v2, v0, v1
.LBB6_13645:                            ;   in Loop: Header=BB6_13467 Depth=2
	s_or_b32 exec_lo, exec_lo, s28
.LBB6_13646:                            ;   in Loop: Header=BB6_13467 Depth=2
	s_delay_alu instid0(SALU_CYCLE_1)
	s_or_b32 exec_lo, exec_lo, s27
.LBB6_13647:                            ;   in Loop: Header=BB6_13467 Depth=2
	s_delay_alu instid0(SALU_CYCLE_1) | instskip(NEXT) | instid1(VALU_DEP_1)
	s_or_b32 exec_lo, exec_lo, s10
	v_mul_f32_e32 v1, s26, v1
                                        ; implicit-def: $vgpr2
                                        ; kill: killed $vgpr2
	s_mov_b32 s10, exec_lo
	s_delay_alu instid0(VALU_DEP_1) | instskip(SKIP_1) | instid1(VALU_DEP_2)
	v_and_b32_e32 v54, 0x7f800000, v1
	v_lshrrev_b32_e32 v0, 24, v1
	v_cmpx_ne_u64_e32 0x7f800000, v[54:55]
	s_xor_b32 s27, exec_lo, s10
	s_cbranch_execz .LBB6_13661
; %bb.13648:                            ;   in Loop: Header=BB6_13467 Depth=2
	v_and_b32_e32 v54, 0x7fffffff, v1
	v_and_b32_e32 v0, 0x80, v0
                                        ; implicit-def: $vgpr2
                                        ; kill: killed $vgpr2
	s_mov_b32 s10, exec_lo
	s_delay_alu instid0(VALU_DEP_2)
	v_cmpx_gt_u64_e32 0x43e00001, v[54:55]
	s_xor_b32 s28, exec_lo, s10
	s_cbranch_execz .LBB6_13658
; %bb.13649:                            ;   in Loop: Header=BB6_13467 Depth=2
	v_mov_b32_e32 v2, 0
	s_mov_b32 s29, exec_lo
	scratch_store_b32 off, v2, s33 offset:252 ; 4-byte Folded Spill
	s_wait_xcnt 0x0
	v_cmpx_ne_u32_e32 0, v1
	s_cbranch_execz .LBB6_13657
; %bb.13650:                            ;   in Loop: Header=BB6_13467 Depth=2
	v_bfe_u32 v2, v1, 23, 8
	v_and_b32_e32 v1, 0x7fffff, v1
	s_mov_b32 s40, exec_lo
	s_delay_alu instid0(VALU_DEP_2) | instskip(NEXT) | instid1(VALU_DEP_2)
	v_cmp_gt_u32_e32 vcc_lo, 0x7a, v2
	v_or_b32_e32 v6, 0x800000, v1
	v_sub_nc_u32_e32 v3, 0x79, v2
	s_delay_alu instid0(VALU_DEP_1) | instskip(SKIP_1) | instid1(VALU_DEP_2)
	v_cndmask_b32_e32 v3, 0, v3, vcc_lo
	v_cmp_eq_u32_e32 vcc_lo, 0, v2
	v_cndmask_b32_e64 v3, v3, 0x78, vcc_lo
	s_delay_alu instid0(VALU_DEP_1) | instskip(SKIP_1) | instid1(VALU_DEP_2)
	v_dual_cndmask_b32 v54, v6, v1, vcc_lo :: v_dual_add_nc_u32 v4, 20, v3
	v_add_nc_u32_e32 v7, 19, v3
	v_lshrrev_b64 v[10:11], v3, v[54:55]
	s_delay_alu instid0(VALU_DEP_3) | instskip(NEXT) | instid1(VALU_DEP_3)
	v_lshlrev_b64_e64 v[4:5], v4, -1
	v_lshlrev_b64_e64 v[6:7], v7, 1
	s_delay_alu instid0(VALU_DEP_3) | instskip(NEXT) | instid1(VALU_DEP_3)
	v_mov_b64_e32 v[16:17], v[10:11]
	v_bfi_b32 v5, v5, 0, 0
	s_delay_alu instid0(VALU_DEP_4) | instskip(NEXT) | instid1(VALU_DEP_1)
	v_bfi_b32 v4, v4, 0, v54
	v_cmpx_eq_u64_e64 v[4:5], v[6:7]
; %bb.13651:                            ;   in Loop: Header=BB6_13467 Depth=2
	v_bfe_u32 v54, v10, 20, 1
	s_delay_alu instid0(VALU_DEP_1) | instskip(NEXT) | instid1(VALU_DEP_1)
	v_add_nc_u64_e32 v[4:5], v[10:11], v[54:55]
	v_add_nc_u64_e32 v[16:17], -1, v[4:5]
; %bb.13652:                            ;   in Loop: Header=BB6_13467 Depth=2
	s_or_b32 exec_lo, exec_lo, s40
	v_add_nc_u32_e32 v1, 0xffffff81, v2
	v_lshrrev_b32_e32 v2, 23, v10
	s_mov_b32 s10, exec_lo
	s_delay_alu instid0(VALU_DEP_2) | instskip(NEXT) | instid1(VALU_DEP_1)
	v_cndmask_b32_e64 v1, v1, 0xffffff82, vcc_lo
	v_add3_u32 v2, v3, v1, v2
	v_and_b32_e32 v1, 0xfffff, v16
	s_delay_alu instid0(VALU_DEP_2) | instskip(NEXT) | instid1(VALU_DEP_2)
	v_add_nc_u32_e32 v3, 6, v2
	v_add_nc_u32_e32 v54, v1, v10
                                        ; implicit-def: $vgpr10_vgpr11
                                        ; implicit-def: $vgpr1
	s_delay_alu instid0(VALU_DEP_2)
	v_cmpx_ne_u32_e32 0, v3
	s_xor_b32 s10, exec_lo, s10
; %bb.13653:                            ;   in Loop: Header=BB6_13467 Depth=2
	s_delay_alu instid0(VALU_DEP_2) | instskip(SKIP_2) | instid1(VALU_DEP_2)
	v_cmp_lt_u64_e32 vcc_lo, 0xffffff, v[54:55]
	v_add_nc_u32_e32 v1, 7, v2
	v_cndmask_b32_e64 v2, 0, 1, vcc_lo
	v_cndmask_b32_e32 v1, v3, v1, vcc_lo
	s_delay_alu instid0(VALU_DEP_2)
	v_lshrrev_b64 v[10:11], v2, v[54:55]
; %bb.13654:                            ;   in Loop: Header=BB6_13467 Depth=2
	s_and_not1_saveexec_b32 s10, s10
; %bb.13655:                            ;   in Loop: Header=BB6_13467 Depth=2
	v_mov_b64_e32 v[10:11], v[54:55]
	v_bfe_u32 v1, v54, 23, 1
; %bb.13656:                            ;   in Loop: Header=BB6_13467 Depth=2
	s_or_b32 exec_lo, exec_lo, s10
	s_delay_alu instid0(VALU_DEP_2) | instskip(NEXT) | instid1(VALU_DEP_2)
	v_lshrrev_b64 v[2:3], 20, v[10:11]
	v_cmp_gt_i32_e32 vcc_lo, 16, v1
	v_min_i32_e32 v4, 15, v1
	v_cmp_eq_u32_e64 s10, 0, v1
	s_delay_alu instid0(VALU_DEP_2) | instskip(SKIP_1) | instid1(VALU_DEP_2)
	v_dual_cndmask_b32 v3, 0, v3 :: v_dual_lshlrev_b32 v4, 3, v4
	v_cndmask_b32_e32 v2, 7, v2, vcc_lo
	v_and_b32_e32 v4, 0xf8, v4
	s_delay_alu instid0(VALU_DEP_2) | instskip(NEXT) | instid1(VALU_DEP_2)
	v_cmp_eq_u64_e32 vcc_lo, 0, v[2:3]
	v_and_or_b32 v1, v2, 7, v4
	s_and_b32 s10, s10, vcc_lo
	s_delay_alu instid0(VALU_DEP_1) | instid1(SALU_CYCLE_1)
	v_cndmask_b32_e64 v1, v1, 0, s10
	s_delay_alu instid0(VALU_DEP_1)
	v_or_b32_e32 v0, v1, v0
	scratch_store_b32 off, v0, s33 offset:252 ; 4-byte Folded Spill
.LBB6_13657:                            ;   in Loop: Header=BB6_13467 Depth=2
	s_wait_xcnt 0x0
	s_or_b32 exec_lo, exec_lo, s29
                                        ; implicit-def: $vgpr0
.LBB6_13658:                            ;   in Loop: Header=BB6_13467 Depth=2
	s_and_not1_saveexec_b32 s10, s28
	s_cbranch_execz .LBB6_13660
; %bb.13659:                            ;   in Loop: Header=BB6_13467 Depth=2
	v_or_b32_e32 v0, 0x7e, v0
	scratch_store_b32 off, v0, s33 offset:252 ; 4-byte Folded Spill
.LBB6_13660:                            ;   in Loop: Header=BB6_13467 Depth=2
	s_wait_xcnt 0x0
	s_or_b32 exec_lo, exec_lo, s10
                                        ; implicit-def: $vgpr0
.LBB6_13661:                            ;   in Loop: Header=BB6_13467 Depth=2
	s_and_not1_saveexec_b32 s10, s27
	s_cbranch_execz .LBB6_13663
; %bb.13662:                            ;   in Loop: Header=BB6_13467 Depth=2
	v_or_b32_e32 v0, 0x7f, v0
	scratch_store_b32 off, v0, s33 offset:252 ; 4-byte Folded Spill
.LBB6_13663:                            ;   in Loop: Header=BB6_13467 Depth=2
	s_wait_xcnt 0x0
	s_or_b32 exec_lo, exec_lo, s10
	v_and_b32_e32 v1, 0xff, v12
	v_mov_b32_e32 v0, 0
	s_mov_b32 s10, exec_lo
	s_delay_alu instid0(VALU_DEP_2)
	v_cmpx_ne_u16_e32 0, v1
	s_cbranch_execz .LBB6_13669
; %bb.13664:                            ;   in Loop: Header=BB6_13467 Depth=2
	v_bfrev_b32_e32 v0, 1
	s_mov_b32 s27, exec_lo
	v_cmpx_ne_u16_e32 0x80, v1
	s_cbranch_execz .LBB6_13668
; %bb.13665:                            ;   in Loop: Header=BB6_13467 Depth=2
	v_and_b32_e32 v1, 0x7f, v12
	v_mov_b32_e32 v0, 0x7f800001
	s_mov_b32 s28, exec_lo
	s_delay_alu instid0(VALU_DEP_2)
	v_cmpx_ne_u32_e32 0x7f, v1
	s_cbranch_execz .LBB6_13667
; %bb.13666:                            ;   in Loop: Header=BB6_13467 Depth=2
	v_dual_lshrrev_b32 v2, 3, v1 :: v_dual_bitop2_b32 v0, 7, v12 bitop3:0x40
	v_cmp_gt_u32_e32 vcc_lo, 8, v1
	s_delay_alu instid0(VALU_DEP_2) | instskip(NEXT) | instid1(VALU_DEP_1)
	v_clz_i32_u32_e32 v0, v0
	v_min_u32_e32 v0, 32, v0
	s_delay_alu instid0(VALU_DEP_1) | instskip(SKIP_1) | instid1(VALU_DEP_1)
	v_subrev_nc_u32_e32 v3, 28, v0
	v_sub_nc_u32_e32 v0, 29, v0
	v_dual_cndmask_b32 v2, v2, v0, vcc_lo :: v_dual_cndmask_b32 v0, 0, v3, vcc_lo
	s_delay_alu instid0(VALU_DEP_1) | instskip(NEXT) | instid1(VALU_DEP_2)
	v_lshl_add_u32 v2, v2, 23, 0x3c000000
	v_lshlrev_b64_e32 v[0:1], v0, v[12:13]
	v_lshlrev_b32_e32 v1, 24, v12
	s_delay_alu instid0(VALU_DEP_1) | instskip(NEXT) | instid1(VALU_DEP_3)
	v_and_b32_e32 v1, 0x80000000, v1
	v_lshlrev_b32_e32 v0, 20, v0
	s_delay_alu instid0(VALU_DEP_1) | instskip(NEXT) | instid1(VALU_DEP_1)
	v_and_b32_e32 v0, 0x700000, v0
	v_or3_b32 v0, v0, v1, v2
.LBB6_13667:                            ;   in Loop: Header=BB6_13467 Depth=2
	s_or_b32 exec_lo, exec_lo, s28
.LBB6_13668:                            ;   in Loop: Header=BB6_13467 Depth=2
	s_delay_alu instid0(SALU_CYCLE_1)
	s_or_b32 exec_lo, exec_lo, s27
.LBB6_13669:                            ;   in Loop: Header=BB6_13467 Depth=2
	s_delay_alu instid0(SALU_CYCLE_1) | instskip(NEXT) | instid1(VALU_DEP_1)
	s_or_b32 exec_lo, exec_lo, s10
	v_mul_f32_e32 v1, s26, v0
                                        ; implicit-def: $vgpr2
                                        ; kill: killed $vgpr2
	s_mov_b32 s10, exec_lo
	s_delay_alu instid0(VALU_DEP_1) | instskip(SKIP_1) | instid1(VALU_DEP_2)
	v_and_b32_e32 v54, 0x7f800000, v1
	v_lshrrev_b32_e32 v0, 24, v1
	v_cmpx_ne_u64_e32 0x7f800000, v[54:55]
	s_xor_b32 s27, exec_lo, s10
	s_cbranch_execz .LBB6_13683
; %bb.13670:                            ;   in Loop: Header=BB6_13467 Depth=2
	v_and_b32_e32 v54, 0x7fffffff, v1
	v_and_b32_e32 v0, 0x80, v0
                                        ; implicit-def: $vgpr2
                                        ; kill: killed $vgpr2
	s_mov_b32 s10, exec_lo
	s_delay_alu instid0(VALU_DEP_2)
	v_cmpx_gt_u64_e32 0x43e00001, v[54:55]
	s_xor_b32 s28, exec_lo, s10
	s_cbranch_execz .LBB6_13680
; %bb.13671:                            ;   in Loop: Header=BB6_13467 Depth=2
	v_mov_b32_e32 v2, 0
	s_mov_b32 s29, exec_lo
	scratch_store_b32 off, v2, s33 offset:256 ; 4-byte Folded Spill
	s_wait_xcnt 0x0
	v_cmpx_ne_u32_e32 0, v1
	s_cbranch_execz .LBB6_13679
; %bb.13672:                            ;   in Loop: Header=BB6_13467 Depth=2
	v_bfe_u32 v2, v1, 23, 8
	v_and_b32_e32 v1, 0x7fffff, v1
	s_mov_b32 s40, exec_lo
	s_delay_alu instid0(VALU_DEP_2) | instskip(NEXT) | instid1(VALU_DEP_2)
	v_cmp_gt_u32_e32 vcc_lo, 0x7a, v2
	v_or_b32_e32 v6, 0x800000, v1
	v_sub_nc_u32_e32 v3, 0x79, v2
	s_delay_alu instid0(VALU_DEP_1) | instskip(SKIP_1) | instid1(VALU_DEP_2)
	v_cndmask_b32_e32 v3, 0, v3, vcc_lo
	v_cmp_eq_u32_e32 vcc_lo, 0, v2
	v_cndmask_b32_e64 v3, v3, 0x78, vcc_lo
	s_delay_alu instid0(VALU_DEP_1) | instskip(SKIP_1) | instid1(VALU_DEP_2)
	v_dual_cndmask_b32 v54, v6, v1, vcc_lo :: v_dual_add_nc_u32 v4, 20, v3
	v_add_nc_u32_e32 v7, 19, v3
	v_lshrrev_b64 v[10:11], v3, v[54:55]
	s_delay_alu instid0(VALU_DEP_3) | instskip(NEXT) | instid1(VALU_DEP_3)
	v_lshlrev_b64_e64 v[4:5], v4, -1
	v_lshlrev_b64_e64 v[6:7], v7, 1
	s_delay_alu instid0(VALU_DEP_3) | instskip(NEXT) | instid1(VALU_DEP_3)
	v_mov_b64_e32 v[16:17], v[10:11]
	v_bfi_b32 v5, v5, 0, 0
	s_delay_alu instid0(VALU_DEP_4) | instskip(NEXT) | instid1(VALU_DEP_1)
	v_bfi_b32 v4, v4, 0, v54
	v_cmpx_eq_u64_e64 v[4:5], v[6:7]
; %bb.13673:                            ;   in Loop: Header=BB6_13467 Depth=2
	v_bfe_u32 v54, v10, 20, 1
	s_delay_alu instid0(VALU_DEP_1) | instskip(NEXT) | instid1(VALU_DEP_1)
	v_add_nc_u64_e32 v[4:5], v[10:11], v[54:55]
	v_add_nc_u64_e32 v[16:17], -1, v[4:5]
; %bb.13674:                            ;   in Loop: Header=BB6_13467 Depth=2
	s_or_b32 exec_lo, exec_lo, s40
	v_add_nc_u32_e32 v1, 0xffffff81, v2
	v_lshrrev_b32_e32 v2, 23, v10
	s_mov_b32 s10, exec_lo
	s_delay_alu instid0(VALU_DEP_2) | instskip(NEXT) | instid1(VALU_DEP_1)
	v_cndmask_b32_e64 v1, v1, 0xffffff82, vcc_lo
	v_add3_u32 v2, v3, v1, v2
	v_and_b32_e32 v1, 0xfffff, v16
	s_delay_alu instid0(VALU_DEP_2) | instskip(NEXT) | instid1(VALU_DEP_2)
	v_add_nc_u32_e32 v3, 6, v2
	v_add_nc_u32_e32 v54, v1, v10
                                        ; implicit-def: $vgpr10_vgpr11
                                        ; implicit-def: $vgpr1
	s_delay_alu instid0(VALU_DEP_2)
	v_cmpx_ne_u32_e32 0, v3
	s_xor_b32 s10, exec_lo, s10
; %bb.13675:                            ;   in Loop: Header=BB6_13467 Depth=2
	s_delay_alu instid0(VALU_DEP_2) | instskip(SKIP_2) | instid1(VALU_DEP_2)
	v_cmp_lt_u64_e32 vcc_lo, 0xffffff, v[54:55]
	v_add_nc_u32_e32 v1, 7, v2
	v_cndmask_b32_e64 v2, 0, 1, vcc_lo
	v_cndmask_b32_e32 v1, v3, v1, vcc_lo
	s_delay_alu instid0(VALU_DEP_2)
	v_lshrrev_b64 v[10:11], v2, v[54:55]
; %bb.13676:                            ;   in Loop: Header=BB6_13467 Depth=2
	s_and_not1_saveexec_b32 s10, s10
; %bb.13677:                            ;   in Loop: Header=BB6_13467 Depth=2
	v_mov_b64_e32 v[10:11], v[54:55]
	v_bfe_u32 v1, v54, 23, 1
; %bb.13678:                            ;   in Loop: Header=BB6_13467 Depth=2
	s_or_b32 exec_lo, exec_lo, s10
	s_delay_alu instid0(VALU_DEP_2) | instskip(NEXT) | instid1(VALU_DEP_2)
	v_lshrrev_b64 v[2:3], 20, v[10:11]
	v_cmp_gt_i32_e32 vcc_lo, 16, v1
	v_min_i32_e32 v4, 15, v1
	v_cmp_eq_u32_e64 s10, 0, v1
	s_delay_alu instid0(VALU_DEP_2) | instskip(SKIP_1) | instid1(VALU_DEP_2)
	v_dual_cndmask_b32 v3, 0, v3 :: v_dual_lshlrev_b32 v4, 3, v4
	v_cndmask_b32_e32 v2, 7, v2, vcc_lo
	v_and_b32_e32 v4, 0xf8, v4
	s_delay_alu instid0(VALU_DEP_2) | instskip(NEXT) | instid1(VALU_DEP_2)
	v_cmp_eq_u64_e32 vcc_lo, 0, v[2:3]
	v_and_or_b32 v1, v2, 7, v4
	s_and_b32 s10, s10, vcc_lo
	s_delay_alu instid0(VALU_DEP_1) | instid1(SALU_CYCLE_1)
	v_cndmask_b32_e64 v1, v1, 0, s10
	s_delay_alu instid0(VALU_DEP_1)
	v_or_b32_e32 v0, v1, v0
	scratch_store_b32 off, v0, s33 offset:256 ; 4-byte Folded Spill
.LBB6_13679:                            ;   in Loop: Header=BB6_13467 Depth=2
	s_wait_xcnt 0x0
	s_or_b32 exec_lo, exec_lo, s29
                                        ; implicit-def: $vgpr0
.LBB6_13680:                            ;   in Loop: Header=BB6_13467 Depth=2
	s_and_not1_saveexec_b32 s10, s28
	s_cbranch_execz .LBB6_13682
; %bb.13681:                            ;   in Loop: Header=BB6_13467 Depth=2
	v_or_b32_e32 v0, 0x7e, v0
	scratch_store_b32 off, v0, s33 offset:256 ; 4-byte Folded Spill
.LBB6_13682:                            ;   in Loop: Header=BB6_13467 Depth=2
	s_wait_xcnt 0x0
	s_or_b32 exec_lo, exec_lo, s10
                                        ; implicit-def: $vgpr0
.LBB6_13683:                            ;   in Loop: Header=BB6_13467 Depth=2
	s_and_not1_saveexec_b32 s10, s27
	s_cbranch_execz .LBB6_13685
; %bb.13684:                            ;   in Loop: Header=BB6_13467 Depth=2
	v_or_b32_e32 v0, 0x7f, v0
	scratch_store_b32 off, v0, s33 offset:256 ; 4-byte Folded Spill
.LBB6_13685:                            ;   in Loop: Header=BB6_13467 Depth=2
	s_wait_xcnt 0x0
	s_or_b32 exec_lo, exec_lo, s10
	v_lshrrev_b16 v1, 8, v12
	v_mov_b32_e32 v0, 0
	s_mov_b32 s10, exec_lo
	s_delay_alu instid0(VALU_DEP_2)
	v_cmpx_ne_u16_e32 0, v1
	s_cbranch_execz .LBB6_13693
; %bb.13686:                            ;   in Loop: Header=BB6_13467 Depth=2
	v_bfrev_b32_e32 v0, 1
	s_mov_b32 s27, exec_lo
	v_cmpx_ne_u16_e32 0x80, v1
	s_cbranch_execz .LBB6_13692
; %bb.13687:                            ;   in Loop: Header=BB6_13467 Depth=2
	v_and_b32_e32 v2, 0xffff, v1
	v_mov_b32_e32 v0, 0x7f800001
	s_mov_b32 s28, exec_lo
	s_delay_alu instid0(VALU_DEP_2) | instskip(NEXT) | instid1(VALU_DEP_1)
	v_and_b32_e32 v1, 0x7f, v2
	v_cmpx_ne_u32_e32 0x7f, v1
	s_cbranch_execz .LBB6_13691
; %bb.13688:                            ;   in Loop: Header=BB6_13467 Depth=2
	v_dual_lshrrev_b32 v0, 3, v1 :: v_dual_bitop2_b32 v54, 7, v2 bitop3:0x40
	s_mov_b32 s29, exec_lo
	v_cmpx_gt_u32_e32 8, v1
; %bb.13689:                            ;   in Loop: Header=BB6_13467 Depth=2
	s_delay_alu instid0(VALU_DEP_2) | instskip(NEXT) | instid1(VALU_DEP_1)
	v_clz_i32_u32_e32 v0, v54
	v_min_u32_e32 v0, 32, v0
	s_delay_alu instid0(VALU_DEP_1) | instskip(NEXT) | instid1(VALU_DEP_1)
	v_subrev_nc_u32_e32 v1, 28, v0
	v_lshlrev_b64_e32 v[2:3], v1, v[54:55]
	s_delay_alu instid0(VALU_DEP_1)
	v_dual_sub_nc_u32 v0, 29, v0 :: v_dual_bitop2_b32 v54, 7, v2 bitop3:0x40
; %bb.13690:                            ;   in Loop: Header=BB6_13467 Depth=2
	s_or_b32 exec_lo, exec_lo, s29
	s_delay_alu instid0(VALU_DEP_1) | instskip(NEXT) | instid1(VALU_DEP_2)
	v_dual_lshlrev_b32 v1, 16, v12 :: v_dual_lshlrev_b32 v2, 20, v54
	v_lshl_add_u32 v0, v0, 23, 0x3c000000
	s_delay_alu instid0(VALU_DEP_2) | instskip(NEXT) | instid1(VALU_DEP_1)
	v_and_b32_e32 v1, 0x80000000, v1
	v_or3_b32 v0, v2, v1, v0
.LBB6_13691:                            ;   in Loop: Header=BB6_13467 Depth=2
	s_or_b32 exec_lo, exec_lo, s28
.LBB6_13692:                            ;   in Loop: Header=BB6_13467 Depth=2
	s_delay_alu instid0(SALU_CYCLE_1)
	s_or_b32 exec_lo, exec_lo, s27
.LBB6_13693:                            ;   in Loop: Header=BB6_13467 Depth=2
	s_delay_alu instid0(SALU_CYCLE_1) | instskip(NEXT) | instid1(VALU_DEP_1)
	s_or_b32 exec_lo, exec_lo, s10
	v_mul_f32_e32 v1, s26, v0
                                        ; implicit-def: $vgpr2
                                        ; kill: killed $vgpr2
	s_mov_b32 s10, exec_lo
	s_delay_alu instid0(VALU_DEP_1) | instskip(SKIP_1) | instid1(VALU_DEP_2)
	v_and_b32_e32 v54, 0x7f800000, v1
	v_lshrrev_b32_e32 v0, 24, v1
	v_cmpx_ne_u64_e32 0x7f800000, v[54:55]
	s_xor_b32 s27, exec_lo, s10
	s_cbranch_execz .LBB6_13707
; %bb.13694:                            ;   in Loop: Header=BB6_13467 Depth=2
	v_and_b32_e32 v54, 0x7fffffff, v1
	v_and_b32_e32 v0, 0x80, v0
                                        ; implicit-def: $vgpr2
                                        ; kill: killed $vgpr2
	s_mov_b32 s10, exec_lo
	s_delay_alu instid0(VALU_DEP_2)
	v_cmpx_gt_u64_e32 0x43e00001, v[54:55]
	s_xor_b32 s28, exec_lo, s10
	s_cbranch_execz .LBB6_13704
; %bb.13695:                            ;   in Loop: Header=BB6_13467 Depth=2
	v_mov_b32_e32 v2, 0
	s_mov_b32 s29, exec_lo
	scratch_store_b32 off, v2, s33 offset:260 ; 4-byte Folded Spill
	s_wait_xcnt 0x0
	v_cmpx_ne_u32_e32 0, v1
	s_cbranch_execz .LBB6_13703
; %bb.13696:                            ;   in Loop: Header=BB6_13467 Depth=2
	v_bfe_u32 v2, v1, 23, 8
	v_and_b32_e32 v1, 0x7fffff, v1
	s_mov_b32 s40, exec_lo
	s_delay_alu instid0(VALU_DEP_2) | instskip(NEXT) | instid1(VALU_DEP_2)
	v_cmp_gt_u32_e32 vcc_lo, 0x7a, v2
	v_or_b32_e32 v6, 0x800000, v1
	v_sub_nc_u32_e32 v3, 0x79, v2
	s_delay_alu instid0(VALU_DEP_1) | instskip(SKIP_1) | instid1(VALU_DEP_2)
	v_cndmask_b32_e32 v3, 0, v3, vcc_lo
	v_cmp_eq_u32_e32 vcc_lo, 0, v2
	v_cndmask_b32_e64 v3, v3, 0x78, vcc_lo
	s_delay_alu instid0(VALU_DEP_1) | instskip(SKIP_1) | instid1(VALU_DEP_2)
	v_dual_cndmask_b32 v54, v6, v1, vcc_lo :: v_dual_add_nc_u32 v4, 20, v3
	v_add_nc_u32_e32 v7, 19, v3
	v_lshrrev_b64 v[10:11], v3, v[54:55]
	s_delay_alu instid0(VALU_DEP_3) | instskip(NEXT) | instid1(VALU_DEP_3)
	v_lshlrev_b64_e64 v[4:5], v4, -1
	v_lshlrev_b64_e64 v[6:7], v7, 1
	s_delay_alu instid0(VALU_DEP_3) | instskip(NEXT) | instid1(VALU_DEP_3)
	v_mov_b64_e32 v[16:17], v[10:11]
	v_bfi_b32 v5, v5, 0, 0
	s_delay_alu instid0(VALU_DEP_4) | instskip(NEXT) | instid1(VALU_DEP_1)
	v_bfi_b32 v4, v4, 0, v54
	v_cmpx_eq_u64_e64 v[4:5], v[6:7]
; %bb.13697:                            ;   in Loop: Header=BB6_13467 Depth=2
	v_bfe_u32 v54, v10, 20, 1
	s_delay_alu instid0(VALU_DEP_1) | instskip(NEXT) | instid1(VALU_DEP_1)
	v_add_nc_u64_e32 v[4:5], v[10:11], v[54:55]
	v_add_nc_u64_e32 v[16:17], -1, v[4:5]
; %bb.13698:                            ;   in Loop: Header=BB6_13467 Depth=2
	s_or_b32 exec_lo, exec_lo, s40
	v_add_nc_u32_e32 v1, 0xffffff81, v2
	v_lshrrev_b32_e32 v2, 23, v10
	s_mov_b32 s10, exec_lo
	s_delay_alu instid0(VALU_DEP_2) | instskip(NEXT) | instid1(VALU_DEP_1)
	v_cndmask_b32_e64 v1, v1, 0xffffff82, vcc_lo
	v_add3_u32 v2, v3, v1, v2
	v_and_b32_e32 v1, 0xfffff, v16
	s_delay_alu instid0(VALU_DEP_2) | instskip(NEXT) | instid1(VALU_DEP_2)
	v_add_nc_u32_e32 v3, 6, v2
	v_add_nc_u32_e32 v54, v1, v10
                                        ; implicit-def: $vgpr10_vgpr11
                                        ; implicit-def: $vgpr1
	s_delay_alu instid0(VALU_DEP_2)
	v_cmpx_ne_u32_e32 0, v3
	s_xor_b32 s10, exec_lo, s10
; %bb.13699:                            ;   in Loop: Header=BB6_13467 Depth=2
	s_delay_alu instid0(VALU_DEP_2) | instskip(SKIP_2) | instid1(VALU_DEP_2)
	v_cmp_lt_u64_e32 vcc_lo, 0xffffff, v[54:55]
	v_add_nc_u32_e32 v1, 7, v2
	v_cndmask_b32_e64 v2, 0, 1, vcc_lo
	v_cndmask_b32_e32 v1, v3, v1, vcc_lo
	s_delay_alu instid0(VALU_DEP_2)
	v_lshrrev_b64 v[10:11], v2, v[54:55]
; %bb.13700:                            ;   in Loop: Header=BB6_13467 Depth=2
	s_and_not1_saveexec_b32 s10, s10
; %bb.13701:                            ;   in Loop: Header=BB6_13467 Depth=2
	v_mov_b64_e32 v[10:11], v[54:55]
	v_bfe_u32 v1, v54, 23, 1
; %bb.13702:                            ;   in Loop: Header=BB6_13467 Depth=2
	s_or_b32 exec_lo, exec_lo, s10
	s_delay_alu instid0(VALU_DEP_2) | instskip(NEXT) | instid1(VALU_DEP_2)
	v_lshrrev_b64 v[2:3], 20, v[10:11]
	v_cmp_gt_i32_e32 vcc_lo, 16, v1
	v_min_i32_e32 v4, 15, v1
	v_cmp_eq_u32_e64 s10, 0, v1
	s_delay_alu instid0(VALU_DEP_2) | instskip(SKIP_1) | instid1(VALU_DEP_2)
	v_dual_cndmask_b32 v3, 0, v3 :: v_dual_lshlrev_b32 v4, 3, v4
	v_cndmask_b32_e32 v2, 7, v2, vcc_lo
	v_and_b32_e32 v4, 0xf8, v4
	s_delay_alu instid0(VALU_DEP_2) | instskip(NEXT) | instid1(VALU_DEP_2)
	v_cmp_eq_u64_e32 vcc_lo, 0, v[2:3]
	v_and_or_b32 v1, v2, 7, v4
	s_and_b32 s10, s10, vcc_lo
	s_delay_alu instid0(VALU_DEP_1) | instid1(SALU_CYCLE_1)
	v_cndmask_b32_e64 v1, v1, 0, s10
	s_delay_alu instid0(VALU_DEP_1)
	v_or_b32_e32 v0, v1, v0
	scratch_store_b32 off, v0, s33 offset:260 ; 4-byte Folded Spill
.LBB6_13703:                            ;   in Loop: Header=BB6_13467 Depth=2
	s_wait_xcnt 0x0
	s_or_b32 exec_lo, exec_lo, s29
                                        ; implicit-def: $vgpr0
.LBB6_13704:                            ;   in Loop: Header=BB6_13467 Depth=2
	s_and_not1_saveexec_b32 s10, s28
	s_cbranch_execz .LBB6_13706
; %bb.13705:                            ;   in Loop: Header=BB6_13467 Depth=2
	v_or_b32_e32 v0, 0x7e, v0
	scratch_store_b32 off, v0, s33 offset:260 ; 4-byte Folded Spill
.LBB6_13706:                            ;   in Loop: Header=BB6_13467 Depth=2
	s_wait_xcnt 0x0
	s_or_b32 exec_lo, exec_lo, s10
                                        ; implicit-def: $vgpr0
.LBB6_13707:                            ;   in Loop: Header=BB6_13467 Depth=2
	s_and_not1_saveexec_b32 s10, s27
	s_cbranch_execz .LBB6_13709
; %bb.13708:                            ;   in Loop: Header=BB6_13467 Depth=2
	v_or_b32_e32 v0, 0x7f, v0
	scratch_store_b32 off, v0, s33 offset:260 ; 4-byte Folded Spill
.LBB6_13709:                            ;   in Loop: Header=BB6_13467 Depth=2
	s_wait_xcnt 0x0
	s_or_b32 exec_lo, exec_lo, s10
	v_dual_mov_b32 v1, 0 :: v_dual_lshrrev_b32 v0, 16, v12
	s_mov_b32 s10, exec_lo
	s_delay_alu instid0(VALU_DEP_1) | instskip(NEXT) | instid1(VALU_DEP_1)
	v_and_b32_e32 v2, 0xff, v0
	v_cmpx_ne_u16_e32 0, v2
	s_cbranch_execz .LBB6_13717
; %bb.13710:                            ;   in Loop: Header=BB6_13467 Depth=2
	v_bfrev_b32_e32 v1, 1
	s_mov_b32 s27, exec_lo
	v_cmpx_ne_u16_e32 0x80, v2
	s_cbranch_execz .LBB6_13716
; %bb.13711:                            ;   in Loop: Header=BB6_13467 Depth=2
	v_bfe_u32 v2, v12, 16, 7
	v_mov_b32_e32 v1, 0x7f800001
	s_mov_b32 s28, exec_lo
	s_delay_alu instid0(VALU_DEP_2)
	v_cmpx_ne_u32_e32 0x7f, v2
	s_cbranch_execz .LBB6_13715
; %bb.13712:                            ;   in Loop: Header=BB6_13467 Depth=2
	v_dual_lshrrev_b32 v1, 3, v2 :: v_dual_bitop2_b32 v54, 7, v0 bitop3:0x40
	s_mov_b32 s29, exec_lo
	v_cmpx_gt_u32_e32 8, v2
; %bb.13713:                            ;   in Loop: Header=BB6_13467 Depth=2
	s_delay_alu instid0(VALU_DEP_2) | instskip(NEXT) | instid1(VALU_DEP_1)
	v_clz_i32_u32_e32 v1, v54
	v_min_u32_e32 v1, 32, v1
	s_delay_alu instid0(VALU_DEP_1) | instskip(NEXT) | instid1(VALU_DEP_1)
	v_subrev_nc_u32_e32 v2, 28, v1
	v_lshlrev_b64_e32 v[2:3], v2, v[54:55]
	s_delay_alu instid0(VALU_DEP_1)
	v_dual_sub_nc_u32 v1, 29, v1 :: v_dual_bitop2_b32 v54, 7, v2 bitop3:0x40
; %bb.13714:                            ;   in Loop: Header=BB6_13467 Depth=2
	s_or_b32 exec_lo, exec_lo, s29
	s_delay_alu instid0(VALU_DEP_1) | instskip(NEXT) | instid1(VALU_DEP_2)
	v_dual_lshlrev_b32 v0, 24, v0 :: v_dual_lshlrev_b32 v2, 20, v54
	v_lshl_add_u32 v1, v1, 23, 0x3c000000
	s_delay_alu instid0(VALU_DEP_2) | instskip(NEXT) | instid1(VALU_DEP_1)
	v_and_b32_e32 v0, 0x80000000, v0
	v_or3_b32 v1, v2, v0, v1
.LBB6_13715:                            ;   in Loop: Header=BB6_13467 Depth=2
	s_or_b32 exec_lo, exec_lo, s28
.LBB6_13716:                            ;   in Loop: Header=BB6_13467 Depth=2
	s_delay_alu instid0(SALU_CYCLE_1)
	s_or_b32 exec_lo, exec_lo, s27
.LBB6_13717:                            ;   in Loop: Header=BB6_13467 Depth=2
	s_delay_alu instid0(SALU_CYCLE_1) | instskip(NEXT) | instid1(VALU_DEP_1)
	s_or_b32 exec_lo, exec_lo, s10
	v_mul_f32_e32 v1, s26, v1
                                        ; implicit-def: $vgpr2
                                        ; kill: killed $vgpr2
	s_mov_b32 s10, exec_lo
	s_delay_alu instid0(VALU_DEP_1) | instskip(SKIP_1) | instid1(VALU_DEP_2)
	v_and_b32_e32 v54, 0x7f800000, v1
	v_lshrrev_b32_e32 v0, 24, v1
	v_cmpx_ne_u64_e32 0x7f800000, v[54:55]
	s_xor_b32 s27, exec_lo, s10
	s_cbranch_execz .LBB6_13731
; %bb.13718:                            ;   in Loop: Header=BB6_13467 Depth=2
	v_and_b32_e32 v54, 0x7fffffff, v1
	v_and_b32_e32 v0, 0x80, v0
                                        ; implicit-def: $vgpr2
                                        ; kill: killed $vgpr2
	s_mov_b32 s10, exec_lo
	s_delay_alu instid0(VALU_DEP_2)
	v_cmpx_gt_u64_e32 0x43e00001, v[54:55]
	s_xor_b32 s28, exec_lo, s10
	s_cbranch_execz .LBB6_13728
; %bb.13719:                            ;   in Loop: Header=BB6_13467 Depth=2
	v_mov_b32_e32 v2, 0
	s_mov_b32 s29, exec_lo
	scratch_store_b32 off, v2, s33 offset:264 ; 4-byte Folded Spill
	s_wait_xcnt 0x0
	v_cmpx_ne_u32_e32 0, v1
	s_cbranch_execz .LBB6_13727
; %bb.13720:                            ;   in Loop: Header=BB6_13467 Depth=2
	v_bfe_u32 v2, v1, 23, 8
	v_and_b32_e32 v1, 0x7fffff, v1
	s_mov_b32 s40, exec_lo
	s_delay_alu instid0(VALU_DEP_2) | instskip(NEXT) | instid1(VALU_DEP_2)
	v_cmp_gt_u32_e32 vcc_lo, 0x7a, v2
	v_or_b32_e32 v6, 0x800000, v1
	v_sub_nc_u32_e32 v3, 0x79, v2
	s_delay_alu instid0(VALU_DEP_1) | instskip(SKIP_1) | instid1(VALU_DEP_2)
	v_cndmask_b32_e32 v3, 0, v3, vcc_lo
	v_cmp_eq_u32_e32 vcc_lo, 0, v2
	v_cndmask_b32_e64 v3, v3, 0x78, vcc_lo
	s_delay_alu instid0(VALU_DEP_1) | instskip(SKIP_1) | instid1(VALU_DEP_2)
	v_dual_cndmask_b32 v54, v6, v1, vcc_lo :: v_dual_add_nc_u32 v4, 20, v3
	v_add_nc_u32_e32 v7, 19, v3
	v_lshrrev_b64 v[10:11], v3, v[54:55]
	s_delay_alu instid0(VALU_DEP_3) | instskip(NEXT) | instid1(VALU_DEP_3)
	v_lshlrev_b64_e64 v[4:5], v4, -1
	v_lshlrev_b64_e64 v[6:7], v7, 1
	s_delay_alu instid0(VALU_DEP_3) | instskip(NEXT) | instid1(VALU_DEP_3)
	v_mov_b64_e32 v[16:17], v[10:11]
	v_bfi_b32 v5, v5, 0, 0
	s_delay_alu instid0(VALU_DEP_4) | instskip(NEXT) | instid1(VALU_DEP_1)
	v_bfi_b32 v4, v4, 0, v54
	v_cmpx_eq_u64_e64 v[4:5], v[6:7]
; %bb.13721:                            ;   in Loop: Header=BB6_13467 Depth=2
	v_bfe_u32 v54, v10, 20, 1
	s_delay_alu instid0(VALU_DEP_1) | instskip(NEXT) | instid1(VALU_DEP_1)
	v_add_nc_u64_e32 v[4:5], v[10:11], v[54:55]
	v_add_nc_u64_e32 v[16:17], -1, v[4:5]
; %bb.13722:                            ;   in Loop: Header=BB6_13467 Depth=2
	s_or_b32 exec_lo, exec_lo, s40
	v_add_nc_u32_e32 v1, 0xffffff81, v2
	v_lshrrev_b32_e32 v2, 23, v10
	s_mov_b32 s10, exec_lo
	s_delay_alu instid0(VALU_DEP_2) | instskip(NEXT) | instid1(VALU_DEP_1)
	v_cndmask_b32_e64 v1, v1, 0xffffff82, vcc_lo
	v_add3_u32 v2, v3, v1, v2
	v_and_b32_e32 v1, 0xfffff, v16
	s_delay_alu instid0(VALU_DEP_2) | instskip(NEXT) | instid1(VALU_DEP_2)
	v_add_nc_u32_e32 v3, 6, v2
	v_add_nc_u32_e32 v54, v1, v10
                                        ; implicit-def: $vgpr10_vgpr11
                                        ; implicit-def: $vgpr1
	s_delay_alu instid0(VALU_DEP_2)
	v_cmpx_ne_u32_e32 0, v3
	s_xor_b32 s10, exec_lo, s10
; %bb.13723:                            ;   in Loop: Header=BB6_13467 Depth=2
	s_delay_alu instid0(VALU_DEP_2) | instskip(SKIP_2) | instid1(VALU_DEP_2)
	v_cmp_lt_u64_e32 vcc_lo, 0xffffff, v[54:55]
	v_add_nc_u32_e32 v1, 7, v2
	v_cndmask_b32_e64 v2, 0, 1, vcc_lo
	v_cndmask_b32_e32 v1, v3, v1, vcc_lo
	s_delay_alu instid0(VALU_DEP_2)
	v_lshrrev_b64 v[10:11], v2, v[54:55]
; %bb.13724:                            ;   in Loop: Header=BB6_13467 Depth=2
	s_and_not1_saveexec_b32 s10, s10
; %bb.13725:                            ;   in Loop: Header=BB6_13467 Depth=2
	v_mov_b64_e32 v[10:11], v[54:55]
	v_bfe_u32 v1, v54, 23, 1
; %bb.13726:                            ;   in Loop: Header=BB6_13467 Depth=2
	s_or_b32 exec_lo, exec_lo, s10
	s_delay_alu instid0(VALU_DEP_2) | instskip(NEXT) | instid1(VALU_DEP_2)
	v_lshrrev_b64 v[2:3], 20, v[10:11]
	v_cmp_gt_i32_e32 vcc_lo, 16, v1
	v_min_i32_e32 v4, 15, v1
	v_cmp_eq_u32_e64 s10, 0, v1
	s_delay_alu instid0(VALU_DEP_2) | instskip(SKIP_1) | instid1(VALU_DEP_2)
	v_dual_cndmask_b32 v3, 0, v3 :: v_dual_lshlrev_b32 v4, 3, v4
	v_cndmask_b32_e32 v2, 7, v2, vcc_lo
	v_and_b32_e32 v4, 0xf8, v4
	s_delay_alu instid0(VALU_DEP_2) | instskip(NEXT) | instid1(VALU_DEP_2)
	v_cmp_eq_u64_e32 vcc_lo, 0, v[2:3]
	v_and_or_b32 v1, v2, 7, v4
	s_and_b32 s10, s10, vcc_lo
	s_delay_alu instid0(VALU_DEP_1) | instid1(SALU_CYCLE_1)
	v_cndmask_b32_e64 v1, v1, 0, s10
	s_delay_alu instid0(VALU_DEP_1)
	v_or_b32_e32 v0, v1, v0
	scratch_store_b32 off, v0, s33 offset:264 ; 4-byte Folded Spill
.LBB6_13727:                            ;   in Loop: Header=BB6_13467 Depth=2
	s_wait_xcnt 0x0
	s_or_b32 exec_lo, exec_lo, s29
                                        ; implicit-def: $vgpr0
.LBB6_13728:                            ;   in Loop: Header=BB6_13467 Depth=2
	s_and_not1_saveexec_b32 s10, s28
	s_cbranch_execz .LBB6_13730
; %bb.13729:                            ;   in Loop: Header=BB6_13467 Depth=2
	v_or_b32_e32 v0, 0x7e, v0
	scratch_store_b32 off, v0, s33 offset:264 ; 4-byte Folded Spill
.LBB6_13730:                            ;   in Loop: Header=BB6_13467 Depth=2
	s_wait_xcnt 0x0
	s_or_b32 exec_lo, exec_lo, s10
                                        ; implicit-def: $vgpr0
.LBB6_13731:                            ;   in Loop: Header=BB6_13467 Depth=2
	s_and_not1_saveexec_b32 s10, s27
	s_cbranch_execz .LBB6_13733
; %bb.13732:                            ;   in Loop: Header=BB6_13467 Depth=2
	v_or_b32_e32 v0, 0x7f, v0
	scratch_store_b32 off, v0, s33 offset:264 ; 4-byte Folded Spill
.LBB6_13733:                            ;   in Loop: Header=BB6_13467 Depth=2
	s_wait_xcnt 0x0
	s_or_b32 exec_lo, exec_lo, s10
	v_mov_b32_e32 v1, 0
	s_mov_b32 s10, exec_lo
	v_cmpx_lt_u32_e32 0xffffff, v12
	s_cbranch_execz .LBB6_13741
; %bb.13734:                            ;   in Loop: Header=BB6_13467 Depth=2
	v_lshrrev_b32_e32 v0, 24, v12
	v_bfrev_b32_e32 v1, 1
	s_mov_b32 s27, exec_lo
	s_delay_alu instid0(VALU_DEP_2)
	v_cmpx_ne_u32_e32 0x80, v0
	s_cbranch_execz .LBB6_13740
; %bb.13735:                            ;   in Loop: Header=BB6_13467 Depth=2
	v_bfe_u32 v2, v12, 24, 7
	v_mov_b32_e32 v1, 0x7f800001
	s_mov_b32 s28, exec_lo
	s_delay_alu instid0(VALU_DEP_2)
	v_cmpx_ne_u32_e32 0x7f, v2
	s_cbranch_execz .LBB6_13739
; %bb.13736:                            ;   in Loop: Header=BB6_13467 Depth=2
	v_dual_lshrrev_b32 v1, 3, v2 :: v_dual_bitop2_b32 v54, 7, v0 bitop3:0x40
	s_mov_b32 s29, exec_lo
	v_cmpx_gt_u32_e32 8, v2
; %bb.13737:                            ;   in Loop: Header=BB6_13467 Depth=2
	s_delay_alu instid0(VALU_DEP_2) | instskip(NEXT) | instid1(VALU_DEP_1)
	v_clz_i32_u32_e32 v1, v54
	v_min_u32_e32 v1, 32, v1
	s_delay_alu instid0(VALU_DEP_1) | instskip(NEXT) | instid1(VALU_DEP_1)
	v_subrev_nc_u32_e32 v2, 28, v1
	v_lshlrev_b64_e32 v[2:3], v2, v[54:55]
	s_delay_alu instid0(VALU_DEP_1)
	v_dual_sub_nc_u32 v1, 29, v1 :: v_dual_bitop2_b32 v54, 7, v2 bitop3:0x40
; %bb.13738:                            ;   in Loop: Header=BB6_13467 Depth=2
	s_or_b32 exec_lo, exec_lo, s29
	s_delay_alu instid0(VALU_DEP_1) | instskip(NEXT) | instid1(VALU_DEP_2)
	v_dual_lshlrev_b32 v0, 24, v0 :: v_dual_lshlrev_b32 v2, 20, v54
	v_lshl_add_u32 v1, v1, 23, 0x3c000000
	s_delay_alu instid0(VALU_DEP_2) | instskip(NEXT) | instid1(VALU_DEP_1)
	v_and_b32_e32 v0, 0x80000000, v0
	v_or3_b32 v1, v2, v0, v1
.LBB6_13739:                            ;   in Loop: Header=BB6_13467 Depth=2
	s_or_b32 exec_lo, exec_lo, s28
.LBB6_13740:                            ;   in Loop: Header=BB6_13467 Depth=2
	s_delay_alu instid0(SALU_CYCLE_1)
	s_or_b32 exec_lo, exec_lo, s27
.LBB6_13741:                            ;   in Loop: Header=BB6_13467 Depth=2
	s_delay_alu instid0(SALU_CYCLE_1) | instskip(NEXT) | instid1(VALU_DEP_1)
	s_or_b32 exec_lo, exec_lo, s10
	v_mul_f32_e32 v1, s26, v1
                                        ; implicit-def: $vgpr2
                                        ; kill: killed $vgpr2
	s_mov_b32 s10, exec_lo
	s_delay_alu instid0(VALU_DEP_1) | instskip(SKIP_1) | instid1(VALU_DEP_2)
	v_and_b32_e32 v54, 0x7f800000, v1
	v_lshrrev_b32_e32 v0, 24, v1
	v_cmpx_ne_u64_e32 0x7f800000, v[54:55]
	s_xor_b32 s27, exec_lo, s10
	s_cbranch_execz .LBB6_13755
; %bb.13742:                            ;   in Loop: Header=BB6_13467 Depth=2
	v_and_b32_e32 v54, 0x7fffffff, v1
	v_and_b32_e32 v0, 0x80, v0
                                        ; implicit-def: $vgpr2
                                        ; kill: killed $vgpr2
	s_mov_b32 s10, exec_lo
	s_delay_alu instid0(VALU_DEP_2)
	v_cmpx_gt_u64_e32 0x43e00001, v[54:55]
	s_xor_b32 s28, exec_lo, s10
	s_cbranch_execz .LBB6_13752
; %bb.13743:                            ;   in Loop: Header=BB6_13467 Depth=2
	v_mov_b32_e32 v2, 0
	s_mov_b32 s29, exec_lo
	scratch_store_b32 off, v2, s33 offset:268 ; 4-byte Folded Spill
	s_wait_xcnt 0x0
	v_cmpx_ne_u32_e32 0, v1
	s_cbranch_execz .LBB6_13751
; %bb.13744:                            ;   in Loop: Header=BB6_13467 Depth=2
	v_bfe_u32 v2, v1, 23, 8
	v_and_b32_e32 v1, 0x7fffff, v1
	s_mov_b32 s40, exec_lo
	s_delay_alu instid0(VALU_DEP_2) | instskip(NEXT) | instid1(VALU_DEP_2)
	v_cmp_gt_u32_e32 vcc_lo, 0x7a, v2
	v_or_b32_e32 v6, 0x800000, v1
	v_sub_nc_u32_e32 v3, 0x79, v2
	s_delay_alu instid0(VALU_DEP_1) | instskip(SKIP_1) | instid1(VALU_DEP_2)
	v_cndmask_b32_e32 v3, 0, v3, vcc_lo
	v_cmp_eq_u32_e32 vcc_lo, 0, v2
	v_cndmask_b32_e64 v3, v3, 0x78, vcc_lo
	s_delay_alu instid0(VALU_DEP_1) | instskip(SKIP_1) | instid1(VALU_DEP_2)
	v_dual_cndmask_b32 v54, v6, v1, vcc_lo :: v_dual_add_nc_u32 v4, 20, v3
	v_add_nc_u32_e32 v7, 19, v3
	v_lshrrev_b64 v[10:11], v3, v[54:55]
	s_delay_alu instid0(VALU_DEP_3) | instskip(NEXT) | instid1(VALU_DEP_3)
	v_lshlrev_b64_e64 v[4:5], v4, -1
	v_lshlrev_b64_e64 v[6:7], v7, 1
	s_delay_alu instid0(VALU_DEP_3) | instskip(NEXT) | instid1(VALU_DEP_3)
	v_mov_b64_e32 v[16:17], v[10:11]
	v_bfi_b32 v5, v5, 0, 0
	s_delay_alu instid0(VALU_DEP_4) | instskip(NEXT) | instid1(VALU_DEP_1)
	v_bfi_b32 v4, v4, 0, v54
	v_cmpx_eq_u64_e64 v[4:5], v[6:7]
; %bb.13745:                            ;   in Loop: Header=BB6_13467 Depth=2
	v_bfe_u32 v54, v10, 20, 1
	s_delay_alu instid0(VALU_DEP_1) | instskip(NEXT) | instid1(VALU_DEP_1)
	v_add_nc_u64_e32 v[4:5], v[10:11], v[54:55]
	v_add_nc_u64_e32 v[16:17], -1, v[4:5]
; %bb.13746:                            ;   in Loop: Header=BB6_13467 Depth=2
	s_or_b32 exec_lo, exec_lo, s40
	v_add_nc_u32_e32 v1, 0xffffff81, v2
	v_lshrrev_b32_e32 v2, 23, v10
	s_mov_b32 s10, exec_lo
	s_delay_alu instid0(VALU_DEP_2) | instskip(NEXT) | instid1(VALU_DEP_1)
	v_cndmask_b32_e64 v1, v1, 0xffffff82, vcc_lo
	v_add3_u32 v2, v3, v1, v2
	v_and_b32_e32 v1, 0xfffff, v16
	s_delay_alu instid0(VALU_DEP_2) | instskip(NEXT) | instid1(VALU_DEP_2)
	v_add_nc_u32_e32 v3, 6, v2
	v_add_nc_u32_e32 v54, v1, v10
                                        ; implicit-def: $vgpr10_vgpr11
                                        ; implicit-def: $vgpr1
	s_delay_alu instid0(VALU_DEP_2)
	v_cmpx_ne_u32_e32 0, v3
	s_xor_b32 s10, exec_lo, s10
; %bb.13747:                            ;   in Loop: Header=BB6_13467 Depth=2
	s_delay_alu instid0(VALU_DEP_2) | instskip(SKIP_2) | instid1(VALU_DEP_2)
	v_cmp_lt_u64_e32 vcc_lo, 0xffffff, v[54:55]
	v_add_nc_u32_e32 v1, 7, v2
	v_cndmask_b32_e64 v2, 0, 1, vcc_lo
	v_cndmask_b32_e32 v1, v3, v1, vcc_lo
	s_delay_alu instid0(VALU_DEP_2)
	v_lshrrev_b64 v[10:11], v2, v[54:55]
; %bb.13748:                            ;   in Loop: Header=BB6_13467 Depth=2
	s_and_not1_saveexec_b32 s10, s10
; %bb.13749:                            ;   in Loop: Header=BB6_13467 Depth=2
	v_mov_b64_e32 v[10:11], v[54:55]
	v_bfe_u32 v1, v54, 23, 1
; %bb.13750:                            ;   in Loop: Header=BB6_13467 Depth=2
	s_or_b32 exec_lo, exec_lo, s10
	s_delay_alu instid0(VALU_DEP_2) | instskip(NEXT) | instid1(VALU_DEP_2)
	v_lshrrev_b64 v[2:3], 20, v[10:11]
	v_cmp_gt_i32_e32 vcc_lo, 16, v1
	v_min_i32_e32 v4, 15, v1
	v_cmp_eq_u32_e64 s10, 0, v1
	s_delay_alu instid0(VALU_DEP_2) | instskip(SKIP_1) | instid1(VALU_DEP_2)
	v_dual_cndmask_b32 v3, 0, v3 :: v_dual_lshlrev_b32 v4, 3, v4
	v_cndmask_b32_e32 v2, 7, v2, vcc_lo
	v_and_b32_e32 v4, 0xf8, v4
	s_delay_alu instid0(VALU_DEP_2) | instskip(NEXT) | instid1(VALU_DEP_2)
	v_cmp_eq_u64_e32 vcc_lo, 0, v[2:3]
	v_and_or_b32 v1, v2, 7, v4
	s_and_b32 s10, s10, vcc_lo
	s_delay_alu instid0(VALU_DEP_1) | instid1(SALU_CYCLE_1)
	v_cndmask_b32_e64 v1, v1, 0, s10
	s_delay_alu instid0(VALU_DEP_1)
	v_or_b32_e32 v0, v1, v0
	scratch_store_b32 off, v0, s33 offset:268 ; 4-byte Folded Spill
.LBB6_13751:                            ;   in Loop: Header=BB6_13467 Depth=2
	s_wait_xcnt 0x0
	s_or_b32 exec_lo, exec_lo, s29
                                        ; implicit-def: $vgpr0
.LBB6_13752:                            ;   in Loop: Header=BB6_13467 Depth=2
	s_and_not1_saveexec_b32 s10, s28
	s_cbranch_execz .LBB6_13754
; %bb.13753:                            ;   in Loop: Header=BB6_13467 Depth=2
	v_or_b32_e32 v0, 0x7e, v0
	scratch_store_b32 off, v0, s33 offset:268 ; 4-byte Folded Spill
.LBB6_13754:                            ;   in Loop: Header=BB6_13467 Depth=2
	s_wait_xcnt 0x0
	s_or_b32 exec_lo, exec_lo, s10
                                        ; implicit-def: $vgpr0
.LBB6_13755:                            ;   in Loop: Header=BB6_13467 Depth=2
	s_and_not1_saveexec_b32 s10, s27
	s_cbranch_execz .LBB6_13757
; %bb.13756:                            ;   in Loop: Header=BB6_13467 Depth=2
	v_or_b32_e32 v0, 0x7f, v0
	scratch_store_b32 off, v0, s33 offset:268 ; 4-byte Folded Spill
.LBB6_13757:                            ;   in Loop: Header=BB6_13467 Depth=2
	s_wait_xcnt 0x0
	s_or_b32 exec_lo, exec_lo, s10
	v_and_b32_e32 v1, 0xff, v13
	v_dual_mov_b32 v54, v13 :: v_dual_mov_b32 v0, 0
	s_mov_b32 s10, exec_lo
	s_delay_alu instid0(VALU_DEP_2)
	v_cmpx_ne_u16_e32 0, v1
	s_cbranch_execz .LBB6_13763
; %bb.13758:                            ;   in Loop: Header=BB6_13467 Depth=2
	v_bfrev_b32_e32 v0, 1
	s_mov_b32 s27, exec_lo
	v_cmpx_ne_u16_e32 0x80, v1
	s_cbranch_execz .LBB6_13762
; %bb.13759:                            ;   in Loop: Header=BB6_13467 Depth=2
	v_and_b32_e32 v1, 0x7f, v13
	v_mov_b32_e32 v0, 0x7f800001
	s_mov_b32 s28, exec_lo
	s_delay_alu instid0(VALU_DEP_2)
	v_cmpx_ne_u32_e32 0x7f, v1
	s_cbranch_execz .LBB6_13761
; %bb.13760:                            ;   in Loop: Header=BB6_13467 Depth=2
	v_and_b32_e32 v0, 7, v13
	v_cmp_gt_u32_e32 vcc_lo, 8, v1
	s_delay_alu instid0(VALU_DEP_2) | instskip(NEXT) | instid1(VALU_DEP_1)
	v_clz_i32_u32_e32 v0, v0
	v_min_u32_e32 v0, 32, v0
	v_lshrrev_b32_e32 v2, 3, v1
	s_delay_alu instid0(VALU_DEP_2) | instskip(SKIP_1) | instid1(VALU_DEP_1)
	v_subrev_nc_u32_e32 v3, 28, v0
	v_sub_nc_u32_e32 v0, 29, v0
	v_dual_cndmask_b32 v2, v2, v0, vcc_lo :: v_dual_cndmask_b32 v0, 0, v3, vcc_lo
	s_delay_alu instid0(VALU_DEP_1) | instskip(NEXT) | instid1(VALU_DEP_2)
	v_lshl_add_u32 v2, v2, 23, 0x3c000000
	v_lshlrev_b64_e32 v[0:1], v0, v[54:55]
	v_lshlrev_b32_e32 v1, 24, v54
	s_delay_alu instid0(VALU_DEP_1) | instskip(NEXT) | instid1(VALU_DEP_3)
	v_and_b32_e32 v1, 0x80000000, v1
	v_lshlrev_b32_e32 v0, 20, v0
	s_delay_alu instid0(VALU_DEP_1) | instskip(NEXT) | instid1(VALU_DEP_1)
	v_and_b32_e32 v0, 0x700000, v0
	v_or3_b32 v0, v0, v1, v2
.LBB6_13761:                            ;   in Loop: Header=BB6_13467 Depth=2
	s_or_b32 exec_lo, exec_lo, s28
.LBB6_13762:                            ;   in Loop: Header=BB6_13467 Depth=2
	s_delay_alu instid0(SALU_CYCLE_1)
	s_or_b32 exec_lo, exec_lo, s27
.LBB6_13763:                            ;   in Loop: Header=BB6_13467 Depth=2
	s_delay_alu instid0(SALU_CYCLE_1) | instskip(NEXT) | instid1(VALU_DEP_1)
	s_or_b32 exec_lo, exec_lo, s10
	v_dual_mul_f32 v1, s26, v0 :: v_dual_mov_b32 v3, v55
	s_delay_alu instid0(VALU_DEP_1) | instskip(SKIP_1) | instid1(VALU_DEP_2)
	v_and_b32_e32 v2, 0x7f800000, v1
	v_lshrrev_b32_e32 v0, 24, v1
	v_cmp_ne_u64_e32 vcc_lo, 0x7f800000, v[2:3]
                                        ; implicit-def: $vgpr2
                                        ; kill: killed $vgpr2
	s_and_saveexec_b32 s10, vcc_lo
	s_delay_alu instid0(SALU_CYCLE_1)
	s_xor_b32 s27, exec_lo, s10
	s_cbranch_execz .LBB6_13777
; %bb.13764:                            ;   in Loop: Header=BB6_13467 Depth=2
	v_and_b32_e32 v2, 0x7fffffff, v1
	v_mov_b32_e32 v3, v55
	v_and_b32_e32 v0, 0x80, v0
	s_delay_alu instid0(VALU_DEP_2) | instskip(SKIP_1) | instid1(SALU_CYCLE_1)
	v_cmp_gt_u64_e32 vcc_lo, 0x43e00001, v[2:3]
                                        ; implicit-def: $vgpr2
                                        ; kill: killed $vgpr2
	s_and_saveexec_b32 s10, vcc_lo
	s_xor_b32 s28, exec_lo, s10
	s_cbranch_execz .LBB6_13774
; %bb.13765:                            ;   in Loop: Header=BB6_13467 Depth=2
	v_mov_b32_e32 v2, 0
	s_mov_b32 s29, exec_lo
	scratch_store_b32 off, v2, s33 offset:272 ; 4-byte Folded Spill
	s_wait_xcnt 0x0
	v_cmpx_ne_u32_e32 0, v1
	s_cbranch_execz .LBB6_13773
; %bb.13766:                            ;   in Loop: Header=BB6_13467 Depth=2
	v_bfe_u32 v2, v1, 23, 8
	v_and_b32_e32 v1, 0x7fffff, v1
	s_mov_b32 s40, exec_lo
	v_mov_b32_e32 v7, v55
	s_delay_alu instid0(VALU_DEP_3) | instskip(NEXT) | instid1(VALU_DEP_3)
	v_cmp_gt_u32_e32 vcc_lo, 0x7a, v2
	v_or_b32_e32 v6, 0x800000, v1
	v_sub_nc_u32_e32 v3, 0x79, v2
	s_delay_alu instid0(VALU_DEP_1) | instskip(SKIP_1) | instid1(VALU_DEP_2)
	v_cndmask_b32_e32 v3, 0, v3, vcc_lo
	v_cmp_eq_u32_e32 vcc_lo, 0, v2
	v_cndmask_b32_e64 v3, v3, 0x78, vcc_lo
	s_delay_alu instid0(VALU_DEP_1) | instskip(SKIP_1) | instid1(VALU_DEP_2)
	v_dual_cndmask_b32 v6, v6, v1, vcc_lo :: v_dual_add_nc_u32 v4, 20, v3
	v_add_nc_u32_e32 v8, 19, v3
	v_lshrrev_b64 v[10:11], v3, v[6:7]
	s_delay_alu instid0(VALU_DEP_3) | instskip(NEXT) | instid1(VALU_DEP_3)
	v_lshlrev_b64_e64 v[4:5], v4, -1
	v_lshlrev_b64_e64 v[8:9], v8, 1
	s_delay_alu instid0(VALU_DEP_3) | instskip(NEXT) | instid1(VALU_DEP_3)
	v_mov_b64_e32 v[16:17], v[10:11]
	v_bfi_b32 v5, v5, 0, 0
	s_delay_alu instid0(VALU_DEP_4) | instskip(NEXT) | instid1(VALU_DEP_1)
	v_bfi_b32 v4, v4, 0, v6
	v_cmpx_eq_u64_e64 v[4:5], v[8:9]
; %bb.13767:                            ;   in Loop: Header=BB6_13467 Depth=2
	v_bfe_u32 v4, v10, 20, 1
	v_mov_b32_e32 v5, v55
	s_delay_alu instid0(VALU_DEP_1) | instskip(NEXT) | instid1(VALU_DEP_1)
	v_add_nc_u64_e32 v[4:5], v[10:11], v[4:5]
	v_add_nc_u64_e32 v[16:17], -1, v[4:5]
; %bb.13768:                            ;   in Loop: Header=BB6_13467 Depth=2
	s_or_b32 exec_lo, exec_lo, s40
	v_add_nc_u32_e32 v1, 0xffffff81, v2
	v_lshrrev_b32_e32 v2, 23, v10
	s_mov_b32 s10, exec_lo
	v_mov_b32_e32 v11, v55
	s_delay_alu instid0(VALU_DEP_3) | instskip(NEXT) | instid1(VALU_DEP_1)
	v_cndmask_b32_e64 v1, v1, 0xffffff82, vcc_lo
	v_add3_u32 v2, v3, v1, v2
	v_and_b32_e32 v1, 0xfffff, v16
	s_delay_alu instid0(VALU_DEP_2) | instskip(NEXT) | instid1(VALU_DEP_2)
	v_add_nc_u32_e32 v3, 6, v2
	v_add_nc_u32_e32 v10, v1, v10
                                        ; implicit-def: $vgpr1
	s_delay_alu instid0(VALU_DEP_2)
	v_cmpx_ne_u32_e32 0, v3
	s_xor_b32 s10, exec_lo, s10
; %bb.13769:                            ;   in Loop: Header=BB6_13467 Depth=2
	s_delay_alu instid0(VALU_DEP_2) | instskip(SKIP_2) | instid1(VALU_DEP_2)
	v_cmp_lt_u64_e32 vcc_lo, 0xffffff, v[10:11]
	v_add_nc_u32_e32 v1, 7, v2
	v_cndmask_b32_e64 v2, 0, 1, vcc_lo
	v_cndmask_b32_e32 v1, v3, v1, vcc_lo
	s_delay_alu instid0(VALU_DEP_2)
	v_lshrrev_b64 v[10:11], v2, v[10:11]
; %bb.13770:                            ;   in Loop: Header=BB6_13467 Depth=2
	s_and_not1_saveexec_b32 s10, s10
; %bb.13771:                            ;   in Loop: Header=BB6_13467 Depth=2
	s_delay_alu instid0(VALU_DEP_1)
	v_bfe_u32 v1, v10, 23, 1
; %bb.13772:                            ;   in Loop: Header=BB6_13467 Depth=2
	s_or_b32 exec_lo, exec_lo, s10
	s_delay_alu instid0(VALU_DEP_2) | instskip(NEXT) | instid1(VALU_DEP_2)
	v_lshrrev_b64 v[2:3], 20, v[10:11]
	v_cmp_gt_i32_e32 vcc_lo, 16, v1
	v_min_i32_e32 v4, 15, v1
	v_cmp_eq_u32_e64 s10, 0, v1
	s_delay_alu instid0(VALU_DEP_2) | instskip(SKIP_1) | instid1(VALU_DEP_2)
	v_dual_cndmask_b32 v3, 0, v3 :: v_dual_lshlrev_b32 v4, 3, v4
	v_cndmask_b32_e32 v2, 7, v2, vcc_lo
	v_and_b32_e32 v4, 0xf8, v4
	s_delay_alu instid0(VALU_DEP_2) | instskip(NEXT) | instid1(VALU_DEP_2)
	v_cmp_eq_u64_e32 vcc_lo, 0, v[2:3]
	v_and_or_b32 v1, v2, 7, v4
	s_and_b32 s10, s10, vcc_lo
	s_delay_alu instid0(VALU_DEP_1) | instid1(SALU_CYCLE_1)
	v_cndmask_b32_e64 v1, v1, 0, s10
	s_delay_alu instid0(VALU_DEP_1)
	v_or_b32_e32 v0, v1, v0
	scratch_store_b32 off, v0, s33 offset:272 ; 4-byte Folded Spill
.LBB6_13773:                            ;   in Loop: Header=BB6_13467 Depth=2
	s_wait_xcnt 0x0
	s_or_b32 exec_lo, exec_lo, s29
                                        ; implicit-def: $vgpr0
.LBB6_13774:                            ;   in Loop: Header=BB6_13467 Depth=2
	s_and_not1_saveexec_b32 s10, s28
	s_cbranch_execz .LBB6_13776
; %bb.13775:                            ;   in Loop: Header=BB6_13467 Depth=2
	v_or_b32_e32 v0, 0x7e, v0
	scratch_store_b32 off, v0, s33 offset:272 ; 4-byte Folded Spill
.LBB6_13776:                            ;   in Loop: Header=BB6_13467 Depth=2
	s_wait_xcnt 0x0
	s_or_b32 exec_lo, exec_lo, s10
                                        ; implicit-def: $vgpr0
.LBB6_13777:                            ;   in Loop: Header=BB6_13467 Depth=2
	s_and_not1_saveexec_b32 s10, s27
	s_cbranch_execz .LBB6_13779
; %bb.13778:                            ;   in Loop: Header=BB6_13467 Depth=2
	v_or_b32_e32 v0, 0x7f, v0
	scratch_store_b32 off, v0, s33 offset:272 ; 4-byte Folded Spill
.LBB6_13779:                            ;   in Loop: Header=BB6_13467 Depth=2
	s_wait_xcnt 0x0
	s_or_b32 exec_lo, exec_lo, s10
	v_lshrrev_b16 v1, 8, v54
	v_mov_b32_e32 v0, 0
	s_mov_b32 s10, exec_lo
	s_delay_alu instid0(VALU_DEP_2)
	v_cmpx_ne_u16_e32 0, v1
	s_cbranch_execz .LBB6_13787
; %bb.13780:                            ;   in Loop: Header=BB6_13467 Depth=2
	v_bfrev_b32_e32 v0, 1
	s_mov_b32 s27, exec_lo
	v_cmpx_ne_u16_e32 0x80, v1
	s_cbranch_execz .LBB6_13786
; %bb.13781:                            ;   in Loop: Header=BB6_13467 Depth=2
	v_and_b32_e32 v2, 0xffff, v1
	v_mov_b32_e32 v0, 0x7f800001
	s_mov_b32 s28, exec_lo
	s_delay_alu instid0(VALU_DEP_2) | instskip(NEXT) | instid1(VALU_DEP_1)
	v_and_b32_e32 v1, 0x7f, v2
	v_cmpx_ne_u32_e32 0x7f, v1
	s_cbranch_execz .LBB6_13785
; %bb.13782:                            ;   in Loop: Header=BB6_13467 Depth=2
	v_dual_mov_b32 v11, v55 :: v_dual_bitop2_b32 v10, 7, v2 bitop3:0x40
	v_lshrrev_b32_e32 v0, 3, v1
	s_mov_b32 s29, exec_lo
	v_cmpx_gt_u32_e32 8, v1
; %bb.13783:                            ;   in Loop: Header=BB6_13467 Depth=2
	s_delay_alu instid0(VALU_DEP_3) | instskip(NEXT) | instid1(VALU_DEP_1)
	v_clz_i32_u32_e32 v0, v10
	v_min_u32_e32 v0, 32, v0
	s_delay_alu instid0(VALU_DEP_1) | instskip(NEXT) | instid1(VALU_DEP_1)
	v_subrev_nc_u32_e32 v1, 28, v0
	v_lshlrev_b64_e32 v[2:3], v1, v[10:11]
	s_delay_alu instid0(VALU_DEP_1)
	v_dual_sub_nc_u32 v0, 29, v0 :: v_dual_bitop2_b32 v10, 7, v2 bitop3:0x40
; %bb.13784:                            ;   in Loop: Header=BB6_13467 Depth=2
	s_or_b32 exec_lo, exec_lo, s29
	v_lshlrev_b32_e32 v1, 16, v54
	s_delay_alu instid0(VALU_DEP_2) | instskip(NEXT) | instid1(VALU_DEP_3)
	v_lshlrev_b32_e32 v2, 20, v10
	v_lshl_add_u32 v0, v0, 23, 0x3c000000
	s_delay_alu instid0(VALU_DEP_3) | instskip(NEXT) | instid1(VALU_DEP_1)
	v_and_b32_e32 v1, 0x80000000, v1
	v_or3_b32 v0, v2, v1, v0
.LBB6_13785:                            ;   in Loop: Header=BB6_13467 Depth=2
	s_or_b32 exec_lo, exec_lo, s28
.LBB6_13786:                            ;   in Loop: Header=BB6_13467 Depth=2
	s_delay_alu instid0(SALU_CYCLE_1)
	s_or_b32 exec_lo, exec_lo, s27
.LBB6_13787:                            ;   in Loop: Header=BB6_13467 Depth=2
	s_delay_alu instid0(SALU_CYCLE_1) | instskip(NEXT) | instid1(VALU_DEP_1)
	s_or_b32 exec_lo, exec_lo, s10
	v_mul_f32_e32 v1, s26, v0
                                        ; implicit-def: $vgpr2
                                        ; kill: killed $vgpr2
	s_mov_b32 s10, exec_lo
	s_delay_alu instid0(VALU_DEP_1) | instskip(SKIP_1) | instid1(VALU_DEP_2)
	v_and_b32_e32 v54, 0x7f800000, v1
	v_lshrrev_b32_e32 v0, 24, v1
	v_cmpx_ne_u64_e32 0x7f800000, v[54:55]
	s_xor_b32 s27, exec_lo, s10
	s_cbranch_execz .LBB6_13801
; %bb.13788:                            ;   in Loop: Header=BB6_13467 Depth=2
	v_and_b32_e32 v54, 0x7fffffff, v1
	v_and_b32_e32 v0, 0x80, v0
                                        ; implicit-def: $vgpr2
                                        ; kill: killed $vgpr2
	s_mov_b32 s10, exec_lo
	s_delay_alu instid0(VALU_DEP_2)
	v_cmpx_gt_u64_e32 0x43e00001, v[54:55]
	s_xor_b32 s28, exec_lo, s10
	s_cbranch_execz .LBB6_13798
; %bb.13789:                            ;   in Loop: Header=BB6_13467 Depth=2
	v_mov_b32_e32 v2, 0
	s_mov_b32 s29, exec_lo
	scratch_store_b32 off, v2, s33 offset:276 ; 4-byte Folded Spill
	s_wait_xcnt 0x0
	v_cmpx_ne_u32_e32 0, v1
	s_cbranch_execz .LBB6_13797
; %bb.13790:                            ;   in Loop: Header=BB6_13467 Depth=2
	v_bfe_u32 v2, v1, 23, 8
	v_and_b32_e32 v1, 0x7fffff, v1
	s_mov_b32 s40, exec_lo
	s_delay_alu instid0(VALU_DEP_2) | instskip(NEXT) | instid1(VALU_DEP_2)
	v_cmp_gt_u32_e32 vcc_lo, 0x7a, v2
	v_or_b32_e32 v6, 0x800000, v1
	v_sub_nc_u32_e32 v3, 0x79, v2
	s_delay_alu instid0(VALU_DEP_1) | instskip(SKIP_1) | instid1(VALU_DEP_2)
	v_cndmask_b32_e32 v3, 0, v3, vcc_lo
	v_cmp_eq_u32_e32 vcc_lo, 0, v2
	v_cndmask_b32_e64 v3, v3, 0x78, vcc_lo
	s_delay_alu instid0(VALU_DEP_1) | instskip(SKIP_1) | instid1(VALU_DEP_2)
	v_dual_cndmask_b32 v54, v6, v1, vcc_lo :: v_dual_add_nc_u32 v4, 20, v3
	v_add_nc_u32_e32 v7, 19, v3
	v_lshrrev_b64 v[10:11], v3, v[54:55]
	s_delay_alu instid0(VALU_DEP_3) | instskip(NEXT) | instid1(VALU_DEP_3)
	v_lshlrev_b64_e64 v[4:5], v4, -1
	v_lshlrev_b64_e64 v[6:7], v7, 1
	s_delay_alu instid0(VALU_DEP_3) | instskip(NEXT) | instid1(VALU_DEP_3)
	v_mov_b64_e32 v[16:17], v[10:11]
	v_bfi_b32 v5, v5, 0, 0
	s_delay_alu instid0(VALU_DEP_4) | instskip(NEXT) | instid1(VALU_DEP_1)
	v_bfi_b32 v4, v4, 0, v54
	v_cmpx_eq_u64_e64 v[4:5], v[6:7]
; %bb.13791:                            ;   in Loop: Header=BB6_13467 Depth=2
	v_bfe_u32 v54, v10, 20, 1
	s_delay_alu instid0(VALU_DEP_1) | instskip(NEXT) | instid1(VALU_DEP_1)
	v_add_nc_u64_e32 v[4:5], v[10:11], v[54:55]
	v_add_nc_u64_e32 v[16:17], -1, v[4:5]
; %bb.13792:                            ;   in Loop: Header=BB6_13467 Depth=2
	s_or_b32 exec_lo, exec_lo, s40
	v_add_nc_u32_e32 v1, 0xffffff81, v2
	v_lshrrev_b32_e32 v2, 23, v10
	s_mov_b32 s10, exec_lo
	s_delay_alu instid0(VALU_DEP_2) | instskip(NEXT) | instid1(VALU_DEP_1)
	v_cndmask_b32_e64 v1, v1, 0xffffff82, vcc_lo
	v_add3_u32 v2, v3, v1, v2
	v_and_b32_e32 v1, 0xfffff, v16
	s_delay_alu instid0(VALU_DEP_2) | instskip(NEXT) | instid1(VALU_DEP_2)
	v_add_nc_u32_e32 v3, 6, v2
	v_add_nc_u32_e32 v54, v1, v10
                                        ; implicit-def: $vgpr10_vgpr11
                                        ; implicit-def: $vgpr1
	s_delay_alu instid0(VALU_DEP_2)
	v_cmpx_ne_u32_e32 0, v3
	s_xor_b32 s10, exec_lo, s10
; %bb.13793:                            ;   in Loop: Header=BB6_13467 Depth=2
	s_delay_alu instid0(VALU_DEP_2) | instskip(SKIP_2) | instid1(VALU_DEP_2)
	v_cmp_lt_u64_e32 vcc_lo, 0xffffff, v[54:55]
	v_add_nc_u32_e32 v1, 7, v2
	v_cndmask_b32_e64 v2, 0, 1, vcc_lo
	v_cndmask_b32_e32 v1, v3, v1, vcc_lo
	s_delay_alu instid0(VALU_DEP_2)
	v_lshrrev_b64 v[10:11], v2, v[54:55]
; %bb.13794:                            ;   in Loop: Header=BB6_13467 Depth=2
	s_and_not1_saveexec_b32 s10, s10
; %bb.13795:                            ;   in Loop: Header=BB6_13467 Depth=2
	v_mov_b64_e32 v[10:11], v[54:55]
	v_bfe_u32 v1, v54, 23, 1
; %bb.13796:                            ;   in Loop: Header=BB6_13467 Depth=2
	s_or_b32 exec_lo, exec_lo, s10
	s_delay_alu instid0(VALU_DEP_2) | instskip(NEXT) | instid1(VALU_DEP_2)
	v_lshrrev_b64 v[2:3], 20, v[10:11]
	v_cmp_gt_i32_e32 vcc_lo, 16, v1
	v_min_i32_e32 v4, 15, v1
	v_cmp_eq_u32_e64 s10, 0, v1
	s_delay_alu instid0(VALU_DEP_2) | instskip(SKIP_1) | instid1(VALU_DEP_2)
	v_dual_cndmask_b32 v3, 0, v3 :: v_dual_lshlrev_b32 v4, 3, v4
	v_cndmask_b32_e32 v2, 7, v2, vcc_lo
	v_and_b32_e32 v4, 0xf8, v4
	s_delay_alu instid0(VALU_DEP_2) | instskip(NEXT) | instid1(VALU_DEP_2)
	v_cmp_eq_u64_e32 vcc_lo, 0, v[2:3]
	v_and_or_b32 v1, v2, 7, v4
	s_and_b32 s10, s10, vcc_lo
	s_delay_alu instid0(VALU_DEP_1) | instid1(SALU_CYCLE_1)
	v_cndmask_b32_e64 v1, v1, 0, s10
	s_delay_alu instid0(VALU_DEP_1)
	v_or_b32_e32 v0, v1, v0
	scratch_store_b32 off, v0, s33 offset:276 ; 4-byte Folded Spill
.LBB6_13797:                            ;   in Loop: Header=BB6_13467 Depth=2
	s_wait_xcnt 0x0
	s_or_b32 exec_lo, exec_lo, s29
                                        ; implicit-def: $vgpr0
.LBB6_13798:                            ;   in Loop: Header=BB6_13467 Depth=2
	s_and_not1_saveexec_b32 s10, s28
	s_cbranch_execz .LBB6_13800
; %bb.13799:                            ;   in Loop: Header=BB6_13467 Depth=2
	v_or_b32_e32 v0, 0x7e, v0
	scratch_store_b32 off, v0, s33 offset:276 ; 4-byte Folded Spill
.LBB6_13800:                            ;   in Loop: Header=BB6_13467 Depth=2
	s_wait_xcnt 0x0
	s_or_b32 exec_lo, exec_lo, s10
                                        ; implicit-def: $vgpr0
.LBB6_13801:                            ;   in Loop: Header=BB6_13467 Depth=2
	s_and_not1_saveexec_b32 s10, s27
	s_cbranch_execz .LBB6_13803
; %bb.13802:                            ;   in Loop: Header=BB6_13467 Depth=2
	v_or_b32_e32 v0, 0x7f, v0
	scratch_store_b32 off, v0, s33 offset:276 ; 4-byte Folded Spill
.LBB6_13803:                            ;   in Loop: Header=BB6_13467 Depth=2
	s_wait_xcnt 0x0
	s_or_b32 exec_lo, exec_lo, s10
	v_dual_mov_b32 v1, 0 :: v_dual_lshrrev_b32 v0, 16, v13
	s_mov_b32 s10, exec_lo
	s_delay_alu instid0(VALU_DEP_1) | instskip(NEXT) | instid1(VALU_DEP_1)
	v_and_b32_e32 v2, 0xff, v0
	v_cmpx_ne_u16_e32 0, v2
	s_cbranch_execz .LBB6_13811
; %bb.13804:                            ;   in Loop: Header=BB6_13467 Depth=2
	v_bfrev_b32_e32 v1, 1
	s_mov_b32 s27, exec_lo
	v_cmpx_ne_u16_e32 0x80, v2
	s_cbranch_execz .LBB6_13810
; %bb.13805:                            ;   in Loop: Header=BB6_13467 Depth=2
	v_bfe_u32 v2, v13, 16, 7
	v_mov_b32_e32 v1, 0x7f800001
	s_mov_b32 s28, exec_lo
	s_delay_alu instid0(VALU_DEP_2)
	v_cmpx_ne_u32_e32 0x7f, v2
	s_cbranch_execz .LBB6_13809
; %bb.13806:                            ;   in Loop: Header=BB6_13467 Depth=2
	v_dual_lshrrev_b32 v1, 3, v2 :: v_dual_bitop2_b32 v54, 7, v0 bitop3:0x40
	s_mov_b32 s29, exec_lo
	v_cmpx_gt_u32_e32 8, v2
; %bb.13807:                            ;   in Loop: Header=BB6_13467 Depth=2
	s_delay_alu instid0(VALU_DEP_2) | instskip(NEXT) | instid1(VALU_DEP_1)
	v_clz_i32_u32_e32 v1, v54
	v_min_u32_e32 v1, 32, v1
	s_delay_alu instid0(VALU_DEP_1) | instskip(NEXT) | instid1(VALU_DEP_1)
	v_subrev_nc_u32_e32 v2, 28, v1
	v_lshlrev_b64_e32 v[2:3], v2, v[54:55]
	s_delay_alu instid0(VALU_DEP_1)
	v_dual_sub_nc_u32 v1, 29, v1 :: v_dual_bitop2_b32 v54, 7, v2 bitop3:0x40
; %bb.13808:                            ;   in Loop: Header=BB6_13467 Depth=2
	s_or_b32 exec_lo, exec_lo, s29
	s_delay_alu instid0(VALU_DEP_1) | instskip(NEXT) | instid1(VALU_DEP_2)
	v_dual_lshlrev_b32 v0, 24, v0 :: v_dual_lshlrev_b32 v2, 20, v54
	v_lshl_add_u32 v1, v1, 23, 0x3c000000
	s_delay_alu instid0(VALU_DEP_2) | instskip(NEXT) | instid1(VALU_DEP_1)
	v_and_b32_e32 v0, 0x80000000, v0
	v_or3_b32 v1, v2, v0, v1
.LBB6_13809:                            ;   in Loop: Header=BB6_13467 Depth=2
	s_or_b32 exec_lo, exec_lo, s28
.LBB6_13810:                            ;   in Loop: Header=BB6_13467 Depth=2
	s_delay_alu instid0(SALU_CYCLE_1)
	s_or_b32 exec_lo, exec_lo, s27
.LBB6_13811:                            ;   in Loop: Header=BB6_13467 Depth=2
	s_delay_alu instid0(SALU_CYCLE_1) | instskip(NEXT) | instid1(VALU_DEP_1)
	s_or_b32 exec_lo, exec_lo, s10
	v_mul_f32_e32 v1, s26, v1
                                        ; implicit-def: $vgpr2
                                        ; kill: killed $vgpr2
	s_mov_b32 s10, exec_lo
	s_delay_alu instid0(VALU_DEP_1) | instskip(SKIP_1) | instid1(VALU_DEP_2)
	v_and_b32_e32 v54, 0x7f800000, v1
	v_lshrrev_b32_e32 v0, 24, v1
	v_cmpx_ne_u64_e32 0x7f800000, v[54:55]
	s_xor_b32 s27, exec_lo, s10
	s_cbranch_execz .LBB6_13825
; %bb.13812:                            ;   in Loop: Header=BB6_13467 Depth=2
	v_and_b32_e32 v54, 0x7fffffff, v1
	v_and_b32_e32 v0, 0x80, v0
                                        ; implicit-def: $vgpr2
                                        ; kill: killed $vgpr2
	s_mov_b32 s10, exec_lo
	s_delay_alu instid0(VALU_DEP_2)
	v_cmpx_gt_u64_e32 0x43e00001, v[54:55]
	s_xor_b32 s28, exec_lo, s10
	s_cbranch_execz .LBB6_13822
; %bb.13813:                            ;   in Loop: Header=BB6_13467 Depth=2
	v_mov_b32_e32 v2, 0
	s_mov_b32 s29, exec_lo
	scratch_store_b32 off, v2, s33 offset:280 ; 4-byte Folded Spill
	s_wait_xcnt 0x0
	v_cmpx_ne_u32_e32 0, v1
	s_cbranch_execz .LBB6_13821
; %bb.13814:                            ;   in Loop: Header=BB6_13467 Depth=2
	v_bfe_u32 v2, v1, 23, 8
	v_and_b32_e32 v1, 0x7fffff, v1
	s_mov_b32 s40, exec_lo
	s_delay_alu instid0(VALU_DEP_2) | instskip(NEXT) | instid1(VALU_DEP_2)
	v_cmp_gt_u32_e32 vcc_lo, 0x7a, v2
	v_or_b32_e32 v6, 0x800000, v1
	v_sub_nc_u32_e32 v3, 0x79, v2
	s_delay_alu instid0(VALU_DEP_1) | instskip(SKIP_1) | instid1(VALU_DEP_2)
	v_cndmask_b32_e32 v3, 0, v3, vcc_lo
	v_cmp_eq_u32_e32 vcc_lo, 0, v2
	v_cndmask_b32_e64 v3, v3, 0x78, vcc_lo
	s_delay_alu instid0(VALU_DEP_1) | instskip(SKIP_1) | instid1(VALU_DEP_2)
	v_dual_cndmask_b32 v54, v6, v1, vcc_lo :: v_dual_add_nc_u32 v4, 20, v3
	v_add_nc_u32_e32 v7, 19, v3
	v_lshrrev_b64 v[10:11], v3, v[54:55]
	s_delay_alu instid0(VALU_DEP_3) | instskip(NEXT) | instid1(VALU_DEP_3)
	v_lshlrev_b64_e64 v[4:5], v4, -1
	v_lshlrev_b64_e64 v[6:7], v7, 1
	s_delay_alu instid0(VALU_DEP_3) | instskip(NEXT) | instid1(VALU_DEP_3)
	v_mov_b64_e32 v[16:17], v[10:11]
	v_bfi_b32 v5, v5, 0, 0
	s_delay_alu instid0(VALU_DEP_4) | instskip(NEXT) | instid1(VALU_DEP_1)
	v_bfi_b32 v4, v4, 0, v54
	v_cmpx_eq_u64_e64 v[4:5], v[6:7]
; %bb.13815:                            ;   in Loop: Header=BB6_13467 Depth=2
	v_bfe_u32 v54, v10, 20, 1
	s_delay_alu instid0(VALU_DEP_1) | instskip(NEXT) | instid1(VALU_DEP_1)
	v_add_nc_u64_e32 v[4:5], v[10:11], v[54:55]
	v_add_nc_u64_e32 v[16:17], -1, v[4:5]
; %bb.13816:                            ;   in Loop: Header=BB6_13467 Depth=2
	s_or_b32 exec_lo, exec_lo, s40
	v_add_nc_u32_e32 v1, 0xffffff81, v2
	v_lshrrev_b32_e32 v2, 23, v10
	s_mov_b32 s10, exec_lo
	s_delay_alu instid0(VALU_DEP_2) | instskip(NEXT) | instid1(VALU_DEP_1)
	v_cndmask_b32_e64 v1, v1, 0xffffff82, vcc_lo
	v_add3_u32 v2, v3, v1, v2
	v_and_b32_e32 v1, 0xfffff, v16
	s_delay_alu instid0(VALU_DEP_2) | instskip(NEXT) | instid1(VALU_DEP_2)
	v_add_nc_u32_e32 v3, 6, v2
	v_add_nc_u32_e32 v54, v1, v10
                                        ; implicit-def: $vgpr10_vgpr11
                                        ; implicit-def: $vgpr1
	s_delay_alu instid0(VALU_DEP_2)
	v_cmpx_ne_u32_e32 0, v3
	s_xor_b32 s10, exec_lo, s10
; %bb.13817:                            ;   in Loop: Header=BB6_13467 Depth=2
	s_delay_alu instid0(VALU_DEP_2) | instskip(SKIP_2) | instid1(VALU_DEP_2)
	v_cmp_lt_u64_e32 vcc_lo, 0xffffff, v[54:55]
	v_add_nc_u32_e32 v1, 7, v2
	v_cndmask_b32_e64 v2, 0, 1, vcc_lo
	v_cndmask_b32_e32 v1, v3, v1, vcc_lo
	s_delay_alu instid0(VALU_DEP_2)
	v_lshrrev_b64 v[10:11], v2, v[54:55]
; %bb.13818:                            ;   in Loop: Header=BB6_13467 Depth=2
	s_and_not1_saveexec_b32 s10, s10
; %bb.13819:                            ;   in Loop: Header=BB6_13467 Depth=2
	v_mov_b64_e32 v[10:11], v[54:55]
	v_bfe_u32 v1, v54, 23, 1
; %bb.13820:                            ;   in Loop: Header=BB6_13467 Depth=2
	s_or_b32 exec_lo, exec_lo, s10
	s_delay_alu instid0(VALU_DEP_2) | instskip(NEXT) | instid1(VALU_DEP_2)
	v_lshrrev_b64 v[2:3], 20, v[10:11]
	v_cmp_gt_i32_e32 vcc_lo, 16, v1
	v_min_i32_e32 v4, 15, v1
	v_cmp_eq_u32_e64 s10, 0, v1
	s_delay_alu instid0(VALU_DEP_2) | instskip(SKIP_1) | instid1(VALU_DEP_2)
	v_dual_cndmask_b32 v3, 0, v3 :: v_dual_lshlrev_b32 v4, 3, v4
	v_cndmask_b32_e32 v2, 7, v2, vcc_lo
	v_and_b32_e32 v4, 0xf8, v4
	s_delay_alu instid0(VALU_DEP_2) | instskip(NEXT) | instid1(VALU_DEP_2)
	v_cmp_eq_u64_e32 vcc_lo, 0, v[2:3]
	v_and_or_b32 v1, v2, 7, v4
	s_and_b32 s10, s10, vcc_lo
	s_delay_alu instid0(VALU_DEP_1) | instid1(SALU_CYCLE_1)
	v_cndmask_b32_e64 v1, v1, 0, s10
	s_delay_alu instid0(VALU_DEP_1)
	v_or_b32_e32 v0, v1, v0
	scratch_store_b32 off, v0, s33 offset:280 ; 4-byte Folded Spill
.LBB6_13821:                            ;   in Loop: Header=BB6_13467 Depth=2
	s_wait_xcnt 0x0
	s_or_b32 exec_lo, exec_lo, s29
                                        ; implicit-def: $vgpr0
.LBB6_13822:                            ;   in Loop: Header=BB6_13467 Depth=2
	s_and_not1_saveexec_b32 s10, s28
	s_cbranch_execz .LBB6_13824
; %bb.13823:                            ;   in Loop: Header=BB6_13467 Depth=2
	v_or_b32_e32 v0, 0x7e, v0
	scratch_store_b32 off, v0, s33 offset:280 ; 4-byte Folded Spill
.LBB6_13824:                            ;   in Loop: Header=BB6_13467 Depth=2
	s_wait_xcnt 0x0
	s_or_b32 exec_lo, exec_lo, s10
                                        ; implicit-def: $vgpr0
.LBB6_13825:                            ;   in Loop: Header=BB6_13467 Depth=2
	s_and_not1_saveexec_b32 s10, s27
	s_cbranch_execz .LBB6_13827
; %bb.13826:                            ;   in Loop: Header=BB6_13467 Depth=2
	v_or_b32_e32 v0, 0x7f, v0
	scratch_store_b32 off, v0, s33 offset:280 ; 4-byte Folded Spill
.LBB6_13827:                            ;   in Loop: Header=BB6_13467 Depth=2
	s_wait_xcnt 0x0
	s_or_b32 exec_lo, exec_lo, s10
	v_mov_b32_e32 v1, 0
	s_mov_b32 s10, exec_lo
	v_cmpx_lt_u64_e64 s[12:13], v[12:13]
	s_cbranch_execz .LBB6_13835
; %bb.13828:                            ;   in Loop: Header=BB6_13467 Depth=2
	v_lshrrev_b32_e32 v0, 24, v13
	v_bfrev_b32_e32 v1, 1
	s_mov_b32 s27, exec_lo
	s_delay_alu instid0(VALU_DEP_2)
	v_cmpx_ne_u32_e32 0x80, v0
	s_cbranch_execz .LBB6_13834
; %bb.13829:                            ;   in Loop: Header=BB6_13467 Depth=2
	v_bfe_u32 v2, v13, 24, 7
	v_mov_b32_e32 v1, 0x7f800001
	s_mov_b32 s28, exec_lo
	s_delay_alu instid0(VALU_DEP_2)
	v_cmpx_ne_u32_e32 0x7f, v2
	s_cbranch_execz .LBB6_13833
; %bb.13830:                            ;   in Loop: Header=BB6_13467 Depth=2
	v_dual_lshrrev_b32 v1, 3, v2 :: v_dual_bitop2_b32 v54, 7, v0 bitop3:0x40
	s_mov_b32 s29, exec_lo
	v_cmpx_gt_u32_e32 8, v2
; %bb.13831:                            ;   in Loop: Header=BB6_13467 Depth=2
	s_delay_alu instid0(VALU_DEP_2) | instskip(NEXT) | instid1(VALU_DEP_1)
	v_clz_i32_u32_e32 v1, v54
	v_min_u32_e32 v1, 32, v1
	s_delay_alu instid0(VALU_DEP_1) | instskip(NEXT) | instid1(VALU_DEP_1)
	v_subrev_nc_u32_e32 v2, 28, v1
	v_lshlrev_b64_e32 v[2:3], v2, v[54:55]
	s_delay_alu instid0(VALU_DEP_1)
	v_dual_sub_nc_u32 v1, 29, v1 :: v_dual_bitop2_b32 v54, 7, v2 bitop3:0x40
; %bb.13832:                            ;   in Loop: Header=BB6_13467 Depth=2
	s_or_b32 exec_lo, exec_lo, s29
	s_delay_alu instid0(VALU_DEP_1) | instskip(NEXT) | instid1(VALU_DEP_2)
	v_dual_lshlrev_b32 v0, 24, v0 :: v_dual_lshlrev_b32 v2, 20, v54
	v_lshl_add_u32 v1, v1, 23, 0x3c000000
	s_delay_alu instid0(VALU_DEP_2) | instskip(NEXT) | instid1(VALU_DEP_1)
	v_and_b32_e32 v0, 0x80000000, v0
	v_or3_b32 v1, v2, v0, v1
.LBB6_13833:                            ;   in Loop: Header=BB6_13467 Depth=2
	s_or_b32 exec_lo, exec_lo, s28
.LBB6_13834:                            ;   in Loop: Header=BB6_13467 Depth=2
	s_delay_alu instid0(SALU_CYCLE_1)
	s_or_b32 exec_lo, exec_lo, s27
.LBB6_13835:                            ;   in Loop: Header=BB6_13467 Depth=2
	s_delay_alu instid0(SALU_CYCLE_1) | instskip(NEXT) | instid1(VALU_DEP_1)
	s_or_b32 exec_lo, exec_lo, s10
	v_mul_f32_e32 v1, s26, v1
                                        ; implicit-def: $vgpr2
                                        ; kill: killed $vgpr2
	s_mov_b32 s10, exec_lo
	s_delay_alu instid0(VALU_DEP_1) | instskip(SKIP_1) | instid1(VALU_DEP_2)
	v_and_b32_e32 v54, 0x7f800000, v1
	v_lshrrev_b32_e32 v0, 24, v1
	v_cmpx_ne_u64_e32 0x7f800000, v[54:55]
	s_xor_b32 s27, exec_lo, s10
	s_cbranch_execz .LBB6_13849
; %bb.13836:                            ;   in Loop: Header=BB6_13467 Depth=2
	v_and_b32_e32 v54, 0x7fffffff, v1
	v_and_b32_e32 v0, 0x80, v0
                                        ; implicit-def: $vgpr2
                                        ; kill: killed $vgpr2
	s_mov_b32 s10, exec_lo
	s_delay_alu instid0(VALU_DEP_2)
	v_cmpx_gt_u64_e32 0x43e00001, v[54:55]
	s_xor_b32 s28, exec_lo, s10
	s_cbranch_execz .LBB6_13846
; %bb.13837:                            ;   in Loop: Header=BB6_13467 Depth=2
	v_mov_b32_e32 v2, 0
	s_mov_b32 s29, exec_lo
	scratch_store_b32 off, v2, s33 offset:284 ; 4-byte Folded Spill
	s_wait_xcnt 0x0
	v_cmpx_ne_u32_e32 0, v1
	s_cbranch_execz .LBB6_13845
; %bb.13838:                            ;   in Loop: Header=BB6_13467 Depth=2
	v_bfe_u32 v2, v1, 23, 8
	v_and_b32_e32 v1, 0x7fffff, v1
	s_mov_b32 s40, exec_lo
	s_delay_alu instid0(VALU_DEP_2) | instskip(NEXT) | instid1(VALU_DEP_2)
	v_cmp_gt_u32_e32 vcc_lo, 0x7a, v2
	v_or_b32_e32 v6, 0x800000, v1
	v_sub_nc_u32_e32 v3, 0x79, v2
	s_delay_alu instid0(VALU_DEP_1) | instskip(SKIP_1) | instid1(VALU_DEP_2)
	v_cndmask_b32_e32 v3, 0, v3, vcc_lo
	v_cmp_eq_u32_e32 vcc_lo, 0, v2
	v_cndmask_b32_e64 v3, v3, 0x78, vcc_lo
	s_delay_alu instid0(VALU_DEP_1) | instskip(SKIP_1) | instid1(VALU_DEP_2)
	v_dual_cndmask_b32 v54, v6, v1, vcc_lo :: v_dual_add_nc_u32 v4, 20, v3
	v_add_nc_u32_e32 v7, 19, v3
	v_lshrrev_b64 v[10:11], v3, v[54:55]
	s_delay_alu instid0(VALU_DEP_3) | instskip(NEXT) | instid1(VALU_DEP_3)
	v_lshlrev_b64_e64 v[4:5], v4, -1
	v_lshlrev_b64_e64 v[6:7], v7, 1
	s_delay_alu instid0(VALU_DEP_3) | instskip(NEXT) | instid1(VALU_DEP_3)
	v_mov_b64_e32 v[12:13], v[10:11]
	v_bfi_b32 v5, v5, 0, 0
	s_delay_alu instid0(VALU_DEP_4) | instskip(NEXT) | instid1(VALU_DEP_1)
	v_bfi_b32 v4, v4, 0, v54
	v_cmpx_eq_u64_e64 v[4:5], v[6:7]
; %bb.13839:                            ;   in Loop: Header=BB6_13467 Depth=2
	v_bfe_u32 v54, v10, 20, 1
	s_delay_alu instid0(VALU_DEP_1) | instskip(NEXT) | instid1(VALU_DEP_1)
	v_add_nc_u64_e32 v[4:5], v[10:11], v[54:55]
	v_add_nc_u64_e32 v[12:13], -1, v[4:5]
; %bb.13840:                            ;   in Loop: Header=BB6_13467 Depth=2
	s_or_b32 exec_lo, exec_lo, s40
	v_add_nc_u32_e32 v1, 0xffffff81, v2
	v_lshrrev_b32_e32 v2, 23, v10
	s_mov_b32 s10, exec_lo
	s_delay_alu instid0(VALU_DEP_2) | instskip(NEXT) | instid1(VALU_DEP_1)
	v_cndmask_b32_e64 v1, v1, 0xffffff82, vcc_lo
	v_add3_u32 v2, v3, v1, v2
	v_and_b32_e32 v1, 0xfffff, v12
	s_delay_alu instid0(VALU_DEP_2) | instskip(NEXT) | instid1(VALU_DEP_2)
	v_add_nc_u32_e32 v3, 6, v2
	v_add_nc_u32_e32 v54, v1, v10
                                        ; implicit-def: $vgpr10_vgpr11
                                        ; implicit-def: $vgpr1
	s_delay_alu instid0(VALU_DEP_2)
	v_cmpx_ne_u32_e32 0, v3
	s_xor_b32 s10, exec_lo, s10
; %bb.13841:                            ;   in Loop: Header=BB6_13467 Depth=2
	s_delay_alu instid0(VALU_DEP_2) | instskip(SKIP_2) | instid1(VALU_DEP_2)
	v_cmp_lt_u64_e32 vcc_lo, 0xffffff, v[54:55]
	v_add_nc_u32_e32 v1, 7, v2
	v_cndmask_b32_e64 v2, 0, 1, vcc_lo
	v_cndmask_b32_e32 v1, v3, v1, vcc_lo
	s_delay_alu instid0(VALU_DEP_2)
	v_lshrrev_b64 v[10:11], v2, v[54:55]
; %bb.13842:                            ;   in Loop: Header=BB6_13467 Depth=2
	s_and_not1_saveexec_b32 s10, s10
; %bb.13843:                            ;   in Loop: Header=BB6_13467 Depth=2
	v_mov_b64_e32 v[10:11], v[54:55]
	v_bfe_u32 v1, v54, 23, 1
; %bb.13844:                            ;   in Loop: Header=BB6_13467 Depth=2
	s_or_b32 exec_lo, exec_lo, s10
	s_delay_alu instid0(VALU_DEP_2) | instskip(NEXT) | instid1(VALU_DEP_2)
	v_lshrrev_b64 v[2:3], 20, v[10:11]
	v_cmp_gt_i32_e32 vcc_lo, 16, v1
	v_min_i32_e32 v4, 15, v1
	v_cmp_eq_u32_e64 s10, 0, v1
	s_delay_alu instid0(VALU_DEP_2) | instskip(SKIP_1) | instid1(VALU_DEP_2)
	v_dual_cndmask_b32 v3, 0, v3 :: v_dual_lshlrev_b32 v4, 3, v4
	v_cndmask_b32_e32 v2, 7, v2, vcc_lo
	v_and_b32_e32 v4, 0xf8, v4
	s_delay_alu instid0(VALU_DEP_2) | instskip(NEXT) | instid1(VALU_DEP_2)
	v_cmp_eq_u64_e32 vcc_lo, 0, v[2:3]
	v_and_or_b32 v1, v2, 7, v4
	s_and_b32 s10, s10, vcc_lo
	s_delay_alu instid0(VALU_DEP_1) | instid1(SALU_CYCLE_1)
	v_cndmask_b32_e64 v1, v1, 0, s10
	s_delay_alu instid0(VALU_DEP_1)
	v_or_b32_e32 v0, v1, v0
	scratch_store_b32 off, v0, s33 offset:284 ; 4-byte Folded Spill
.LBB6_13845:                            ;   in Loop: Header=BB6_13467 Depth=2
	s_wait_xcnt 0x0
	s_or_b32 exec_lo, exec_lo, s29
                                        ; implicit-def: $vgpr0
.LBB6_13846:                            ;   in Loop: Header=BB6_13467 Depth=2
	s_and_not1_saveexec_b32 s10, s28
	s_cbranch_execz .LBB6_13848
; %bb.13847:                            ;   in Loop: Header=BB6_13467 Depth=2
	v_or_b32_e32 v0, 0x7e, v0
	scratch_store_b32 off, v0, s33 offset:284 ; 4-byte Folded Spill
.LBB6_13848:                            ;   in Loop: Header=BB6_13467 Depth=2
	s_wait_xcnt 0x0
	s_or_b32 exec_lo, exec_lo, s10
                                        ; implicit-def: $vgpr0
.LBB6_13849:                            ;   in Loop: Header=BB6_13467 Depth=2
	s_and_not1_saveexec_b32 s10, s27
	s_cbranch_execz .LBB6_13851
; %bb.13850:                            ;   in Loop: Header=BB6_13467 Depth=2
	v_or_b32_e32 v0, 0x7f, v0
	scratch_store_b32 off, v0, s33 offset:284 ; 4-byte Folded Spill
.LBB6_13851:                            ;   in Loop: Header=BB6_13467 Depth=2
	s_wait_xcnt 0x0
	s_or_b32 exec_lo, exec_lo, s10
	global_load_b128 v[10:13], v[14:15], off offset:512 th:TH_LOAD_NT
	v_mov_b32_e32 v0, 0
	s_mov_b32 s10, exec_lo
	s_wait_loadcnt 0x0
	v_and_b32_e32 v1, 0xff, v10
	s_wait_xcnt 0x0
	s_delay_alu instid0(VALU_DEP_1)
	v_cmpx_ne_u16_e32 0, v1
	s_cbranch_execz .LBB6_13857
; %bb.13852:                            ;   in Loop: Header=BB6_13467 Depth=2
	v_bfrev_b32_e32 v0, 1
	s_mov_b32 s27, exec_lo
	v_cmpx_ne_u16_e32 0x80, v1
	s_cbranch_execz .LBB6_13856
; %bb.13853:                            ;   in Loop: Header=BB6_13467 Depth=2
	v_and_b32_e32 v1, 0x7f, v10
	v_mov_b32_e32 v0, 0x7f800001
	s_mov_b32 s28, exec_lo
	s_delay_alu instid0(VALU_DEP_2)
	v_cmpx_ne_u32_e32 0x7f, v1
	s_cbranch_execz .LBB6_13855
; %bb.13854:                            ;   in Loop: Header=BB6_13467 Depth=2
	v_dual_lshrrev_b32 v2, 3, v1 :: v_dual_bitop2_b32 v0, 7, v10 bitop3:0x40
	v_cmp_gt_u32_e32 vcc_lo, 8, v1
	s_delay_alu instid0(VALU_DEP_2) | instskip(NEXT) | instid1(VALU_DEP_1)
	v_clz_i32_u32_e32 v0, v0
	v_min_u32_e32 v0, 32, v0
	s_delay_alu instid0(VALU_DEP_1) | instskip(SKIP_1) | instid1(VALU_DEP_1)
	v_subrev_nc_u32_e32 v3, 28, v0
	v_sub_nc_u32_e32 v0, 29, v0
	v_dual_cndmask_b32 v2, v2, v0, vcc_lo :: v_dual_cndmask_b32 v0, 0, v3, vcc_lo
	s_delay_alu instid0(VALU_DEP_1) | instskip(NEXT) | instid1(VALU_DEP_2)
	v_lshl_add_u32 v2, v2, 23, 0x3c000000
	v_lshlrev_b64_e32 v[0:1], v0, v[10:11]
	v_lshlrev_b32_e32 v1, 24, v10
	s_delay_alu instid0(VALU_DEP_1) | instskip(NEXT) | instid1(VALU_DEP_3)
	v_and_b32_e32 v1, 0x80000000, v1
	v_lshlrev_b32_e32 v0, 20, v0
	s_delay_alu instid0(VALU_DEP_1) | instskip(NEXT) | instid1(VALU_DEP_1)
	v_and_b32_e32 v0, 0x700000, v0
	v_or3_b32 v0, v0, v1, v2
.LBB6_13855:                            ;   in Loop: Header=BB6_13467 Depth=2
	s_or_b32 exec_lo, exec_lo, s28
.LBB6_13856:                            ;   in Loop: Header=BB6_13467 Depth=2
	s_delay_alu instid0(SALU_CYCLE_1)
	s_or_b32 exec_lo, exec_lo, s27
.LBB6_13857:                            ;   in Loop: Header=BB6_13467 Depth=2
	s_delay_alu instid0(SALU_CYCLE_1) | instskip(NEXT) | instid1(VALU_DEP_1)
	s_or_b32 exec_lo, exec_lo, s10
	v_mul_f32_e32 v1, s26, v0
                                        ; implicit-def: $vgpr2
                                        ; kill: killed $vgpr2
	s_mov_b32 s10, exec_lo
	s_delay_alu instid0(VALU_DEP_1) | instskip(SKIP_1) | instid1(VALU_DEP_2)
	v_and_b32_e32 v54, 0x7f800000, v1
	v_lshrrev_b32_e32 v0, 24, v1
	v_cmpx_ne_u64_e32 0x7f800000, v[54:55]
	s_xor_b32 s27, exec_lo, s10
	s_cbranch_execz .LBB6_13871
; %bb.13858:                            ;   in Loop: Header=BB6_13467 Depth=2
	v_and_b32_e32 v54, 0x7fffffff, v1
	v_and_b32_e32 v0, 0x80, v0
                                        ; implicit-def: $vgpr2
                                        ; kill: killed $vgpr2
	s_mov_b32 s10, exec_lo
	s_delay_alu instid0(VALU_DEP_2)
	v_cmpx_gt_u64_e32 0x43e00001, v[54:55]
	s_xor_b32 s28, exec_lo, s10
	s_cbranch_execz .LBB6_13868
; %bb.13859:                            ;   in Loop: Header=BB6_13467 Depth=2
	v_mov_b32_e32 v2, 0
	s_mov_b32 s29, exec_lo
	scratch_store_b32 off, v2, s33 offset:288 ; 4-byte Folded Spill
	s_wait_xcnt 0x0
	v_cmpx_ne_u32_e32 0, v1
	s_cbranch_execz .LBB6_13867
; %bb.13860:                            ;   in Loop: Header=BB6_13467 Depth=2
	v_bfe_u32 v2, v1, 23, 8
	v_and_b32_e32 v1, 0x7fffff, v1
	s_mov_b32 s40, exec_lo
	s_delay_alu instid0(VALU_DEP_2) | instskip(NEXT) | instid1(VALU_DEP_2)
	v_cmp_gt_u32_e32 vcc_lo, 0x7a, v2
	v_or_b32_e32 v6, 0x800000, v1
	v_sub_nc_u32_e32 v3, 0x79, v2
	s_delay_alu instid0(VALU_DEP_1) | instskip(SKIP_1) | instid1(VALU_DEP_2)
	v_cndmask_b32_e32 v3, 0, v3, vcc_lo
	v_cmp_eq_u32_e32 vcc_lo, 0, v2
	v_cndmask_b32_e64 v3, v3, 0x78, vcc_lo
	s_delay_alu instid0(VALU_DEP_1) | instskip(SKIP_1) | instid1(VALU_DEP_2)
	v_dual_cndmask_b32 v54, v6, v1, vcc_lo :: v_dual_add_nc_u32 v4, 20, v3
	v_add_nc_u32_e32 v7, 19, v3
	v_lshrrev_b64 v[16:17], v3, v[54:55]
	s_delay_alu instid0(VALU_DEP_3) | instskip(NEXT) | instid1(VALU_DEP_3)
	v_lshlrev_b64_e64 v[4:5], v4, -1
	v_lshlrev_b64_e64 v[6:7], v7, 1
	s_delay_alu instid0(VALU_DEP_3) | instskip(NEXT) | instid1(VALU_DEP_3)
	v_mov_b64_e32 v[18:19], v[16:17]
	v_bfi_b32 v5, v5, 0, 0
	s_delay_alu instid0(VALU_DEP_4) | instskip(NEXT) | instid1(VALU_DEP_1)
	v_bfi_b32 v4, v4, 0, v54
	v_cmpx_eq_u64_e64 v[4:5], v[6:7]
; %bb.13861:                            ;   in Loop: Header=BB6_13467 Depth=2
	v_bfe_u32 v54, v16, 20, 1
	s_delay_alu instid0(VALU_DEP_1) | instskip(NEXT) | instid1(VALU_DEP_1)
	v_add_nc_u64_e32 v[4:5], v[16:17], v[54:55]
	v_add_nc_u64_e32 v[18:19], -1, v[4:5]
; %bb.13862:                            ;   in Loop: Header=BB6_13467 Depth=2
	s_or_b32 exec_lo, exec_lo, s40
	v_add_nc_u32_e32 v1, 0xffffff81, v2
	v_lshrrev_b32_e32 v2, 23, v16
	s_mov_b32 s10, exec_lo
	s_delay_alu instid0(VALU_DEP_2) | instskip(NEXT) | instid1(VALU_DEP_1)
	v_cndmask_b32_e64 v1, v1, 0xffffff82, vcc_lo
	v_add3_u32 v2, v3, v1, v2
	v_and_b32_e32 v1, 0xfffff, v18
	s_delay_alu instid0(VALU_DEP_1) | instskip(NEXT) | instid1(VALU_DEP_1)
	v_dual_add_nc_u32 v3, 6, v2 :: v_dual_add_nc_u32 v54, v1, v16
                                        ; implicit-def: $vgpr16_vgpr17
                                        ; implicit-def: $vgpr1
	v_cmpx_ne_u32_e32 0, v3
	s_xor_b32 s10, exec_lo, s10
; %bb.13863:                            ;   in Loop: Header=BB6_13467 Depth=2
	s_delay_alu instid0(VALU_DEP_2) | instskip(SKIP_2) | instid1(VALU_DEP_2)
	v_cmp_lt_u64_e32 vcc_lo, 0xffffff, v[54:55]
	v_add_nc_u32_e32 v1, 7, v2
	v_cndmask_b32_e64 v2, 0, 1, vcc_lo
	v_cndmask_b32_e32 v1, v3, v1, vcc_lo
	s_delay_alu instid0(VALU_DEP_2)
	v_lshrrev_b64 v[16:17], v2, v[54:55]
; %bb.13864:                            ;   in Loop: Header=BB6_13467 Depth=2
	s_and_not1_saveexec_b32 s10, s10
; %bb.13865:                            ;   in Loop: Header=BB6_13467 Depth=2
	v_mov_b64_e32 v[16:17], v[54:55]
	v_bfe_u32 v1, v54, 23, 1
; %bb.13866:                            ;   in Loop: Header=BB6_13467 Depth=2
	s_or_b32 exec_lo, exec_lo, s10
	s_delay_alu instid0(VALU_DEP_2) | instskip(NEXT) | instid1(VALU_DEP_2)
	v_lshrrev_b64 v[2:3], 20, v[16:17]
	v_cmp_gt_i32_e32 vcc_lo, 16, v1
	v_min_i32_e32 v4, 15, v1
	v_cmp_eq_u32_e64 s10, 0, v1
	s_delay_alu instid0(VALU_DEP_2) | instskip(SKIP_1) | instid1(VALU_DEP_2)
	v_dual_cndmask_b32 v3, 0, v3 :: v_dual_lshlrev_b32 v4, 3, v4
	v_cndmask_b32_e32 v2, 7, v2, vcc_lo
	v_and_b32_e32 v4, 0xf8, v4
	s_delay_alu instid0(VALU_DEP_2) | instskip(NEXT) | instid1(VALU_DEP_2)
	v_cmp_eq_u64_e32 vcc_lo, 0, v[2:3]
	v_and_or_b32 v1, v2, 7, v4
	s_and_b32 s10, s10, vcc_lo
	s_delay_alu instid0(VALU_DEP_1) | instid1(SALU_CYCLE_1)
	v_cndmask_b32_e64 v1, v1, 0, s10
	s_delay_alu instid0(VALU_DEP_1)
	v_or_b32_e32 v0, v1, v0
	scratch_store_b32 off, v0, s33 offset:288 ; 4-byte Folded Spill
.LBB6_13867:                            ;   in Loop: Header=BB6_13467 Depth=2
	s_wait_xcnt 0x0
	s_or_b32 exec_lo, exec_lo, s29
                                        ; implicit-def: $vgpr0
.LBB6_13868:                            ;   in Loop: Header=BB6_13467 Depth=2
	s_and_not1_saveexec_b32 s10, s28
	s_cbranch_execz .LBB6_13870
; %bb.13869:                            ;   in Loop: Header=BB6_13467 Depth=2
	v_or_b32_e32 v0, 0x7e, v0
	scratch_store_b32 off, v0, s33 offset:288 ; 4-byte Folded Spill
.LBB6_13870:                            ;   in Loop: Header=BB6_13467 Depth=2
	s_wait_xcnt 0x0
	s_or_b32 exec_lo, exec_lo, s10
                                        ; implicit-def: $vgpr0
.LBB6_13871:                            ;   in Loop: Header=BB6_13467 Depth=2
	s_and_not1_saveexec_b32 s10, s27
	s_cbranch_execz .LBB6_13873
; %bb.13872:                            ;   in Loop: Header=BB6_13467 Depth=2
	v_or_b32_e32 v0, 0x7f, v0
	scratch_store_b32 off, v0, s33 offset:288 ; 4-byte Folded Spill
.LBB6_13873:                            ;   in Loop: Header=BB6_13467 Depth=2
	s_wait_xcnt 0x0
	s_or_b32 exec_lo, exec_lo, s10
	v_lshrrev_b16 v1, 8, v10
	v_mov_b32_e32 v0, 0
	s_mov_b32 s10, exec_lo
	s_delay_alu instid0(VALU_DEP_2)
	v_cmpx_ne_u16_e32 0, v1
	s_cbranch_execz .LBB6_13881
; %bb.13874:                            ;   in Loop: Header=BB6_13467 Depth=2
	v_bfrev_b32_e32 v0, 1
	s_mov_b32 s27, exec_lo
	v_cmpx_ne_u16_e32 0x80, v1
	s_cbranch_execz .LBB6_13880
; %bb.13875:                            ;   in Loop: Header=BB6_13467 Depth=2
	v_and_b32_e32 v2, 0xffff, v1
	v_mov_b32_e32 v0, 0x7f800001
	s_mov_b32 s28, exec_lo
	s_delay_alu instid0(VALU_DEP_2) | instskip(NEXT) | instid1(VALU_DEP_1)
	v_and_b32_e32 v1, 0x7f, v2
	v_cmpx_ne_u32_e32 0x7f, v1
	s_cbranch_execz .LBB6_13879
; %bb.13876:                            ;   in Loop: Header=BB6_13467 Depth=2
	v_dual_lshrrev_b32 v0, 3, v1 :: v_dual_bitop2_b32 v54, 7, v2 bitop3:0x40
	s_mov_b32 s29, exec_lo
	v_cmpx_gt_u32_e32 8, v1
; %bb.13877:                            ;   in Loop: Header=BB6_13467 Depth=2
	s_delay_alu instid0(VALU_DEP_2) | instskip(NEXT) | instid1(VALU_DEP_1)
	v_clz_i32_u32_e32 v0, v54
	v_min_u32_e32 v0, 32, v0
	s_delay_alu instid0(VALU_DEP_1) | instskip(NEXT) | instid1(VALU_DEP_1)
	v_subrev_nc_u32_e32 v1, 28, v0
	v_lshlrev_b64_e32 v[2:3], v1, v[54:55]
	s_delay_alu instid0(VALU_DEP_1)
	v_dual_sub_nc_u32 v0, 29, v0 :: v_dual_bitop2_b32 v54, 7, v2 bitop3:0x40
; %bb.13878:                            ;   in Loop: Header=BB6_13467 Depth=2
	s_or_b32 exec_lo, exec_lo, s29
	v_lshlrev_b32_e32 v1, 16, v10
	s_delay_alu instid0(VALU_DEP_2) | instskip(NEXT) | instid1(VALU_DEP_3)
	v_lshlrev_b32_e32 v2, 20, v54
	v_lshl_add_u32 v0, v0, 23, 0x3c000000
	s_delay_alu instid0(VALU_DEP_3) | instskip(NEXT) | instid1(VALU_DEP_1)
	v_and_b32_e32 v1, 0x80000000, v1
	v_or3_b32 v0, v2, v1, v0
.LBB6_13879:                            ;   in Loop: Header=BB6_13467 Depth=2
	s_or_b32 exec_lo, exec_lo, s28
.LBB6_13880:                            ;   in Loop: Header=BB6_13467 Depth=2
	s_delay_alu instid0(SALU_CYCLE_1)
	s_or_b32 exec_lo, exec_lo, s27
.LBB6_13881:                            ;   in Loop: Header=BB6_13467 Depth=2
	s_delay_alu instid0(SALU_CYCLE_1) | instskip(NEXT) | instid1(VALU_DEP_1)
	s_or_b32 exec_lo, exec_lo, s10
	v_mul_f32_e32 v1, s26, v0
                                        ; implicit-def: $vgpr2
                                        ; kill: killed $vgpr2
	s_mov_b32 s10, exec_lo
	s_delay_alu instid0(VALU_DEP_1) | instskip(SKIP_1) | instid1(VALU_DEP_2)
	v_and_b32_e32 v54, 0x7f800000, v1
	v_lshrrev_b32_e32 v0, 24, v1
	v_cmpx_ne_u64_e32 0x7f800000, v[54:55]
	s_xor_b32 s27, exec_lo, s10
	s_cbranch_execz .LBB6_13895
; %bb.13882:                            ;   in Loop: Header=BB6_13467 Depth=2
	v_and_b32_e32 v54, 0x7fffffff, v1
	v_and_b32_e32 v0, 0x80, v0
                                        ; implicit-def: $vgpr2
                                        ; kill: killed $vgpr2
	s_mov_b32 s10, exec_lo
	s_delay_alu instid0(VALU_DEP_2)
	v_cmpx_gt_u64_e32 0x43e00001, v[54:55]
	s_xor_b32 s28, exec_lo, s10
	s_cbranch_execz .LBB6_13892
; %bb.13883:                            ;   in Loop: Header=BB6_13467 Depth=2
	v_mov_b32_e32 v2, 0
	s_mov_b32 s29, exec_lo
	scratch_store_b32 off, v2, s33 offset:292 ; 4-byte Folded Spill
	s_wait_xcnt 0x0
	v_cmpx_ne_u32_e32 0, v1
	s_cbranch_execz .LBB6_13891
; %bb.13884:                            ;   in Loop: Header=BB6_13467 Depth=2
	v_bfe_u32 v2, v1, 23, 8
	v_and_b32_e32 v1, 0x7fffff, v1
	s_mov_b32 s40, exec_lo
	s_delay_alu instid0(VALU_DEP_2) | instskip(NEXT) | instid1(VALU_DEP_2)
	v_cmp_gt_u32_e32 vcc_lo, 0x7a, v2
	v_or_b32_e32 v6, 0x800000, v1
	v_sub_nc_u32_e32 v3, 0x79, v2
	s_delay_alu instid0(VALU_DEP_1) | instskip(SKIP_1) | instid1(VALU_DEP_2)
	v_cndmask_b32_e32 v3, 0, v3, vcc_lo
	v_cmp_eq_u32_e32 vcc_lo, 0, v2
	v_cndmask_b32_e64 v3, v3, 0x78, vcc_lo
	s_delay_alu instid0(VALU_DEP_1) | instskip(SKIP_1) | instid1(VALU_DEP_2)
	v_dual_cndmask_b32 v54, v6, v1, vcc_lo :: v_dual_add_nc_u32 v4, 20, v3
	v_add_nc_u32_e32 v7, 19, v3
	v_lshrrev_b64 v[16:17], v3, v[54:55]
	s_delay_alu instid0(VALU_DEP_3) | instskip(NEXT) | instid1(VALU_DEP_3)
	v_lshlrev_b64_e64 v[4:5], v4, -1
	v_lshlrev_b64_e64 v[6:7], v7, 1
	s_delay_alu instid0(VALU_DEP_3) | instskip(NEXT) | instid1(VALU_DEP_3)
	v_mov_b64_e32 v[18:19], v[16:17]
	v_bfi_b32 v5, v5, 0, 0
	s_delay_alu instid0(VALU_DEP_4) | instskip(NEXT) | instid1(VALU_DEP_1)
	v_bfi_b32 v4, v4, 0, v54
	v_cmpx_eq_u64_e64 v[4:5], v[6:7]
; %bb.13885:                            ;   in Loop: Header=BB6_13467 Depth=2
	v_bfe_u32 v54, v16, 20, 1
	s_delay_alu instid0(VALU_DEP_1) | instskip(NEXT) | instid1(VALU_DEP_1)
	v_add_nc_u64_e32 v[4:5], v[16:17], v[54:55]
	v_add_nc_u64_e32 v[18:19], -1, v[4:5]
; %bb.13886:                            ;   in Loop: Header=BB6_13467 Depth=2
	s_or_b32 exec_lo, exec_lo, s40
	v_add_nc_u32_e32 v1, 0xffffff81, v2
	v_lshrrev_b32_e32 v2, 23, v16
	s_mov_b32 s10, exec_lo
	s_delay_alu instid0(VALU_DEP_2) | instskip(NEXT) | instid1(VALU_DEP_1)
	v_cndmask_b32_e64 v1, v1, 0xffffff82, vcc_lo
	v_add3_u32 v2, v3, v1, v2
	v_and_b32_e32 v1, 0xfffff, v18
	s_delay_alu instid0(VALU_DEP_1) | instskip(NEXT) | instid1(VALU_DEP_1)
	v_dual_add_nc_u32 v3, 6, v2 :: v_dual_add_nc_u32 v54, v1, v16
                                        ; implicit-def: $vgpr16_vgpr17
                                        ; implicit-def: $vgpr1
	v_cmpx_ne_u32_e32 0, v3
	s_xor_b32 s10, exec_lo, s10
; %bb.13887:                            ;   in Loop: Header=BB6_13467 Depth=2
	s_delay_alu instid0(VALU_DEP_2) | instskip(SKIP_2) | instid1(VALU_DEP_2)
	v_cmp_lt_u64_e32 vcc_lo, 0xffffff, v[54:55]
	v_add_nc_u32_e32 v1, 7, v2
	v_cndmask_b32_e64 v2, 0, 1, vcc_lo
	v_cndmask_b32_e32 v1, v3, v1, vcc_lo
	s_delay_alu instid0(VALU_DEP_2)
	v_lshrrev_b64 v[16:17], v2, v[54:55]
; %bb.13888:                            ;   in Loop: Header=BB6_13467 Depth=2
	s_and_not1_saveexec_b32 s10, s10
; %bb.13889:                            ;   in Loop: Header=BB6_13467 Depth=2
	v_mov_b64_e32 v[16:17], v[54:55]
	v_bfe_u32 v1, v54, 23, 1
; %bb.13890:                            ;   in Loop: Header=BB6_13467 Depth=2
	s_or_b32 exec_lo, exec_lo, s10
	s_delay_alu instid0(VALU_DEP_2) | instskip(NEXT) | instid1(VALU_DEP_2)
	v_lshrrev_b64 v[2:3], 20, v[16:17]
	v_cmp_gt_i32_e32 vcc_lo, 16, v1
	v_min_i32_e32 v4, 15, v1
	v_cmp_eq_u32_e64 s10, 0, v1
	s_delay_alu instid0(VALU_DEP_2) | instskip(SKIP_1) | instid1(VALU_DEP_2)
	v_dual_cndmask_b32 v3, 0, v3 :: v_dual_lshlrev_b32 v4, 3, v4
	v_cndmask_b32_e32 v2, 7, v2, vcc_lo
	v_and_b32_e32 v4, 0xf8, v4
	s_delay_alu instid0(VALU_DEP_2) | instskip(NEXT) | instid1(VALU_DEP_2)
	v_cmp_eq_u64_e32 vcc_lo, 0, v[2:3]
	v_and_or_b32 v1, v2, 7, v4
	s_and_b32 s10, s10, vcc_lo
	s_delay_alu instid0(VALU_DEP_1) | instid1(SALU_CYCLE_1)
	v_cndmask_b32_e64 v1, v1, 0, s10
	s_delay_alu instid0(VALU_DEP_1)
	v_or_b32_e32 v0, v1, v0
	scratch_store_b32 off, v0, s33 offset:292 ; 4-byte Folded Spill
.LBB6_13891:                            ;   in Loop: Header=BB6_13467 Depth=2
	s_wait_xcnt 0x0
	s_or_b32 exec_lo, exec_lo, s29
                                        ; implicit-def: $vgpr0
.LBB6_13892:                            ;   in Loop: Header=BB6_13467 Depth=2
	s_and_not1_saveexec_b32 s10, s28
	s_cbranch_execz .LBB6_13894
; %bb.13893:                            ;   in Loop: Header=BB6_13467 Depth=2
	v_or_b32_e32 v0, 0x7e, v0
	scratch_store_b32 off, v0, s33 offset:292 ; 4-byte Folded Spill
.LBB6_13894:                            ;   in Loop: Header=BB6_13467 Depth=2
	s_wait_xcnt 0x0
	s_or_b32 exec_lo, exec_lo, s10
                                        ; implicit-def: $vgpr0
.LBB6_13895:                            ;   in Loop: Header=BB6_13467 Depth=2
	s_and_not1_saveexec_b32 s10, s27
	s_cbranch_execz .LBB6_13897
; %bb.13896:                            ;   in Loop: Header=BB6_13467 Depth=2
	v_or_b32_e32 v0, 0x7f, v0
	scratch_store_b32 off, v0, s33 offset:292 ; 4-byte Folded Spill
.LBB6_13897:                            ;   in Loop: Header=BB6_13467 Depth=2
	s_wait_xcnt 0x0
	s_or_b32 exec_lo, exec_lo, s10
	v_dual_mov_b32 v1, 0 :: v_dual_lshrrev_b32 v0, 16, v10
	s_mov_b32 s10, exec_lo
	s_delay_alu instid0(VALU_DEP_1) | instskip(NEXT) | instid1(VALU_DEP_1)
	v_and_b32_e32 v2, 0xff, v0
	v_cmpx_ne_u16_e32 0, v2
	s_cbranch_execz .LBB6_13905
; %bb.13898:                            ;   in Loop: Header=BB6_13467 Depth=2
	v_bfrev_b32_e32 v1, 1
	s_mov_b32 s27, exec_lo
	v_cmpx_ne_u16_e32 0x80, v2
	s_cbranch_execz .LBB6_13904
; %bb.13899:                            ;   in Loop: Header=BB6_13467 Depth=2
	v_bfe_u32 v2, v10, 16, 7
	v_mov_b32_e32 v1, 0x7f800001
	s_mov_b32 s28, exec_lo
	s_delay_alu instid0(VALU_DEP_2)
	v_cmpx_ne_u32_e32 0x7f, v2
	s_cbranch_execz .LBB6_13903
; %bb.13900:                            ;   in Loop: Header=BB6_13467 Depth=2
	v_dual_lshrrev_b32 v1, 3, v2 :: v_dual_bitop2_b32 v54, 7, v0 bitop3:0x40
	s_mov_b32 s29, exec_lo
	v_cmpx_gt_u32_e32 8, v2
; %bb.13901:                            ;   in Loop: Header=BB6_13467 Depth=2
	s_delay_alu instid0(VALU_DEP_2) | instskip(NEXT) | instid1(VALU_DEP_1)
	v_clz_i32_u32_e32 v1, v54
	v_min_u32_e32 v1, 32, v1
	s_delay_alu instid0(VALU_DEP_1) | instskip(NEXT) | instid1(VALU_DEP_1)
	v_subrev_nc_u32_e32 v2, 28, v1
	v_lshlrev_b64_e32 v[2:3], v2, v[54:55]
	s_delay_alu instid0(VALU_DEP_1)
	v_dual_sub_nc_u32 v1, 29, v1 :: v_dual_bitop2_b32 v54, 7, v2 bitop3:0x40
; %bb.13902:                            ;   in Loop: Header=BB6_13467 Depth=2
	s_or_b32 exec_lo, exec_lo, s29
	s_delay_alu instid0(VALU_DEP_1) | instskip(NEXT) | instid1(VALU_DEP_2)
	v_dual_lshlrev_b32 v0, 24, v0 :: v_dual_lshlrev_b32 v2, 20, v54
	v_lshl_add_u32 v1, v1, 23, 0x3c000000
	s_delay_alu instid0(VALU_DEP_2) | instskip(NEXT) | instid1(VALU_DEP_1)
	v_and_b32_e32 v0, 0x80000000, v0
	v_or3_b32 v1, v2, v0, v1
.LBB6_13903:                            ;   in Loop: Header=BB6_13467 Depth=2
	s_or_b32 exec_lo, exec_lo, s28
.LBB6_13904:                            ;   in Loop: Header=BB6_13467 Depth=2
	s_delay_alu instid0(SALU_CYCLE_1)
	s_or_b32 exec_lo, exec_lo, s27
.LBB6_13905:                            ;   in Loop: Header=BB6_13467 Depth=2
	s_delay_alu instid0(SALU_CYCLE_1) | instskip(NEXT) | instid1(VALU_DEP_1)
	s_or_b32 exec_lo, exec_lo, s10
	v_mul_f32_e32 v1, s26, v1
                                        ; implicit-def: $vgpr2
                                        ; kill: killed $vgpr2
	s_mov_b32 s10, exec_lo
	s_delay_alu instid0(VALU_DEP_1) | instskip(SKIP_1) | instid1(VALU_DEP_2)
	v_and_b32_e32 v54, 0x7f800000, v1
	v_lshrrev_b32_e32 v0, 24, v1
	v_cmpx_ne_u64_e32 0x7f800000, v[54:55]
	s_xor_b32 s27, exec_lo, s10
	s_cbranch_execz .LBB6_13919
; %bb.13906:                            ;   in Loop: Header=BB6_13467 Depth=2
	v_and_b32_e32 v54, 0x7fffffff, v1
	v_and_b32_e32 v0, 0x80, v0
                                        ; implicit-def: $vgpr2
                                        ; kill: killed $vgpr2
	s_mov_b32 s10, exec_lo
	s_delay_alu instid0(VALU_DEP_2)
	v_cmpx_gt_u64_e32 0x43e00001, v[54:55]
	s_xor_b32 s28, exec_lo, s10
	s_cbranch_execz .LBB6_13916
; %bb.13907:                            ;   in Loop: Header=BB6_13467 Depth=2
	v_mov_b32_e32 v2, 0
	s_mov_b32 s29, exec_lo
	scratch_store_b32 off, v2, s33 offset:296 ; 4-byte Folded Spill
	s_wait_xcnt 0x0
	v_cmpx_ne_u32_e32 0, v1
	s_cbranch_execz .LBB6_13915
; %bb.13908:                            ;   in Loop: Header=BB6_13467 Depth=2
	v_bfe_u32 v2, v1, 23, 8
	v_and_b32_e32 v1, 0x7fffff, v1
	s_mov_b32 s40, exec_lo
	s_delay_alu instid0(VALU_DEP_2) | instskip(NEXT) | instid1(VALU_DEP_2)
	v_cmp_gt_u32_e32 vcc_lo, 0x7a, v2
	v_or_b32_e32 v6, 0x800000, v1
	v_sub_nc_u32_e32 v3, 0x79, v2
	s_delay_alu instid0(VALU_DEP_1) | instskip(SKIP_1) | instid1(VALU_DEP_2)
	v_cndmask_b32_e32 v3, 0, v3, vcc_lo
	v_cmp_eq_u32_e32 vcc_lo, 0, v2
	v_cndmask_b32_e64 v3, v3, 0x78, vcc_lo
	s_delay_alu instid0(VALU_DEP_1) | instskip(SKIP_1) | instid1(VALU_DEP_2)
	v_dual_cndmask_b32 v54, v6, v1, vcc_lo :: v_dual_add_nc_u32 v4, 20, v3
	v_add_nc_u32_e32 v7, 19, v3
	v_lshrrev_b64 v[16:17], v3, v[54:55]
	s_delay_alu instid0(VALU_DEP_3) | instskip(NEXT) | instid1(VALU_DEP_3)
	v_lshlrev_b64_e64 v[4:5], v4, -1
	v_lshlrev_b64_e64 v[6:7], v7, 1
	s_delay_alu instid0(VALU_DEP_3) | instskip(NEXT) | instid1(VALU_DEP_3)
	v_mov_b64_e32 v[18:19], v[16:17]
	v_bfi_b32 v5, v5, 0, 0
	s_delay_alu instid0(VALU_DEP_4) | instskip(NEXT) | instid1(VALU_DEP_1)
	v_bfi_b32 v4, v4, 0, v54
	v_cmpx_eq_u64_e64 v[4:5], v[6:7]
; %bb.13909:                            ;   in Loop: Header=BB6_13467 Depth=2
	v_bfe_u32 v54, v16, 20, 1
	s_delay_alu instid0(VALU_DEP_1) | instskip(NEXT) | instid1(VALU_DEP_1)
	v_add_nc_u64_e32 v[4:5], v[16:17], v[54:55]
	v_add_nc_u64_e32 v[18:19], -1, v[4:5]
; %bb.13910:                            ;   in Loop: Header=BB6_13467 Depth=2
	s_or_b32 exec_lo, exec_lo, s40
	v_add_nc_u32_e32 v1, 0xffffff81, v2
	v_lshrrev_b32_e32 v2, 23, v16
	s_mov_b32 s10, exec_lo
	s_delay_alu instid0(VALU_DEP_2) | instskip(NEXT) | instid1(VALU_DEP_1)
	v_cndmask_b32_e64 v1, v1, 0xffffff82, vcc_lo
	v_add3_u32 v2, v3, v1, v2
	v_and_b32_e32 v1, 0xfffff, v18
	s_delay_alu instid0(VALU_DEP_1) | instskip(NEXT) | instid1(VALU_DEP_1)
	v_dual_add_nc_u32 v3, 6, v2 :: v_dual_add_nc_u32 v54, v1, v16
                                        ; implicit-def: $vgpr16_vgpr17
                                        ; implicit-def: $vgpr1
	v_cmpx_ne_u32_e32 0, v3
	s_xor_b32 s10, exec_lo, s10
; %bb.13911:                            ;   in Loop: Header=BB6_13467 Depth=2
	s_delay_alu instid0(VALU_DEP_2) | instskip(SKIP_2) | instid1(VALU_DEP_2)
	v_cmp_lt_u64_e32 vcc_lo, 0xffffff, v[54:55]
	v_add_nc_u32_e32 v1, 7, v2
	v_cndmask_b32_e64 v2, 0, 1, vcc_lo
	v_cndmask_b32_e32 v1, v3, v1, vcc_lo
	s_delay_alu instid0(VALU_DEP_2)
	v_lshrrev_b64 v[16:17], v2, v[54:55]
; %bb.13912:                            ;   in Loop: Header=BB6_13467 Depth=2
	s_and_not1_saveexec_b32 s10, s10
; %bb.13913:                            ;   in Loop: Header=BB6_13467 Depth=2
	v_mov_b64_e32 v[16:17], v[54:55]
	v_bfe_u32 v1, v54, 23, 1
; %bb.13914:                            ;   in Loop: Header=BB6_13467 Depth=2
	s_or_b32 exec_lo, exec_lo, s10
	s_delay_alu instid0(VALU_DEP_2) | instskip(NEXT) | instid1(VALU_DEP_2)
	v_lshrrev_b64 v[2:3], 20, v[16:17]
	v_cmp_gt_i32_e32 vcc_lo, 16, v1
	v_min_i32_e32 v4, 15, v1
	v_cmp_eq_u32_e64 s10, 0, v1
	s_delay_alu instid0(VALU_DEP_2) | instskip(SKIP_1) | instid1(VALU_DEP_2)
	v_dual_cndmask_b32 v3, 0, v3 :: v_dual_lshlrev_b32 v4, 3, v4
	v_cndmask_b32_e32 v2, 7, v2, vcc_lo
	v_and_b32_e32 v4, 0xf8, v4
	s_delay_alu instid0(VALU_DEP_2) | instskip(NEXT) | instid1(VALU_DEP_2)
	v_cmp_eq_u64_e32 vcc_lo, 0, v[2:3]
	v_and_or_b32 v1, v2, 7, v4
	s_and_b32 s10, s10, vcc_lo
	s_delay_alu instid0(VALU_DEP_1) | instid1(SALU_CYCLE_1)
	v_cndmask_b32_e64 v1, v1, 0, s10
	s_delay_alu instid0(VALU_DEP_1)
	v_or_b32_e32 v0, v1, v0
	scratch_store_b32 off, v0, s33 offset:296 ; 4-byte Folded Spill
.LBB6_13915:                            ;   in Loop: Header=BB6_13467 Depth=2
	s_wait_xcnt 0x0
	s_or_b32 exec_lo, exec_lo, s29
                                        ; implicit-def: $vgpr0
.LBB6_13916:                            ;   in Loop: Header=BB6_13467 Depth=2
	s_and_not1_saveexec_b32 s10, s28
	s_cbranch_execz .LBB6_13918
; %bb.13917:                            ;   in Loop: Header=BB6_13467 Depth=2
	v_or_b32_e32 v0, 0x7e, v0
	scratch_store_b32 off, v0, s33 offset:296 ; 4-byte Folded Spill
.LBB6_13918:                            ;   in Loop: Header=BB6_13467 Depth=2
	s_wait_xcnt 0x0
	s_or_b32 exec_lo, exec_lo, s10
                                        ; implicit-def: $vgpr0
.LBB6_13919:                            ;   in Loop: Header=BB6_13467 Depth=2
	s_and_not1_saveexec_b32 s10, s27
	s_cbranch_execz .LBB6_13921
; %bb.13920:                            ;   in Loop: Header=BB6_13467 Depth=2
	v_or_b32_e32 v0, 0x7f, v0
	scratch_store_b32 off, v0, s33 offset:296 ; 4-byte Folded Spill
.LBB6_13921:                            ;   in Loop: Header=BB6_13467 Depth=2
	s_wait_xcnt 0x0
	s_or_b32 exec_lo, exec_lo, s10
	v_mov_b32_e32 v1, 0
	s_mov_b32 s10, exec_lo
	v_cmpx_lt_u32_e32 0xffffff, v10
	s_cbranch_execz .LBB6_13929
; %bb.13922:                            ;   in Loop: Header=BB6_13467 Depth=2
	v_lshrrev_b32_e32 v0, 24, v10
	v_bfrev_b32_e32 v1, 1
	s_mov_b32 s27, exec_lo
	s_delay_alu instid0(VALU_DEP_2)
	v_cmpx_ne_u32_e32 0x80, v0
	s_cbranch_execz .LBB6_13928
; %bb.13923:                            ;   in Loop: Header=BB6_13467 Depth=2
	v_bfe_u32 v2, v10, 24, 7
	v_mov_b32_e32 v1, 0x7f800001
	s_mov_b32 s28, exec_lo
	s_delay_alu instid0(VALU_DEP_2)
	v_cmpx_ne_u32_e32 0x7f, v2
	s_cbranch_execz .LBB6_13927
; %bb.13924:                            ;   in Loop: Header=BB6_13467 Depth=2
	v_dual_lshrrev_b32 v1, 3, v2 :: v_dual_bitop2_b32 v54, 7, v0 bitop3:0x40
	s_mov_b32 s29, exec_lo
	v_cmpx_gt_u32_e32 8, v2
; %bb.13925:                            ;   in Loop: Header=BB6_13467 Depth=2
	s_delay_alu instid0(VALU_DEP_2) | instskip(NEXT) | instid1(VALU_DEP_1)
	v_clz_i32_u32_e32 v1, v54
	v_min_u32_e32 v1, 32, v1
	s_delay_alu instid0(VALU_DEP_1) | instskip(NEXT) | instid1(VALU_DEP_1)
	v_subrev_nc_u32_e32 v2, 28, v1
	v_lshlrev_b64_e32 v[2:3], v2, v[54:55]
	s_delay_alu instid0(VALU_DEP_1)
	v_dual_sub_nc_u32 v1, 29, v1 :: v_dual_bitop2_b32 v54, 7, v2 bitop3:0x40
; %bb.13926:                            ;   in Loop: Header=BB6_13467 Depth=2
	s_or_b32 exec_lo, exec_lo, s29
	s_delay_alu instid0(VALU_DEP_1) | instskip(NEXT) | instid1(VALU_DEP_2)
	v_dual_lshlrev_b32 v0, 24, v0 :: v_dual_lshlrev_b32 v2, 20, v54
	v_lshl_add_u32 v1, v1, 23, 0x3c000000
	s_delay_alu instid0(VALU_DEP_2) | instskip(NEXT) | instid1(VALU_DEP_1)
	v_and_b32_e32 v0, 0x80000000, v0
	v_or3_b32 v1, v2, v0, v1
.LBB6_13927:                            ;   in Loop: Header=BB6_13467 Depth=2
	s_or_b32 exec_lo, exec_lo, s28
.LBB6_13928:                            ;   in Loop: Header=BB6_13467 Depth=2
	s_delay_alu instid0(SALU_CYCLE_1)
	s_or_b32 exec_lo, exec_lo, s27
.LBB6_13929:                            ;   in Loop: Header=BB6_13467 Depth=2
	s_delay_alu instid0(SALU_CYCLE_1) | instskip(NEXT) | instid1(VALU_DEP_1)
	s_or_b32 exec_lo, exec_lo, s10
	v_mul_f32_e32 v1, s26, v1
                                        ; implicit-def: $vgpr2
                                        ; kill: killed $vgpr2
	s_mov_b32 s10, exec_lo
	s_delay_alu instid0(VALU_DEP_1) | instskip(SKIP_1) | instid1(VALU_DEP_2)
	v_and_b32_e32 v54, 0x7f800000, v1
	v_lshrrev_b32_e32 v0, 24, v1
	v_cmpx_ne_u64_e32 0x7f800000, v[54:55]
	s_xor_b32 s27, exec_lo, s10
	s_cbranch_execz .LBB6_13943
; %bb.13930:                            ;   in Loop: Header=BB6_13467 Depth=2
	v_and_b32_e32 v54, 0x7fffffff, v1
	v_and_b32_e32 v0, 0x80, v0
                                        ; implicit-def: $vgpr2
                                        ; kill: killed $vgpr2
	s_mov_b32 s10, exec_lo
	s_delay_alu instid0(VALU_DEP_2)
	v_cmpx_gt_u64_e32 0x43e00001, v[54:55]
	s_xor_b32 s28, exec_lo, s10
	s_cbranch_execz .LBB6_13940
; %bb.13931:                            ;   in Loop: Header=BB6_13467 Depth=2
	v_mov_b32_e32 v2, 0
	s_mov_b32 s29, exec_lo
	scratch_store_b32 off, v2, s33 offset:300 ; 4-byte Folded Spill
	s_wait_xcnt 0x0
	v_cmpx_ne_u32_e32 0, v1
	s_cbranch_execz .LBB6_13939
; %bb.13932:                            ;   in Loop: Header=BB6_13467 Depth=2
	v_bfe_u32 v2, v1, 23, 8
	v_and_b32_e32 v1, 0x7fffff, v1
	s_mov_b32 s40, exec_lo
	s_delay_alu instid0(VALU_DEP_2) | instskip(NEXT) | instid1(VALU_DEP_2)
	v_cmp_gt_u32_e32 vcc_lo, 0x7a, v2
	v_or_b32_e32 v6, 0x800000, v1
	v_sub_nc_u32_e32 v3, 0x79, v2
	s_delay_alu instid0(VALU_DEP_1) | instskip(SKIP_1) | instid1(VALU_DEP_2)
	v_cndmask_b32_e32 v3, 0, v3, vcc_lo
	v_cmp_eq_u32_e32 vcc_lo, 0, v2
	v_cndmask_b32_e64 v3, v3, 0x78, vcc_lo
	s_delay_alu instid0(VALU_DEP_1) | instskip(SKIP_1) | instid1(VALU_DEP_2)
	v_dual_cndmask_b32 v54, v6, v1, vcc_lo :: v_dual_add_nc_u32 v4, 20, v3
	v_add_nc_u32_e32 v7, 19, v3
	v_lshrrev_b64 v[16:17], v3, v[54:55]
	s_delay_alu instid0(VALU_DEP_3) | instskip(NEXT) | instid1(VALU_DEP_3)
	v_lshlrev_b64_e64 v[4:5], v4, -1
	v_lshlrev_b64_e64 v[6:7], v7, 1
	s_delay_alu instid0(VALU_DEP_3) | instskip(NEXT) | instid1(VALU_DEP_3)
	v_mov_b64_e32 v[18:19], v[16:17]
	v_bfi_b32 v5, v5, 0, 0
	s_delay_alu instid0(VALU_DEP_4) | instskip(NEXT) | instid1(VALU_DEP_1)
	v_bfi_b32 v4, v4, 0, v54
	v_cmpx_eq_u64_e64 v[4:5], v[6:7]
; %bb.13933:                            ;   in Loop: Header=BB6_13467 Depth=2
	v_bfe_u32 v54, v16, 20, 1
	s_delay_alu instid0(VALU_DEP_1) | instskip(NEXT) | instid1(VALU_DEP_1)
	v_add_nc_u64_e32 v[4:5], v[16:17], v[54:55]
	v_add_nc_u64_e32 v[18:19], -1, v[4:5]
; %bb.13934:                            ;   in Loop: Header=BB6_13467 Depth=2
	s_or_b32 exec_lo, exec_lo, s40
	v_add_nc_u32_e32 v1, 0xffffff81, v2
	v_lshrrev_b32_e32 v2, 23, v16
	s_mov_b32 s10, exec_lo
	s_delay_alu instid0(VALU_DEP_2) | instskip(NEXT) | instid1(VALU_DEP_1)
	v_cndmask_b32_e64 v1, v1, 0xffffff82, vcc_lo
	v_add3_u32 v2, v3, v1, v2
	v_and_b32_e32 v1, 0xfffff, v18
	s_delay_alu instid0(VALU_DEP_1) | instskip(NEXT) | instid1(VALU_DEP_1)
	v_dual_add_nc_u32 v3, 6, v2 :: v_dual_add_nc_u32 v54, v1, v16
                                        ; implicit-def: $vgpr16_vgpr17
                                        ; implicit-def: $vgpr1
	v_cmpx_ne_u32_e32 0, v3
	s_xor_b32 s10, exec_lo, s10
; %bb.13935:                            ;   in Loop: Header=BB6_13467 Depth=2
	s_delay_alu instid0(VALU_DEP_2) | instskip(SKIP_2) | instid1(VALU_DEP_2)
	v_cmp_lt_u64_e32 vcc_lo, 0xffffff, v[54:55]
	v_add_nc_u32_e32 v1, 7, v2
	v_cndmask_b32_e64 v2, 0, 1, vcc_lo
	v_cndmask_b32_e32 v1, v3, v1, vcc_lo
	s_delay_alu instid0(VALU_DEP_2)
	v_lshrrev_b64 v[16:17], v2, v[54:55]
; %bb.13936:                            ;   in Loop: Header=BB6_13467 Depth=2
	s_and_not1_saveexec_b32 s10, s10
; %bb.13937:                            ;   in Loop: Header=BB6_13467 Depth=2
	v_mov_b64_e32 v[16:17], v[54:55]
	v_bfe_u32 v1, v54, 23, 1
; %bb.13938:                            ;   in Loop: Header=BB6_13467 Depth=2
	s_or_b32 exec_lo, exec_lo, s10
	s_delay_alu instid0(VALU_DEP_2) | instskip(NEXT) | instid1(VALU_DEP_2)
	v_lshrrev_b64 v[2:3], 20, v[16:17]
	v_cmp_gt_i32_e32 vcc_lo, 16, v1
	v_min_i32_e32 v4, 15, v1
	v_cmp_eq_u32_e64 s10, 0, v1
	s_delay_alu instid0(VALU_DEP_2) | instskip(SKIP_1) | instid1(VALU_DEP_2)
	v_dual_cndmask_b32 v3, 0, v3 :: v_dual_lshlrev_b32 v4, 3, v4
	v_cndmask_b32_e32 v2, 7, v2, vcc_lo
	v_and_b32_e32 v4, 0xf8, v4
	s_delay_alu instid0(VALU_DEP_2) | instskip(NEXT) | instid1(VALU_DEP_2)
	v_cmp_eq_u64_e32 vcc_lo, 0, v[2:3]
	v_and_or_b32 v1, v2, 7, v4
	s_and_b32 s10, s10, vcc_lo
	s_delay_alu instid0(VALU_DEP_1) | instid1(SALU_CYCLE_1)
	v_cndmask_b32_e64 v1, v1, 0, s10
	s_delay_alu instid0(VALU_DEP_1)
	v_or_b32_e32 v0, v1, v0
	scratch_store_b32 off, v0, s33 offset:300 ; 4-byte Folded Spill
.LBB6_13939:                            ;   in Loop: Header=BB6_13467 Depth=2
	s_wait_xcnt 0x0
	s_or_b32 exec_lo, exec_lo, s29
                                        ; implicit-def: $vgpr0
.LBB6_13940:                            ;   in Loop: Header=BB6_13467 Depth=2
	s_and_not1_saveexec_b32 s10, s28
	s_cbranch_execz .LBB6_13942
; %bb.13941:                            ;   in Loop: Header=BB6_13467 Depth=2
	v_or_b32_e32 v0, 0x7e, v0
	scratch_store_b32 off, v0, s33 offset:300 ; 4-byte Folded Spill
.LBB6_13942:                            ;   in Loop: Header=BB6_13467 Depth=2
	s_wait_xcnt 0x0
	s_or_b32 exec_lo, exec_lo, s10
                                        ; implicit-def: $vgpr0
.LBB6_13943:                            ;   in Loop: Header=BB6_13467 Depth=2
	s_and_not1_saveexec_b32 s10, s27
	s_cbranch_execz .LBB6_13945
; %bb.13944:                            ;   in Loop: Header=BB6_13467 Depth=2
	v_or_b32_e32 v0, 0x7f, v0
	scratch_store_b32 off, v0, s33 offset:300 ; 4-byte Folded Spill
.LBB6_13945:                            ;   in Loop: Header=BB6_13467 Depth=2
	s_wait_xcnt 0x0
	s_or_b32 exec_lo, exec_lo, s10
	v_and_b32_e32 v1, 0xff, v11
	v_dual_mov_b32 v54, v11 :: v_dual_mov_b32 v0, 0
	s_mov_b32 s10, exec_lo
	s_delay_alu instid0(VALU_DEP_2)
	v_cmpx_ne_u16_e32 0, v1
	s_cbranch_execz .LBB6_13951
; %bb.13946:                            ;   in Loop: Header=BB6_13467 Depth=2
	v_bfrev_b32_e32 v0, 1
	s_mov_b32 s27, exec_lo
	v_cmpx_ne_u16_e32 0x80, v1
	s_cbranch_execz .LBB6_13950
; %bb.13947:                            ;   in Loop: Header=BB6_13467 Depth=2
	v_and_b32_e32 v1, 0x7f, v11
	v_mov_b32_e32 v0, 0x7f800001
	s_mov_b32 s28, exec_lo
	s_delay_alu instid0(VALU_DEP_2)
	v_cmpx_ne_u32_e32 0x7f, v1
	s_cbranch_execz .LBB6_13949
; %bb.13948:                            ;   in Loop: Header=BB6_13467 Depth=2
	v_dual_lshrrev_b32 v2, 3, v1 :: v_dual_bitop2_b32 v0, 7, v11 bitop3:0x40
	v_cmp_gt_u32_e32 vcc_lo, 8, v1
	s_delay_alu instid0(VALU_DEP_2) | instskip(NEXT) | instid1(VALU_DEP_1)
	v_clz_i32_u32_e32 v0, v0
	v_min_u32_e32 v0, 32, v0
	s_delay_alu instid0(VALU_DEP_1) | instskip(SKIP_1) | instid1(VALU_DEP_1)
	v_subrev_nc_u32_e32 v3, 28, v0
	v_sub_nc_u32_e32 v0, 29, v0
	v_dual_cndmask_b32 v2, v2, v0, vcc_lo :: v_dual_cndmask_b32 v0, 0, v3, vcc_lo
	s_delay_alu instid0(VALU_DEP_1) | instskip(NEXT) | instid1(VALU_DEP_2)
	v_lshl_add_u32 v2, v2, 23, 0x3c000000
	v_lshlrev_b64_e32 v[0:1], v0, v[54:55]
	v_lshlrev_b32_e32 v1, 24, v54
	s_delay_alu instid0(VALU_DEP_1) | instskip(NEXT) | instid1(VALU_DEP_3)
	v_and_b32_e32 v1, 0x80000000, v1
	v_lshlrev_b32_e32 v0, 20, v0
	s_delay_alu instid0(VALU_DEP_1) | instskip(NEXT) | instid1(VALU_DEP_1)
	v_and_b32_e32 v0, 0x700000, v0
	v_or3_b32 v0, v0, v1, v2
.LBB6_13949:                            ;   in Loop: Header=BB6_13467 Depth=2
	s_or_b32 exec_lo, exec_lo, s28
.LBB6_13950:                            ;   in Loop: Header=BB6_13467 Depth=2
	s_delay_alu instid0(SALU_CYCLE_1)
	s_or_b32 exec_lo, exec_lo, s27
.LBB6_13951:                            ;   in Loop: Header=BB6_13467 Depth=2
	s_delay_alu instid0(SALU_CYCLE_1) | instskip(NEXT) | instid1(VALU_DEP_1)
	s_or_b32 exec_lo, exec_lo, s10
	v_dual_mul_f32 v1, s26, v0 :: v_dual_mov_b32 v3, v55
	s_delay_alu instid0(VALU_DEP_1) | instskip(SKIP_1) | instid1(VALU_DEP_2)
	v_and_b32_e32 v2, 0x7f800000, v1
	v_lshrrev_b32_e32 v0, 24, v1
	v_cmp_ne_u64_e32 vcc_lo, 0x7f800000, v[2:3]
                                        ; implicit-def: $vgpr2
                                        ; kill: killed $vgpr2
	s_and_saveexec_b32 s10, vcc_lo
	s_delay_alu instid0(SALU_CYCLE_1)
	s_xor_b32 s27, exec_lo, s10
	s_cbranch_execz .LBB6_13965
; %bb.13952:                            ;   in Loop: Header=BB6_13467 Depth=2
	v_and_b32_e32 v2, 0x7fffffff, v1
	v_mov_b32_e32 v3, v55
	v_and_b32_e32 v0, 0x80, v0
	s_delay_alu instid0(VALU_DEP_2) | instskip(SKIP_1) | instid1(SALU_CYCLE_1)
	v_cmp_gt_u64_e32 vcc_lo, 0x43e00001, v[2:3]
                                        ; implicit-def: $vgpr2
                                        ; kill: killed $vgpr2
	s_and_saveexec_b32 s10, vcc_lo
	s_xor_b32 s28, exec_lo, s10
	s_cbranch_execz .LBB6_13962
; %bb.13953:                            ;   in Loop: Header=BB6_13467 Depth=2
	v_mov_b32_e32 v2, 0
	s_mov_b32 s29, exec_lo
	scratch_store_b32 off, v2, s33 offset:304 ; 4-byte Folded Spill
	s_wait_xcnt 0x0
	v_cmpx_ne_u32_e32 0, v1
	s_cbranch_execz .LBB6_13961
; %bb.13954:                            ;   in Loop: Header=BB6_13467 Depth=2
	v_bfe_u32 v2, v1, 23, 8
	v_and_b32_e32 v1, 0x7fffff, v1
	s_mov_b32 s40, exec_lo
	v_mov_b32_e32 v7, v55
	s_delay_alu instid0(VALU_DEP_3) | instskip(NEXT) | instid1(VALU_DEP_3)
	v_cmp_gt_u32_e32 vcc_lo, 0x7a, v2
	v_or_b32_e32 v6, 0x800000, v1
	v_sub_nc_u32_e32 v3, 0x79, v2
	s_delay_alu instid0(VALU_DEP_1) | instskip(SKIP_1) | instid1(VALU_DEP_2)
	v_cndmask_b32_e32 v3, 0, v3, vcc_lo
	v_cmp_eq_u32_e32 vcc_lo, 0, v2
	v_cndmask_b32_e64 v3, v3, 0x78, vcc_lo
	s_delay_alu instid0(VALU_DEP_1) | instskip(SKIP_1) | instid1(VALU_DEP_2)
	v_dual_cndmask_b32 v6, v6, v1, vcc_lo :: v_dual_add_nc_u32 v4, 20, v3
	v_add_nc_u32_e32 v8, 19, v3
	v_lshrrev_b64 v[16:17], v3, v[6:7]
	s_delay_alu instid0(VALU_DEP_3) | instskip(NEXT) | instid1(VALU_DEP_3)
	v_lshlrev_b64_e64 v[4:5], v4, -1
	v_lshlrev_b64_e64 v[8:9], v8, 1
	s_delay_alu instid0(VALU_DEP_3) | instskip(NEXT) | instid1(VALU_DEP_3)
	v_mov_b64_e32 v[18:19], v[16:17]
	v_bfi_b32 v5, v5, 0, 0
	s_delay_alu instid0(VALU_DEP_4) | instskip(NEXT) | instid1(VALU_DEP_1)
	v_bfi_b32 v4, v4, 0, v6
	v_cmpx_eq_u64_e64 v[4:5], v[8:9]
; %bb.13955:                            ;   in Loop: Header=BB6_13467 Depth=2
	v_bfe_u32 v4, v16, 20, 1
	v_mov_b32_e32 v5, v55
	s_delay_alu instid0(VALU_DEP_1) | instskip(NEXT) | instid1(VALU_DEP_1)
	v_add_nc_u64_e32 v[4:5], v[16:17], v[4:5]
	v_add_nc_u64_e32 v[18:19], -1, v[4:5]
; %bb.13956:                            ;   in Loop: Header=BB6_13467 Depth=2
	s_or_b32 exec_lo, exec_lo, s40
	v_add_nc_u32_e32 v1, 0xffffff81, v2
	v_lshrrev_b32_e32 v2, 23, v16
	s_mov_b32 s10, exec_lo
	v_mov_b32_e32 v17, v55
	s_delay_alu instid0(VALU_DEP_3) | instskip(NEXT) | instid1(VALU_DEP_1)
	v_cndmask_b32_e64 v1, v1, 0xffffff82, vcc_lo
	v_add3_u32 v2, v3, v1, v2
	v_and_b32_e32 v1, 0xfffff, v18
	s_delay_alu instid0(VALU_DEP_1) | instskip(NEXT) | instid1(VALU_DEP_1)
	v_dual_add_nc_u32 v3, 6, v2 :: v_dual_add_nc_u32 v16, v1, v16
                                        ; implicit-def: $vgpr1
	v_cmpx_ne_u32_e32 0, v3
	s_xor_b32 s10, exec_lo, s10
; %bb.13957:                            ;   in Loop: Header=BB6_13467 Depth=2
	s_delay_alu instid0(VALU_DEP_2) | instskip(SKIP_2) | instid1(VALU_DEP_2)
	v_cmp_lt_u64_e32 vcc_lo, 0xffffff, v[16:17]
	v_add_nc_u32_e32 v1, 7, v2
	v_cndmask_b32_e64 v2, 0, 1, vcc_lo
	v_cndmask_b32_e32 v1, v3, v1, vcc_lo
	s_delay_alu instid0(VALU_DEP_2)
	v_lshrrev_b64 v[16:17], v2, v[16:17]
; %bb.13958:                            ;   in Loop: Header=BB6_13467 Depth=2
	s_and_not1_saveexec_b32 s10, s10
; %bb.13959:                            ;   in Loop: Header=BB6_13467 Depth=2
	s_delay_alu instid0(VALU_DEP_1)
	v_bfe_u32 v1, v16, 23, 1
; %bb.13960:                            ;   in Loop: Header=BB6_13467 Depth=2
	s_or_b32 exec_lo, exec_lo, s10
	s_delay_alu instid0(VALU_DEP_2) | instskip(NEXT) | instid1(VALU_DEP_2)
	v_lshrrev_b64 v[2:3], 20, v[16:17]
	v_cmp_gt_i32_e32 vcc_lo, 16, v1
	v_min_i32_e32 v4, 15, v1
	v_cmp_eq_u32_e64 s10, 0, v1
	s_delay_alu instid0(VALU_DEP_2) | instskip(SKIP_1) | instid1(VALU_DEP_2)
	v_dual_cndmask_b32 v3, 0, v3 :: v_dual_lshlrev_b32 v4, 3, v4
	v_cndmask_b32_e32 v2, 7, v2, vcc_lo
	v_and_b32_e32 v4, 0xf8, v4
	s_delay_alu instid0(VALU_DEP_2) | instskip(NEXT) | instid1(VALU_DEP_2)
	v_cmp_eq_u64_e32 vcc_lo, 0, v[2:3]
	v_and_or_b32 v1, v2, 7, v4
	s_and_b32 s10, s10, vcc_lo
	s_delay_alu instid0(VALU_DEP_1) | instid1(SALU_CYCLE_1)
	v_cndmask_b32_e64 v1, v1, 0, s10
	s_delay_alu instid0(VALU_DEP_1)
	v_or_b32_e32 v0, v1, v0
	scratch_store_b32 off, v0, s33 offset:304 ; 4-byte Folded Spill
.LBB6_13961:                            ;   in Loop: Header=BB6_13467 Depth=2
	s_wait_xcnt 0x0
	s_or_b32 exec_lo, exec_lo, s29
                                        ; implicit-def: $vgpr0
.LBB6_13962:                            ;   in Loop: Header=BB6_13467 Depth=2
	s_and_not1_saveexec_b32 s10, s28
	s_cbranch_execz .LBB6_13964
; %bb.13963:                            ;   in Loop: Header=BB6_13467 Depth=2
	v_or_b32_e32 v0, 0x7e, v0
	scratch_store_b32 off, v0, s33 offset:304 ; 4-byte Folded Spill
.LBB6_13964:                            ;   in Loop: Header=BB6_13467 Depth=2
	s_wait_xcnt 0x0
	s_or_b32 exec_lo, exec_lo, s10
                                        ; implicit-def: $vgpr0
.LBB6_13965:                            ;   in Loop: Header=BB6_13467 Depth=2
	s_and_not1_saveexec_b32 s10, s27
	s_cbranch_execz .LBB6_13967
; %bb.13966:                            ;   in Loop: Header=BB6_13467 Depth=2
	v_or_b32_e32 v0, 0x7f, v0
	scratch_store_b32 off, v0, s33 offset:304 ; 4-byte Folded Spill
.LBB6_13967:                            ;   in Loop: Header=BB6_13467 Depth=2
	s_wait_xcnt 0x0
	s_or_b32 exec_lo, exec_lo, s10
	v_lshrrev_b16 v1, 8, v54
	v_mov_b32_e32 v0, 0
	s_mov_b32 s10, exec_lo
	s_delay_alu instid0(VALU_DEP_2)
	v_cmpx_ne_u16_e32 0, v1
	s_cbranch_execz .LBB6_13975
; %bb.13968:                            ;   in Loop: Header=BB6_13467 Depth=2
	v_bfrev_b32_e32 v0, 1
	s_mov_b32 s27, exec_lo
	v_cmpx_ne_u16_e32 0x80, v1
	s_cbranch_execz .LBB6_13974
; %bb.13969:                            ;   in Loop: Header=BB6_13467 Depth=2
	v_and_b32_e32 v2, 0xffff, v1
	v_mov_b32_e32 v0, 0x7f800001
	s_mov_b32 s28, exec_lo
	s_delay_alu instid0(VALU_DEP_2) | instskip(NEXT) | instid1(VALU_DEP_1)
	v_and_b32_e32 v1, 0x7f, v2
	v_cmpx_ne_u32_e32 0x7f, v1
	s_cbranch_execz .LBB6_13973
; %bb.13970:                            ;   in Loop: Header=BB6_13467 Depth=2
	v_dual_mov_b32 v17, v55 :: v_dual_bitop2_b32 v16, 7, v2 bitop3:0x40
	v_lshrrev_b32_e32 v0, 3, v1
	s_mov_b32 s29, exec_lo
	v_cmpx_gt_u32_e32 8, v1
; %bb.13971:                            ;   in Loop: Header=BB6_13467 Depth=2
	s_delay_alu instid0(VALU_DEP_3) | instskip(NEXT) | instid1(VALU_DEP_1)
	v_clz_i32_u32_e32 v0, v16
	v_min_u32_e32 v0, 32, v0
	s_delay_alu instid0(VALU_DEP_1) | instskip(NEXT) | instid1(VALU_DEP_1)
	v_subrev_nc_u32_e32 v1, 28, v0
	v_lshlrev_b64_e32 v[2:3], v1, v[16:17]
	s_delay_alu instid0(VALU_DEP_1)
	v_dual_sub_nc_u32 v0, 29, v0 :: v_dual_bitop2_b32 v16, 7, v2 bitop3:0x40
; %bb.13972:                            ;   in Loop: Header=BB6_13467 Depth=2
	s_or_b32 exec_lo, exec_lo, s29
	s_delay_alu instid0(VALU_DEP_1) | instskip(NEXT) | instid1(VALU_DEP_2)
	v_dual_lshlrev_b32 v1, 16, v54 :: v_dual_lshlrev_b32 v2, 20, v16
	v_lshl_add_u32 v0, v0, 23, 0x3c000000
	s_delay_alu instid0(VALU_DEP_2) | instskip(NEXT) | instid1(VALU_DEP_1)
	v_and_b32_e32 v1, 0x80000000, v1
	v_or3_b32 v0, v2, v1, v0
.LBB6_13973:                            ;   in Loop: Header=BB6_13467 Depth=2
	s_or_b32 exec_lo, exec_lo, s28
.LBB6_13974:                            ;   in Loop: Header=BB6_13467 Depth=2
	s_delay_alu instid0(SALU_CYCLE_1)
	s_or_b32 exec_lo, exec_lo, s27
.LBB6_13975:                            ;   in Loop: Header=BB6_13467 Depth=2
	s_delay_alu instid0(SALU_CYCLE_1) | instskip(NEXT) | instid1(VALU_DEP_1)
	s_or_b32 exec_lo, exec_lo, s10
	v_mul_f32_e32 v1, s26, v0
                                        ; implicit-def: $vgpr2
                                        ; kill: killed $vgpr2
	s_mov_b32 s10, exec_lo
	s_delay_alu instid0(VALU_DEP_1) | instskip(SKIP_1) | instid1(VALU_DEP_2)
	v_and_b32_e32 v54, 0x7f800000, v1
	v_lshrrev_b32_e32 v0, 24, v1
	v_cmpx_ne_u64_e32 0x7f800000, v[54:55]
	s_xor_b32 s27, exec_lo, s10
	s_cbranch_execz .LBB6_13989
; %bb.13976:                            ;   in Loop: Header=BB6_13467 Depth=2
	v_and_b32_e32 v54, 0x7fffffff, v1
	v_and_b32_e32 v0, 0x80, v0
                                        ; implicit-def: $vgpr2
                                        ; kill: killed $vgpr2
	s_mov_b32 s10, exec_lo
	s_delay_alu instid0(VALU_DEP_2)
	v_cmpx_gt_u64_e32 0x43e00001, v[54:55]
	s_xor_b32 s28, exec_lo, s10
	s_cbranch_execz .LBB6_13986
; %bb.13977:                            ;   in Loop: Header=BB6_13467 Depth=2
	v_mov_b32_e32 v2, 0
	s_mov_b32 s29, exec_lo
	scratch_store_b32 off, v2, s33 offset:308 ; 4-byte Folded Spill
	s_wait_xcnt 0x0
	v_cmpx_ne_u32_e32 0, v1
	s_cbranch_execz .LBB6_13985
; %bb.13978:                            ;   in Loop: Header=BB6_13467 Depth=2
	v_bfe_u32 v2, v1, 23, 8
	v_and_b32_e32 v1, 0x7fffff, v1
	s_mov_b32 s40, exec_lo
	s_delay_alu instid0(VALU_DEP_2) | instskip(NEXT) | instid1(VALU_DEP_2)
	v_cmp_gt_u32_e32 vcc_lo, 0x7a, v2
	v_or_b32_e32 v6, 0x800000, v1
	v_sub_nc_u32_e32 v3, 0x79, v2
	s_delay_alu instid0(VALU_DEP_1) | instskip(SKIP_1) | instid1(VALU_DEP_2)
	v_cndmask_b32_e32 v3, 0, v3, vcc_lo
	v_cmp_eq_u32_e32 vcc_lo, 0, v2
	v_cndmask_b32_e64 v3, v3, 0x78, vcc_lo
	s_delay_alu instid0(VALU_DEP_1) | instskip(SKIP_1) | instid1(VALU_DEP_2)
	v_dual_cndmask_b32 v54, v6, v1, vcc_lo :: v_dual_add_nc_u32 v4, 20, v3
	v_add_nc_u32_e32 v7, 19, v3
	v_lshrrev_b64 v[16:17], v3, v[54:55]
	s_delay_alu instid0(VALU_DEP_3) | instskip(NEXT) | instid1(VALU_DEP_3)
	v_lshlrev_b64_e64 v[4:5], v4, -1
	v_lshlrev_b64_e64 v[6:7], v7, 1
	s_delay_alu instid0(VALU_DEP_3) | instskip(NEXT) | instid1(VALU_DEP_3)
	v_mov_b64_e32 v[18:19], v[16:17]
	v_bfi_b32 v5, v5, 0, 0
	s_delay_alu instid0(VALU_DEP_4) | instskip(NEXT) | instid1(VALU_DEP_1)
	v_bfi_b32 v4, v4, 0, v54
	v_cmpx_eq_u64_e64 v[4:5], v[6:7]
; %bb.13979:                            ;   in Loop: Header=BB6_13467 Depth=2
	v_bfe_u32 v54, v16, 20, 1
	s_delay_alu instid0(VALU_DEP_1) | instskip(NEXT) | instid1(VALU_DEP_1)
	v_add_nc_u64_e32 v[4:5], v[16:17], v[54:55]
	v_add_nc_u64_e32 v[18:19], -1, v[4:5]
; %bb.13980:                            ;   in Loop: Header=BB6_13467 Depth=2
	s_or_b32 exec_lo, exec_lo, s40
	v_add_nc_u32_e32 v1, 0xffffff81, v2
	v_lshrrev_b32_e32 v2, 23, v16
	s_mov_b32 s10, exec_lo
	s_delay_alu instid0(VALU_DEP_2) | instskip(NEXT) | instid1(VALU_DEP_1)
	v_cndmask_b32_e64 v1, v1, 0xffffff82, vcc_lo
	v_add3_u32 v2, v3, v1, v2
	v_and_b32_e32 v1, 0xfffff, v18
	s_delay_alu instid0(VALU_DEP_1) | instskip(NEXT) | instid1(VALU_DEP_1)
	v_dual_add_nc_u32 v3, 6, v2 :: v_dual_add_nc_u32 v54, v1, v16
                                        ; implicit-def: $vgpr16_vgpr17
                                        ; implicit-def: $vgpr1
	v_cmpx_ne_u32_e32 0, v3
	s_xor_b32 s10, exec_lo, s10
; %bb.13981:                            ;   in Loop: Header=BB6_13467 Depth=2
	s_delay_alu instid0(VALU_DEP_2) | instskip(SKIP_2) | instid1(VALU_DEP_2)
	v_cmp_lt_u64_e32 vcc_lo, 0xffffff, v[54:55]
	v_add_nc_u32_e32 v1, 7, v2
	v_cndmask_b32_e64 v2, 0, 1, vcc_lo
	v_cndmask_b32_e32 v1, v3, v1, vcc_lo
	s_delay_alu instid0(VALU_DEP_2)
	v_lshrrev_b64 v[16:17], v2, v[54:55]
; %bb.13982:                            ;   in Loop: Header=BB6_13467 Depth=2
	s_and_not1_saveexec_b32 s10, s10
; %bb.13983:                            ;   in Loop: Header=BB6_13467 Depth=2
	v_mov_b64_e32 v[16:17], v[54:55]
	v_bfe_u32 v1, v54, 23, 1
; %bb.13984:                            ;   in Loop: Header=BB6_13467 Depth=2
	s_or_b32 exec_lo, exec_lo, s10
	s_delay_alu instid0(VALU_DEP_2) | instskip(NEXT) | instid1(VALU_DEP_2)
	v_lshrrev_b64 v[2:3], 20, v[16:17]
	v_cmp_gt_i32_e32 vcc_lo, 16, v1
	v_min_i32_e32 v4, 15, v1
	v_cmp_eq_u32_e64 s10, 0, v1
	s_delay_alu instid0(VALU_DEP_2) | instskip(SKIP_1) | instid1(VALU_DEP_2)
	v_dual_cndmask_b32 v3, 0, v3 :: v_dual_lshlrev_b32 v4, 3, v4
	v_cndmask_b32_e32 v2, 7, v2, vcc_lo
	v_and_b32_e32 v4, 0xf8, v4
	s_delay_alu instid0(VALU_DEP_2) | instskip(NEXT) | instid1(VALU_DEP_2)
	v_cmp_eq_u64_e32 vcc_lo, 0, v[2:3]
	v_and_or_b32 v1, v2, 7, v4
	s_and_b32 s10, s10, vcc_lo
	s_delay_alu instid0(VALU_DEP_1) | instid1(SALU_CYCLE_1)
	v_cndmask_b32_e64 v1, v1, 0, s10
	s_delay_alu instid0(VALU_DEP_1)
	v_or_b32_e32 v0, v1, v0
	scratch_store_b32 off, v0, s33 offset:308 ; 4-byte Folded Spill
.LBB6_13985:                            ;   in Loop: Header=BB6_13467 Depth=2
	s_wait_xcnt 0x0
	s_or_b32 exec_lo, exec_lo, s29
                                        ; implicit-def: $vgpr0
.LBB6_13986:                            ;   in Loop: Header=BB6_13467 Depth=2
	s_and_not1_saveexec_b32 s10, s28
	s_cbranch_execz .LBB6_13988
; %bb.13987:                            ;   in Loop: Header=BB6_13467 Depth=2
	v_or_b32_e32 v0, 0x7e, v0
	scratch_store_b32 off, v0, s33 offset:308 ; 4-byte Folded Spill
.LBB6_13988:                            ;   in Loop: Header=BB6_13467 Depth=2
	s_wait_xcnt 0x0
	s_or_b32 exec_lo, exec_lo, s10
                                        ; implicit-def: $vgpr0
.LBB6_13989:                            ;   in Loop: Header=BB6_13467 Depth=2
	s_and_not1_saveexec_b32 s10, s27
	s_cbranch_execz .LBB6_13991
; %bb.13990:                            ;   in Loop: Header=BB6_13467 Depth=2
	v_or_b32_e32 v0, 0x7f, v0
	scratch_store_b32 off, v0, s33 offset:308 ; 4-byte Folded Spill
.LBB6_13991:                            ;   in Loop: Header=BB6_13467 Depth=2
	s_wait_xcnt 0x0
	s_or_b32 exec_lo, exec_lo, s10
	v_dual_mov_b32 v1, 0 :: v_dual_lshrrev_b32 v0, 16, v11
	s_mov_b32 s10, exec_lo
	s_delay_alu instid0(VALU_DEP_1) | instskip(NEXT) | instid1(VALU_DEP_1)
	v_and_b32_e32 v2, 0xff, v0
	v_cmpx_ne_u16_e32 0, v2
	s_cbranch_execz .LBB6_13999
; %bb.13992:                            ;   in Loop: Header=BB6_13467 Depth=2
	v_bfrev_b32_e32 v1, 1
	s_mov_b32 s27, exec_lo
	v_cmpx_ne_u16_e32 0x80, v2
	s_cbranch_execz .LBB6_13998
; %bb.13993:                            ;   in Loop: Header=BB6_13467 Depth=2
	v_bfe_u32 v2, v11, 16, 7
	v_mov_b32_e32 v1, 0x7f800001
	s_mov_b32 s28, exec_lo
	s_delay_alu instid0(VALU_DEP_2)
	v_cmpx_ne_u32_e32 0x7f, v2
	s_cbranch_execz .LBB6_13997
; %bb.13994:                            ;   in Loop: Header=BB6_13467 Depth=2
	v_dual_lshrrev_b32 v1, 3, v2 :: v_dual_bitop2_b32 v54, 7, v0 bitop3:0x40
	s_mov_b32 s29, exec_lo
	v_cmpx_gt_u32_e32 8, v2
; %bb.13995:                            ;   in Loop: Header=BB6_13467 Depth=2
	s_delay_alu instid0(VALU_DEP_2) | instskip(NEXT) | instid1(VALU_DEP_1)
	v_clz_i32_u32_e32 v1, v54
	v_min_u32_e32 v1, 32, v1
	s_delay_alu instid0(VALU_DEP_1) | instskip(NEXT) | instid1(VALU_DEP_1)
	v_subrev_nc_u32_e32 v2, 28, v1
	v_lshlrev_b64_e32 v[2:3], v2, v[54:55]
	s_delay_alu instid0(VALU_DEP_1)
	v_dual_sub_nc_u32 v1, 29, v1 :: v_dual_bitop2_b32 v54, 7, v2 bitop3:0x40
; %bb.13996:                            ;   in Loop: Header=BB6_13467 Depth=2
	s_or_b32 exec_lo, exec_lo, s29
	s_delay_alu instid0(VALU_DEP_1) | instskip(NEXT) | instid1(VALU_DEP_2)
	v_dual_lshlrev_b32 v0, 24, v0 :: v_dual_lshlrev_b32 v2, 20, v54
	v_lshl_add_u32 v1, v1, 23, 0x3c000000
	s_delay_alu instid0(VALU_DEP_2) | instskip(NEXT) | instid1(VALU_DEP_1)
	v_and_b32_e32 v0, 0x80000000, v0
	v_or3_b32 v1, v2, v0, v1
.LBB6_13997:                            ;   in Loop: Header=BB6_13467 Depth=2
	s_or_b32 exec_lo, exec_lo, s28
.LBB6_13998:                            ;   in Loop: Header=BB6_13467 Depth=2
	s_delay_alu instid0(SALU_CYCLE_1)
	s_or_b32 exec_lo, exec_lo, s27
.LBB6_13999:                            ;   in Loop: Header=BB6_13467 Depth=2
	s_delay_alu instid0(SALU_CYCLE_1) | instskip(NEXT) | instid1(VALU_DEP_1)
	s_or_b32 exec_lo, exec_lo, s10
	v_mul_f32_e32 v1, s26, v1
                                        ; implicit-def: $vgpr2
                                        ; kill: killed $vgpr2
	s_mov_b32 s10, exec_lo
	s_delay_alu instid0(VALU_DEP_1) | instskip(SKIP_1) | instid1(VALU_DEP_2)
	v_and_b32_e32 v54, 0x7f800000, v1
	v_lshrrev_b32_e32 v0, 24, v1
	v_cmpx_ne_u64_e32 0x7f800000, v[54:55]
	s_xor_b32 s27, exec_lo, s10
	s_cbranch_execz .LBB6_14013
; %bb.14000:                            ;   in Loop: Header=BB6_13467 Depth=2
	v_and_b32_e32 v54, 0x7fffffff, v1
	v_and_b32_e32 v0, 0x80, v0
                                        ; implicit-def: $vgpr2
                                        ; kill: killed $vgpr2
	s_mov_b32 s10, exec_lo
	s_delay_alu instid0(VALU_DEP_2)
	v_cmpx_gt_u64_e32 0x43e00001, v[54:55]
	s_xor_b32 s28, exec_lo, s10
	s_cbranch_execz .LBB6_14010
; %bb.14001:                            ;   in Loop: Header=BB6_13467 Depth=2
	v_mov_b32_e32 v2, 0
	s_mov_b32 s29, exec_lo
	scratch_store_b32 off, v2, s33 offset:312 ; 4-byte Folded Spill
	s_wait_xcnt 0x0
	v_cmpx_ne_u32_e32 0, v1
	s_cbranch_execz .LBB6_14009
; %bb.14002:                            ;   in Loop: Header=BB6_13467 Depth=2
	v_bfe_u32 v2, v1, 23, 8
	v_and_b32_e32 v1, 0x7fffff, v1
	s_mov_b32 s40, exec_lo
	s_delay_alu instid0(VALU_DEP_2) | instskip(NEXT) | instid1(VALU_DEP_2)
	v_cmp_gt_u32_e32 vcc_lo, 0x7a, v2
	v_or_b32_e32 v6, 0x800000, v1
	v_sub_nc_u32_e32 v3, 0x79, v2
	s_delay_alu instid0(VALU_DEP_1) | instskip(SKIP_1) | instid1(VALU_DEP_2)
	v_cndmask_b32_e32 v3, 0, v3, vcc_lo
	v_cmp_eq_u32_e32 vcc_lo, 0, v2
	v_cndmask_b32_e64 v3, v3, 0x78, vcc_lo
	s_delay_alu instid0(VALU_DEP_1) | instskip(SKIP_1) | instid1(VALU_DEP_2)
	v_dual_cndmask_b32 v54, v6, v1, vcc_lo :: v_dual_add_nc_u32 v4, 20, v3
	v_add_nc_u32_e32 v7, 19, v3
	v_lshrrev_b64 v[16:17], v3, v[54:55]
	s_delay_alu instid0(VALU_DEP_3) | instskip(NEXT) | instid1(VALU_DEP_3)
	v_lshlrev_b64_e64 v[4:5], v4, -1
	v_lshlrev_b64_e64 v[6:7], v7, 1
	s_delay_alu instid0(VALU_DEP_3) | instskip(NEXT) | instid1(VALU_DEP_3)
	v_mov_b64_e32 v[18:19], v[16:17]
	v_bfi_b32 v5, v5, 0, 0
	s_delay_alu instid0(VALU_DEP_4) | instskip(NEXT) | instid1(VALU_DEP_1)
	v_bfi_b32 v4, v4, 0, v54
	v_cmpx_eq_u64_e64 v[4:5], v[6:7]
; %bb.14003:                            ;   in Loop: Header=BB6_13467 Depth=2
	v_bfe_u32 v54, v16, 20, 1
	s_delay_alu instid0(VALU_DEP_1) | instskip(NEXT) | instid1(VALU_DEP_1)
	v_add_nc_u64_e32 v[4:5], v[16:17], v[54:55]
	v_add_nc_u64_e32 v[18:19], -1, v[4:5]
; %bb.14004:                            ;   in Loop: Header=BB6_13467 Depth=2
	s_or_b32 exec_lo, exec_lo, s40
	v_add_nc_u32_e32 v1, 0xffffff81, v2
	v_lshrrev_b32_e32 v2, 23, v16
	s_mov_b32 s10, exec_lo
	s_delay_alu instid0(VALU_DEP_2) | instskip(NEXT) | instid1(VALU_DEP_1)
	v_cndmask_b32_e64 v1, v1, 0xffffff82, vcc_lo
	v_add3_u32 v2, v3, v1, v2
	v_and_b32_e32 v1, 0xfffff, v18
	s_delay_alu instid0(VALU_DEP_1) | instskip(NEXT) | instid1(VALU_DEP_1)
	v_dual_add_nc_u32 v3, 6, v2 :: v_dual_add_nc_u32 v54, v1, v16
                                        ; implicit-def: $vgpr16_vgpr17
                                        ; implicit-def: $vgpr1
	v_cmpx_ne_u32_e32 0, v3
	s_xor_b32 s10, exec_lo, s10
; %bb.14005:                            ;   in Loop: Header=BB6_13467 Depth=2
	s_delay_alu instid0(VALU_DEP_2) | instskip(SKIP_2) | instid1(VALU_DEP_2)
	v_cmp_lt_u64_e32 vcc_lo, 0xffffff, v[54:55]
	v_add_nc_u32_e32 v1, 7, v2
	v_cndmask_b32_e64 v2, 0, 1, vcc_lo
	v_cndmask_b32_e32 v1, v3, v1, vcc_lo
	s_delay_alu instid0(VALU_DEP_2)
	v_lshrrev_b64 v[16:17], v2, v[54:55]
; %bb.14006:                            ;   in Loop: Header=BB6_13467 Depth=2
	s_and_not1_saveexec_b32 s10, s10
; %bb.14007:                            ;   in Loop: Header=BB6_13467 Depth=2
	v_mov_b64_e32 v[16:17], v[54:55]
	v_bfe_u32 v1, v54, 23, 1
; %bb.14008:                            ;   in Loop: Header=BB6_13467 Depth=2
	s_or_b32 exec_lo, exec_lo, s10
	s_delay_alu instid0(VALU_DEP_2) | instskip(NEXT) | instid1(VALU_DEP_2)
	v_lshrrev_b64 v[2:3], 20, v[16:17]
	v_cmp_gt_i32_e32 vcc_lo, 16, v1
	v_min_i32_e32 v4, 15, v1
	v_cmp_eq_u32_e64 s10, 0, v1
	s_delay_alu instid0(VALU_DEP_2) | instskip(SKIP_1) | instid1(VALU_DEP_2)
	v_dual_cndmask_b32 v3, 0, v3 :: v_dual_lshlrev_b32 v4, 3, v4
	v_cndmask_b32_e32 v2, 7, v2, vcc_lo
	v_and_b32_e32 v4, 0xf8, v4
	s_delay_alu instid0(VALU_DEP_2) | instskip(NEXT) | instid1(VALU_DEP_2)
	v_cmp_eq_u64_e32 vcc_lo, 0, v[2:3]
	v_and_or_b32 v1, v2, 7, v4
	s_and_b32 s10, s10, vcc_lo
	s_delay_alu instid0(VALU_DEP_1) | instid1(SALU_CYCLE_1)
	v_cndmask_b32_e64 v1, v1, 0, s10
	s_delay_alu instid0(VALU_DEP_1)
	v_or_b32_e32 v0, v1, v0
	scratch_store_b32 off, v0, s33 offset:312 ; 4-byte Folded Spill
.LBB6_14009:                            ;   in Loop: Header=BB6_13467 Depth=2
	s_wait_xcnt 0x0
	s_or_b32 exec_lo, exec_lo, s29
                                        ; implicit-def: $vgpr0
.LBB6_14010:                            ;   in Loop: Header=BB6_13467 Depth=2
	s_and_not1_saveexec_b32 s10, s28
	s_cbranch_execz .LBB6_14012
; %bb.14011:                            ;   in Loop: Header=BB6_13467 Depth=2
	v_or_b32_e32 v0, 0x7e, v0
	scratch_store_b32 off, v0, s33 offset:312 ; 4-byte Folded Spill
.LBB6_14012:                            ;   in Loop: Header=BB6_13467 Depth=2
	s_wait_xcnt 0x0
	s_or_b32 exec_lo, exec_lo, s10
                                        ; implicit-def: $vgpr0
.LBB6_14013:                            ;   in Loop: Header=BB6_13467 Depth=2
	s_and_not1_saveexec_b32 s10, s27
	s_cbranch_execz .LBB6_14015
; %bb.14014:                            ;   in Loop: Header=BB6_13467 Depth=2
	v_or_b32_e32 v0, 0x7f, v0
	scratch_store_b32 off, v0, s33 offset:312 ; 4-byte Folded Spill
.LBB6_14015:                            ;   in Loop: Header=BB6_13467 Depth=2
	s_wait_xcnt 0x0
	s_or_b32 exec_lo, exec_lo, s10
	v_mov_b32_e32 v1, 0
	s_mov_b32 s10, exec_lo
	v_cmpx_lt_u64_e64 s[12:13], v[10:11]
	s_cbranch_execz .LBB6_14023
; %bb.14016:                            ;   in Loop: Header=BB6_13467 Depth=2
	v_lshrrev_b32_e32 v0, 24, v11
	v_bfrev_b32_e32 v1, 1
	s_mov_b32 s27, exec_lo
	s_delay_alu instid0(VALU_DEP_2)
	v_cmpx_ne_u32_e32 0x80, v0
	s_cbranch_execz .LBB6_14022
; %bb.14017:                            ;   in Loop: Header=BB6_13467 Depth=2
	v_bfe_u32 v2, v11, 24, 7
	v_mov_b32_e32 v1, 0x7f800001
	s_mov_b32 s28, exec_lo
	s_delay_alu instid0(VALU_DEP_2)
	v_cmpx_ne_u32_e32 0x7f, v2
	s_cbranch_execz .LBB6_14021
; %bb.14018:                            ;   in Loop: Header=BB6_13467 Depth=2
	v_dual_lshrrev_b32 v1, 3, v2 :: v_dual_bitop2_b32 v54, 7, v0 bitop3:0x40
	s_mov_b32 s29, exec_lo
	v_cmpx_gt_u32_e32 8, v2
; %bb.14019:                            ;   in Loop: Header=BB6_13467 Depth=2
	s_delay_alu instid0(VALU_DEP_2) | instskip(NEXT) | instid1(VALU_DEP_1)
	v_clz_i32_u32_e32 v1, v54
	v_min_u32_e32 v1, 32, v1
	s_delay_alu instid0(VALU_DEP_1) | instskip(NEXT) | instid1(VALU_DEP_1)
	v_subrev_nc_u32_e32 v2, 28, v1
	v_lshlrev_b64_e32 v[2:3], v2, v[54:55]
	s_delay_alu instid0(VALU_DEP_1)
	v_dual_sub_nc_u32 v1, 29, v1 :: v_dual_bitop2_b32 v54, 7, v2 bitop3:0x40
; %bb.14020:                            ;   in Loop: Header=BB6_13467 Depth=2
	s_or_b32 exec_lo, exec_lo, s29
	s_delay_alu instid0(VALU_DEP_1) | instskip(NEXT) | instid1(VALU_DEP_2)
	v_dual_lshlrev_b32 v0, 24, v0 :: v_dual_lshlrev_b32 v2, 20, v54
	v_lshl_add_u32 v1, v1, 23, 0x3c000000
	s_delay_alu instid0(VALU_DEP_2) | instskip(NEXT) | instid1(VALU_DEP_1)
	v_and_b32_e32 v0, 0x80000000, v0
	v_or3_b32 v1, v2, v0, v1
.LBB6_14021:                            ;   in Loop: Header=BB6_13467 Depth=2
	s_or_b32 exec_lo, exec_lo, s28
.LBB6_14022:                            ;   in Loop: Header=BB6_13467 Depth=2
	s_delay_alu instid0(SALU_CYCLE_1)
	s_or_b32 exec_lo, exec_lo, s27
.LBB6_14023:                            ;   in Loop: Header=BB6_13467 Depth=2
	s_delay_alu instid0(SALU_CYCLE_1) | instskip(NEXT) | instid1(VALU_DEP_1)
	s_or_b32 exec_lo, exec_lo, s10
	v_mul_f32_e32 v1, s26, v1
                                        ; implicit-def: $vgpr2
                                        ; kill: killed $vgpr2
	s_mov_b32 s10, exec_lo
	s_delay_alu instid0(VALU_DEP_1) | instskip(SKIP_1) | instid1(VALU_DEP_2)
	v_and_b32_e32 v54, 0x7f800000, v1
	v_lshrrev_b32_e32 v0, 24, v1
	v_cmpx_ne_u64_e32 0x7f800000, v[54:55]
	s_xor_b32 s27, exec_lo, s10
	s_cbranch_execz .LBB6_14037
; %bb.14024:                            ;   in Loop: Header=BB6_13467 Depth=2
	v_and_b32_e32 v54, 0x7fffffff, v1
	v_and_b32_e32 v0, 0x80, v0
                                        ; implicit-def: $vgpr2
                                        ; kill: killed $vgpr2
	s_mov_b32 s10, exec_lo
	s_delay_alu instid0(VALU_DEP_2)
	v_cmpx_gt_u64_e32 0x43e00001, v[54:55]
	s_xor_b32 s28, exec_lo, s10
	s_cbranch_execz .LBB6_14034
; %bb.14025:                            ;   in Loop: Header=BB6_13467 Depth=2
	v_mov_b32_e32 v2, 0
	s_mov_b32 s29, exec_lo
	scratch_store_b32 off, v2, s33 offset:316 ; 4-byte Folded Spill
	s_wait_xcnt 0x0
	v_cmpx_ne_u32_e32 0, v1
	s_cbranch_execz .LBB6_14033
; %bb.14026:                            ;   in Loop: Header=BB6_13467 Depth=2
	v_bfe_u32 v2, v1, 23, 8
	v_and_b32_e32 v1, 0x7fffff, v1
	s_mov_b32 s40, exec_lo
	s_delay_alu instid0(VALU_DEP_2) | instskip(NEXT) | instid1(VALU_DEP_2)
	v_cmp_gt_u32_e32 vcc_lo, 0x7a, v2
	v_or_b32_e32 v6, 0x800000, v1
	v_sub_nc_u32_e32 v3, 0x79, v2
	s_delay_alu instid0(VALU_DEP_1) | instskip(SKIP_1) | instid1(VALU_DEP_2)
	v_cndmask_b32_e32 v3, 0, v3, vcc_lo
	v_cmp_eq_u32_e32 vcc_lo, 0, v2
	v_cndmask_b32_e64 v3, v3, 0x78, vcc_lo
	s_delay_alu instid0(VALU_DEP_1) | instskip(SKIP_1) | instid1(VALU_DEP_2)
	v_dual_cndmask_b32 v54, v6, v1, vcc_lo :: v_dual_add_nc_u32 v4, 20, v3
	v_add_nc_u32_e32 v7, 19, v3
	v_lshrrev_b64 v[10:11], v3, v[54:55]
	s_delay_alu instid0(VALU_DEP_3) | instskip(NEXT) | instid1(VALU_DEP_3)
	v_lshlrev_b64_e64 v[4:5], v4, -1
	v_lshlrev_b64_e64 v[6:7], v7, 1
	s_delay_alu instid0(VALU_DEP_3) | instskip(NEXT) | instid1(VALU_DEP_3)
	v_mov_b64_e32 v[16:17], v[10:11]
	v_bfi_b32 v5, v5, 0, 0
	s_delay_alu instid0(VALU_DEP_4) | instskip(NEXT) | instid1(VALU_DEP_1)
	v_bfi_b32 v4, v4, 0, v54
	v_cmpx_eq_u64_e64 v[4:5], v[6:7]
; %bb.14027:                            ;   in Loop: Header=BB6_13467 Depth=2
	v_bfe_u32 v54, v10, 20, 1
	s_delay_alu instid0(VALU_DEP_1) | instskip(NEXT) | instid1(VALU_DEP_1)
	v_add_nc_u64_e32 v[4:5], v[10:11], v[54:55]
	v_add_nc_u64_e32 v[16:17], -1, v[4:5]
; %bb.14028:                            ;   in Loop: Header=BB6_13467 Depth=2
	s_or_b32 exec_lo, exec_lo, s40
	v_add_nc_u32_e32 v1, 0xffffff81, v2
	v_lshrrev_b32_e32 v2, 23, v10
	s_mov_b32 s10, exec_lo
	s_delay_alu instid0(VALU_DEP_2) | instskip(NEXT) | instid1(VALU_DEP_1)
	v_cndmask_b32_e64 v1, v1, 0xffffff82, vcc_lo
	v_add3_u32 v2, v3, v1, v2
	v_and_b32_e32 v1, 0xfffff, v16
	s_delay_alu instid0(VALU_DEP_2) | instskip(NEXT) | instid1(VALU_DEP_2)
	v_add_nc_u32_e32 v3, 6, v2
	v_add_nc_u32_e32 v54, v1, v10
                                        ; implicit-def: $vgpr10_vgpr11
                                        ; implicit-def: $vgpr1
	s_delay_alu instid0(VALU_DEP_2)
	v_cmpx_ne_u32_e32 0, v3
	s_xor_b32 s10, exec_lo, s10
; %bb.14029:                            ;   in Loop: Header=BB6_13467 Depth=2
	s_delay_alu instid0(VALU_DEP_2) | instskip(SKIP_2) | instid1(VALU_DEP_2)
	v_cmp_lt_u64_e32 vcc_lo, 0xffffff, v[54:55]
	v_add_nc_u32_e32 v1, 7, v2
	v_cndmask_b32_e64 v2, 0, 1, vcc_lo
	v_cndmask_b32_e32 v1, v3, v1, vcc_lo
	s_delay_alu instid0(VALU_DEP_2)
	v_lshrrev_b64 v[10:11], v2, v[54:55]
; %bb.14030:                            ;   in Loop: Header=BB6_13467 Depth=2
	s_and_not1_saveexec_b32 s10, s10
; %bb.14031:                            ;   in Loop: Header=BB6_13467 Depth=2
	v_mov_b64_e32 v[10:11], v[54:55]
	v_bfe_u32 v1, v54, 23, 1
; %bb.14032:                            ;   in Loop: Header=BB6_13467 Depth=2
	s_or_b32 exec_lo, exec_lo, s10
	s_delay_alu instid0(VALU_DEP_2) | instskip(NEXT) | instid1(VALU_DEP_2)
	v_lshrrev_b64 v[2:3], 20, v[10:11]
	v_cmp_gt_i32_e32 vcc_lo, 16, v1
	v_min_i32_e32 v4, 15, v1
	v_cmp_eq_u32_e64 s10, 0, v1
	s_delay_alu instid0(VALU_DEP_2) | instskip(SKIP_1) | instid1(VALU_DEP_2)
	v_dual_cndmask_b32 v3, 0, v3 :: v_dual_lshlrev_b32 v4, 3, v4
	v_cndmask_b32_e32 v2, 7, v2, vcc_lo
	v_and_b32_e32 v4, 0xf8, v4
	s_delay_alu instid0(VALU_DEP_2) | instskip(NEXT) | instid1(VALU_DEP_2)
	v_cmp_eq_u64_e32 vcc_lo, 0, v[2:3]
	v_and_or_b32 v1, v2, 7, v4
	s_and_b32 s10, s10, vcc_lo
	s_delay_alu instid0(VALU_DEP_1) | instid1(SALU_CYCLE_1)
	v_cndmask_b32_e64 v1, v1, 0, s10
	s_delay_alu instid0(VALU_DEP_1)
	v_or_b32_e32 v0, v1, v0
	scratch_store_b32 off, v0, s33 offset:316 ; 4-byte Folded Spill
.LBB6_14033:                            ;   in Loop: Header=BB6_13467 Depth=2
	s_wait_xcnt 0x0
	s_or_b32 exec_lo, exec_lo, s29
                                        ; implicit-def: $vgpr0
.LBB6_14034:                            ;   in Loop: Header=BB6_13467 Depth=2
	s_and_not1_saveexec_b32 s10, s28
	s_cbranch_execz .LBB6_14036
; %bb.14035:                            ;   in Loop: Header=BB6_13467 Depth=2
	v_or_b32_e32 v0, 0x7e, v0
	scratch_store_b32 off, v0, s33 offset:316 ; 4-byte Folded Spill
.LBB6_14036:                            ;   in Loop: Header=BB6_13467 Depth=2
	s_wait_xcnt 0x0
	s_or_b32 exec_lo, exec_lo, s10
                                        ; implicit-def: $vgpr0
.LBB6_14037:                            ;   in Loop: Header=BB6_13467 Depth=2
	s_and_not1_saveexec_b32 s10, s27
	s_cbranch_execz .LBB6_14039
; %bb.14038:                            ;   in Loop: Header=BB6_13467 Depth=2
	v_or_b32_e32 v0, 0x7f, v0
	scratch_store_b32 off, v0, s33 offset:316 ; 4-byte Folded Spill
.LBB6_14039:                            ;   in Loop: Header=BB6_13467 Depth=2
	s_wait_xcnt 0x0
	s_or_b32 exec_lo, exec_lo, s10
	v_and_b32_e32 v1, 0xff, v12
	v_mov_b32_e32 v0, 0
	s_mov_b32 s10, exec_lo
	s_delay_alu instid0(VALU_DEP_2)
	v_cmpx_ne_u16_e32 0, v1
	s_cbranch_execz .LBB6_14045
; %bb.14040:                            ;   in Loop: Header=BB6_13467 Depth=2
	v_bfrev_b32_e32 v0, 1
	s_mov_b32 s27, exec_lo
	v_cmpx_ne_u16_e32 0x80, v1
	s_cbranch_execz .LBB6_14044
; %bb.14041:                            ;   in Loop: Header=BB6_13467 Depth=2
	v_and_b32_e32 v1, 0x7f, v12
	v_mov_b32_e32 v0, 0x7f800001
	s_mov_b32 s28, exec_lo
	s_delay_alu instid0(VALU_DEP_2)
	v_cmpx_ne_u32_e32 0x7f, v1
	s_cbranch_execz .LBB6_14043
; %bb.14042:                            ;   in Loop: Header=BB6_13467 Depth=2
	v_dual_lshrrev_b32 v2, 3, v1 :: v_dual_bitop2_b32 v0, 7, v12 bitop3:0x40
	v_cmp_gt_u32_e32 vcc_lo, 8, v1
	s_delay_alu instid0(VALU_DEP_2) | instskip(NEXT) | instid1(VALU_DEP_1)
	v_clz_i32_u32_e32 v0, v0
	v_min_u32_e32 v0, 32, v0
	s_delay_alu instid0(VALU_DEP_1) | instskip(SKIP_1) | instid1(VALU_DEP_1)
	v_subrev_nc_u32_e32 v3, 28, v0
	v_sub_nc_u32_e32 v0, 29, v0
	v_dual_cndmask_b32 v2, v2, v0, vcc_lo :: v_dual_cndmask_b32 v0, 0, v3, vcc_lo
	s_delay_alu instid0(VALU_DEP_1) | instskip(NEXT) | instid1(VALU_DEP_2)
	v_lshl_add_u32 v2, v2, 23, 0x3c000000
	v_lshlrev_b64_e32 v[0:1], v0, v[12:13]
	v_lshlrev_b32_e32 v1, 24, v12
	s_delay_alu instid0(VALU_DEP_1) | instskip(NEXT) | instid1(VALU_DEP_3)
	v_and_b32_e32 v1, 0x80000000, v1
	v_lshlrev_b32_e32 v0, 20, v0
	s_delay_alu instid0(VALU_DEP_1) | instskip(NEXT) | instid1(VALU_DEP_1)
	v_and_b32_e32 v0, 0x700000, v0
	v_or3_b32 v0, v0, v1, v2
.LBB6_14043:                            ;   in Loop: Header=BB6_13467 Depth=2
	s_or_b32 exec_lo, exec_lo, s28
.LBB6_14044:                            ;   in Loop: Header=BB6_13467 Depth=2
	s_delay_alu instid0(SALU_CYCLE_1)
	s_or_b32 exec_lo, exec_lo, s27
.LBB6_14045:                            ;   in Loop: Header=BB6_13467 Depth=2
	s_delay_alu instid0(SALU_CYCLE_1) | instskip(NEXT) | instid1(VALU_DEP_1)
	s_or_b32 exec_lo, exec_lo, s10
	v_mul_f32_e32 v1, s26, v0
                                        ; implicit-def: $vgpr2
                                        ; kill: killed $vgpr2
	s_mov_b32 s10, exec_lo
	s_delay_alu instid0(VALU_DEP_1) | instskip(SKIP_1) | instid1(VALU_DEP_2)
	v_and_b32_e32 v54, 0x7f800000, v1
	v_lshrrev_b32_e32 v0, 24, v1
	v_cmpx_ne_u64_e32 0x7f800000, v[54:55]
	s_xor_b32 s27, exec_lo, s10
	s_cbranch_execz .LBB6_14059
; %bb.14046:                            ;   in Loop: Header=BB6_13467 Depth=2
	v_and_b32_e32 v54, 0x7fffffff, v1
	v_and_b32_e32 v0, 0x80, v0
                                        ; implicit-def: $vgpr2
                                        ; kill: killed $vgpr2
	s_mov_b32 s10, exec_lo
	s_delay_alu instid0(VALU_DEP_2)
	v_cmpx_gt_u64_e32 0x43e00001, v[54:55]
	s_xor_b32 s28, exec_lo, s10
	s_cbranch_execz .LBB6_14056
; %bb.14047:                            ;   in Loop: Header=BB6_13467 Depth=2
	v_mov_b32_e32 v2, 0
	s_mov_b32 s29, exec_lo
	scratch_store_b32 off, v2, s33 offset:320 ; 4-byte Folded Spill
	s_wait_xcnt 0x0
	v_cmpx_ne_u32_e32 0, v1
	s_cbranch_execz .LBB6_14055
; %bb.14048:                            ;   in Loop: Header=BB6_13467 Depth=2
	v_bfe_u32 v2, v1, 23, 8
	v_and_b32_e32 v1, 0x7fffff, v1
	s_mov_b32 s40, exec_lo
	s_delay_alu instid0(VALU_DEP_2) | instskip(NEXT) | instid1(VALU_DEP_2)
	v_cmp_gt_u32_e32 vcc_lo, 0x7a, v2
	v_or_b32_e32 v6, 0x800000, v1
	v_sub_nc_u32_e32 v3, 0x79, v2
	s_delay_alu instid0(VALU_DEP_1) | instskip(SKIP_1) | instid1(VALU_DEP_2)
	v_cndmask_b32_e32 v3, 0, v3, vcc_lo
	v_cmp_eq_u32_e32 vcc_lo, 0, v2
	v_cndmask_b32_e64 v3, v3, 0x78, vcc_lo
	s_delay_alu instid0(VALU_DEP_1) | instskip(SKIP_1) | instid1(VALU_DEP_2)
	v_dual_cndmask_b32 v54, v6, v1, vcc_lo :: v_dual_add_nc_u32 v4, 20, v3
	v_add_nc_u32_e32 v7, 19, v3
	v_lshrrev_b64 v[10:11], v3, v[54:55]
	s_delay_alu instid0(VALU_DEP_3) | instskip(NEXT) | instid1(VALU_DEP_3)
	v_lshlrev_b64_e64 v[4:5], v4, -1
	v_lshlrev_b64_e64 v[6:7], v7, 1
	s_delay_alu instid0(VALU_DEP_3) | instskip(NEXT) | instid1(VALU_DEP_3)
	v_mov_b64_e32 v[16:17], v[10:11]
	v_bfi_b32 v5, v5, 0, 0
	s_delay_alu instid0(VALU_DEP_4) | instskip(NEXT) | instid1(VALU_DEP_1)
	v_bfi_b32 v4, v4, 0, v54
	v_cmpx_eq_u64_e64 v[4:5], v[6:7]
; %bb.14049:                            ;   in Loop: Header=BB6_13467 Depth=2
	v_bfe_u32 v54, v10, 20, 1
	s_delay_alu instid0(VALU_DEP_1) | instskip(NEXT) | instid1(VALU_DEP_1)
	v_add_nc_u64_e32 v[4:5], v[10:11], v[54:55]
	v_add_nc_u64_e32 v[16:17], -1, v[4:5]
; %bb.14050:                            ;   in Loop: Header=BB6_13467 Depth=2
	s_or_b32 exec_lo, exec_lo, s40
	v_add_nc_u32_e32 v1, 0xffffff81, v2
	v_lshrrev_b32_e32 v2, 23, v10
	s_mov_b32 s10, exec_lo
	s_delay_alu instid0(VALU_DEP_2) | instskip(NEXT) | instid1(VALU_DEP_1)
	v_cndmask_b32_e64 v1, v1, 0xffffff82, vcc_lo
	v_add3_u32 v2, v3, v1, v2
	v_and_b32_e32 v1, 0xfffff, v16
	s_delay_alu instid0(VALU_DEP_2) | instskip(NEXT) | instid1(VALU_DEP_2)
	v_add_nc_u32_e32 v3, 6, v2
	v_add_nc_u32_e32 v54, v1, v10
                                        ; implicit-def: $vgpr10_vgpr11
                                        ; implicit-def: $vgpr1
	s_delay_alu instid0(VALU_DEP_2)
	v_cmpx_ne_u32_e32 0, v3
	s_xor_b32 s10, exec_lo, s10
; %bb.14051:                            ;   in Loop: Header=BB6_13467 Depth=2
	s_delay_alu instid0(VALU_DEP_2) | instskip(SKIP_2) | instid1(VALU_DEP_2)
	v_cmp_lt_u64_e32 vcc_lo, 0xffffff, v[54:55]
	v_add_nc_u32_e32 v1, 7, v2
	v_cndmask_b32_e64 v2, 0, 1, vcc_lo
	v_cndmask_b32_e32 v1, v3, v1, vcc_lo
	s_delay_alu instid0(VALU_DEP_2)
	v_lshrrev_b64 v[10:11], v2, v[54:55]
; %bb.14052:                            ;   in Loop: Header=BB6_13467 Depth=2
	s_and_not1_saveexec_b32 s10, s10
; %bb.14053:                            ;   in Loop: Header=BB6_13467 Depth=2
	v_mov_b64_e32 v[10:11], v[54:55]
	v_bfe_u32 v1, v54, 23, 1
; %bb.14054:                            ;   in Loop: Header=BB6_13467 Depth=2
	s_or_b32 exec_lo, exec_lo, s10
	s_delay_alu instid0(VALU_DEP_2) | instskip(NEXT) | instid1(VALU_DEP_2)
	v_lshrrev_b64 v[2:3], 20, v[10:11]
	v_cmp_gt_i32_e32 vcc_lo, 16, v1
	v_min_i32_e32 v4, 15, v1
	v_cmp_eq_u32_e64 s10, 0, v1
	s_delay_alu instid0(VALU_DEP_2) | instskip(SKIP_1) | instid1(VALU_DEP_2)
	v_dual_cndmask_b32 v3, 0, v3 :: v_dual_lshlrev_b32 v4, 3, v4
	v_cndmask_b32_e32 v2, 7, v2, vcc_lo
	v_and_b32_e32 v4, 0xf8, v4
	s_delay_alu instid0(VALU_DEP_2) | instskip(NEXT) | instid1(VALU_DEP_2)
	v_cmp_eq_u64_e32 vcc_lo, 0, v[2:3]
	v_and_or_b32 v1, v2, 7, v4
	s_and_b32 s10, s10, vcc_lo
	s_delay_alu instid0(VALU_DEP_1) | instid1(SALU_CYCLE_1)
	v_cndmask_b32_e64 v1, v1, 0, s10
	s_delay_alu instid0(VALU_DEP_1)
	v_or_b32_e32 v0, v1, v0
	scratch_store_b32 off, v0, s33 offset:320 ; 4-byte Folded Spill
.LBB6_14055:                            ;   in Loop: Header=BB6_13467 Depth=2
	s_wait_xcnt 0x0
	s_or_b32 exec_lo, exec_lo, s29
                                        ; implicit-def: $vgpr0
.LBB6_14056:                            ;   in Loop: Header=BB6_13467 Depth=2
	s_and_not1_saveexec_b32 s10, s28
	s_cbranch_execz .LBB6_14058
; %bb.14057:                            ;   in Loop: Header=BB6_13467 Depth=2
	v_or_b32_e32 v0, 0x7e, v0
	scratch_store_b32 off, v0, s33 offset:320 ; 4-byte Folded Spill
.LBB6_14058:                            ;   in Loop: Header=BB6_13467 Depth=2
	s_wait_xcnt 0x0
	s_or_b32 exec_lo, exec_lo, s10
                                        ; implicit-def: $vgpr0
.LBB6_14059:                            ;   in Loop: Header=BB6_13467 Depth=2
	s_and_not1_saveexec_b32 s10, s27
	s_cbranch_execz .LBB6_14061
; %bb.14060:                            ;   in Loop: Header=BB6_13467 Depth=2
	v_or_b32_e32 v0, 0x7f, v0
	scratch_store_b32 off, v0, s33 offset:320 ; 4-byte Folded Spill
.LBB6_14061:                            ;   in Loop: Header=BB6_13467 Depth=2
	s_wait_xcnt 0x0
	s_or_b32 exec_lo, exec_lo, s10
	v_lshrrev_b16 v1, 8, v12
	v_mov_b32_e32 v0, 0
	s_mov_b32 s10, exec_lo
	s_delay_alu instid0(VALU_DEP_2)
	v_cmpx_ne_u16_e32 0, v1
	s_cbranch_execz .LBB6_14069
; %bb.14062:                            ;   in Loop: Header=BB6_13467 Depth=2
	v_bfrev_b32_e32 v0, 1
	s_mov_b32 s27, exec_lo
	v_cmpx_ne_u16_e32 0x80, v1
	s_cbranch_execz .LBB6_14068
; %bb.14063:                            ;   in Loop: Header=BB6_13467 Depth=2
	v_and_b32_e32 v2, 0xffff, v1
	v_mov_b32_e32 v0, 0x7f800001
	s_mov_b32 s28, exec_lo
	s_delay_alu instid0(VALU_DEP_2) | instskip(NEXT) | instid1(VALU_DEP_1)
	v_and_b32_e32 v1, 0x7f, v2
	v_cmpx_ne_u32_e32 0x7f, v1
	s_cbranch_execz .LBB6_14067
; %bb.14064:                            ;   in Loop: Header=BB6_13467 Depth=2
	v_dual_lshrrev_b32 v0, 3, v1 :: v_dual_bitop2_b32 v54, 7, v2 bitop3:0x40
	s_mov_b32 s29, exec_lo
	v_cmpx_gt_u32_e32 8, v1
; %bb.14065:                            ;   in Loop: Header=BB6_13467 Depth=2
	s_delay_alu instid0(VALU_DEP_2) | instskip(NEXT) | instid1(VALU_DEP_1)
	v_clz_i32_u32_e32 v0, v54
	v_min_u32_e32 v0, 32, v0
	s_delay_alu instid0(VALU_DEP_1) | instskip(NEXT) | instid1(VALU_DEP_1)
	v_subrev_nc_u32_e32 v1, 28, v0
	v_lshlrev_b64_e32 v[2:3], v1, v[54:55]
	s_delay_alu instid0(VALU_DEP_1)
	v_dual_sub_nc_u32 v0, 29, v0 :: v_dual_bitop2_b32 v54, 7, v2 bitop3:0x40
; %bb.14066:                            ;   in Loop: Header=BB6_13467 Depth=2
	s_or_b32 exec_lo, exec_lo, s29
	s_delay_alu instid0(VALU_DEP_1) | instskip(NEXT) | instid1(VALU_DEP_2)
	v_dual_lshlrev_b32 v1, 16, v12 :: v_dual_lshlrev_b32 v2, 20, v54
	v_lshl_add_u32 v0, v0, 23, 0x3c000000
	s_delay_alu instid0(VALU_DEP_2) | instskip(NEXT) | instid1(VALU_DEP_1)
	v_and_b32_e32 v1, 0x80000000, v1
	v_or3_b32 v0, v2, v1, v0
.LBB6_14067:                            ;   in Loop: Header=BB6_13467 Depth=2
	s_or_b32 exec_lo, exec_lo, s28
.LBB6_14068:                            ;   in Loop: Header=BB6_13467 Depth=2
	s_delay_alu instid0(SALU_CYCLE_1)
	s_or_b32 exec_lo, exec_lo, s27
.LBB6_14069:                            ;   in Loop: Header=BB6_13467 Depth=2
	s_delay_alu instid0(SALU_CYCLE_1) | instskip(NEXT) | instid1(VALU_DEP_1)
	s_or_b32 exec_lo, exec_lo, s10
	v_mul_f32_e32 v1, s26, v0
                                        ; implicit-def: $vgpr2
                                        ; kill: killed $vgpr2
	s_mov_b32 s10, exec_lo
	s_delay_alu instid0(VALU_DEP_1) | instskip(SKIP_1) | instid1(VALU_DEP_2)
	v_and_b32_e32 v54, 0x7f800000, v1
	v_lshrrev_b32_e32 v0, 24, v1
	v_cmpx_ne_u64_e32 0x7f800000, v[54:55]
	s_xor_b32 s27, exec_lo, s10
	s_cbranch_execz .LBB6_14083
; %bb.14070:                            ;   in Loop: Header=BB6_13467 Depth=2
	v_and_b32_e32 v54, 0x7fffffff, v1
	v_and_b32_e32 v0, 0x80, v0
                                        ; implicit-def: $vgpr2
                                        ; kill: killed $vgpr2
	s_mov_b32 s10, exec_lo
	s_delay_alu instid0(VALU_DEP_2)
	v_cmpx_gt_u64_e32 0x43e00001, v[54:55]
	s_xor_b32 s28, exec_lo, s10
	s_cbranch_execz .LBB6_14080
; %bb.14071:                            ;   in Loop: Header=BB6_13467 Depth=2
	v_mov_b32_e32 v2, 0
	s_mov_b32 s29, exec_lo
	scratch_store_b32 off, v2, s33 offset:324 ; 4-byte Folded Spill
	s_wait_xcnt 0x0
	v_cmpx_ne_u32_e32 0, v1
	s_cbranch_execz .LBB6_14079
; %bb.14072:                            ;   in Loop: Header=BB6_13467 Depth=2
	v_bfe_u32 v2, v1, 23, 8
	v_and_b32_e32 v1, 0x7fffff, v1
	s_mov_b32 s40, exec_lo
	s_delay_alu instid0(VALU_DEP_2) | instskip(NEXT) | instid1(VALU_DEP_2)
	v_cmp_gt_u32_e32 vcc_lo, 0x7a, v2
	v_or_b32_e32 v6, 0x800000, v1
	v_sub_nc_u32_e32 v3, 0x79, v2
	s_delay_alu instid0(VALU_DEP_1) | instskip(SKIP_1) | instid1(VALU_DEP_2)
	v_cndmask_b32_e32 v3, 0, v3, vcc_lo
	v_cmp_eq_u32_e32 vcc_lo, 0, v2
	v_cndmask_b32_e64 v3, v3, 0x78, vcc_lo
	s_delay_alu instid0(VALU_DEP_1) | instskip(SKIP_1) | instid1(VALU_DEP_2)
	v_dual_cndmask_b32 v54, v6, v1, vcc_lo :: v_dual_add_nc_u32 v4, 20, v3
	v_add_nc_u32_e32 v7, 19, v3
	v_lshrrev_b64 v[10:11], v3, v[54:55]
	s_delay_alu instid0(VALU_DEP_3) | instskip(NEXT) | instid1(VALU_DEP_3)
	v_lshlrev_b64_e64 v[4:5], v4, -1
	v_lshlrev_b64_e64 v[6:7], v7, 1
	s_delay_alu instid0(VALU_DEP_3) | instskip(NEXT) | instid1(VALU_DEP_3)
	v_mov_b64_e32 v[16:17], v[10:11]
	v_bfi_b32 v5, v5, 0, 0
	s_delay_alu instid0(VALU_DEP_4) | instskip(NEXT) | instid1(VALU_DEP_1)
	v_bfi_b32 v4, v4, 0, v54
	v_cmpx_eq_u64_e64 v[4:5], v[6:7]
; %bb.14073:                            ;   in Loop: Header=BB6_13467 Depth=2
	v_bfe_u32 v54, v10, 20, 1
	s_delay_alu instid0(VALU_DEP_1) | instskip(NEXT) | instid1(VALU_DEP_1)
	v_add_nc_u64_e32 v[4:5], v[10:11], v[54:55]
	v_add_nc_u64_e32 v[16:17], -1, v[4:5]
; %bb.14074:                            ;   in Loop: Header=BB6_13467 Depth=2
	s_or_b32 exec_lo, exec_lo, s40
	v_add_nc_u32_e32 v1, 0xffffff81, v2
	v_lshrrev_b32_e32 v2, 23, v10
	s_mov_b32 s10, exec_lo
	s_delay_alu instid0(VALU_DEP_2) | instskip(NEXT) | instid1(VALU_DEP_1)
	v_cndmask_b32_e64 v1, v1, 0xffffff82, vcc_lo
	v_add3_u32 v2, v3, v1, v2
	v_and_b32_e32 v1, 0xfffff, v16
	s_delay_alu instid0(VALU_DEP_2) | instskip(NEXT) | instid1(VALU_DEP_2)
	v_add_nc_u32_e32 v3, 6, v2
	v_add_nc_u32_e32 v54, v1, v10
                                        ; implicit-def: $vgpr10_vgpr11
                                        ; implicit-def: $vgpr1
	s_delay_alu instid0(VALU_DEP_2)
	v_cmpx_ne_u32_e32 0, v3
	s_xor_b32 s10, exec_lo, s10
; %bb.14075:                            ;   in Loop: Header=BB6_13467 Depth=2
	s_delay_alu instid0(VALU_DEP_2) | instskip(SKIP_2) | instid1(VALU_DEP_2)
	v_cmp_lt_u64_e32 vcc_lo, 0xffffff, v[54:55]
	v_add_nc_u32_e32 v1, 7, v2
	v_cndmask_b32_e64 v2, 0, 1, vcc_lo
	v_cndmask_b32_e32 v1, v3, v1, vcc_lo
	s_delay_alu instid0(VALU_DEP_2)
	v_lshrrev_b64 v[10:11], v2, v[54:55]
; %bb.14076:                            ;   in Loop: Header=BB6_13467 Depth=2
	s_and_not1_saveexec_b32 s10, s10
; %bb.14077:                            ;   in Loop: Header=BB6_13467 Depth=2
	v_mov_b64_e32 v[10:11], v[54:55]
	v_bfe_u32 v1, v54, 23, 1
; %bb.14078:                            ;   in Loop: Header=BB6_13467 Depth=2
	s_or_b32 exec_lo, exec_lo, s10
	s_delay_alu instid0(VALU_DEP_2) | instskip(NEXT) | instid1(VALU_DEP_2)
	v_lshrrev_b64 v[2:3], 20, v[10:11]
	v_cmp_gt_i32_e32 vcc_lo, 16, v1
	v_min_i32_e32 v4, 15, v1
	v_cmp_eq_u32_e64 s10, 0, v1
	s_delay_alu instid0(VALU_DEP_2) | instskip(SKIP_1) | instid1(VALU_DEP_2)
	v_dual_cndmask_b32 v3, 0, v3 :: v_dual_lshlrev_b32 v4, 3, v4
	v_cndmask_b32_e32 v2, 7, v2, vcc_lo
	v_and_b32_e32 v4, 0xf8, v4
	s_delay_alu instid0(VALU_DEP_2) | instskip(NEXT) | instid1(VALU_DEP_2)
	v_cmp_eq_u64_e32 vcc_lo, 0, v[2:3]
	v_and_or_b32 v1, v2, 7, v4
	s_and_b32 s10, s10, vcc_lo
	s_delay_alu instid0(VALU_DEP_1) | instid1(SALU_CYCLE_1)
	v_cndmask_b32_e64 v1, v1, 0, s10
	s_delay_alu instid0(VALU_DEP_1)
	v_or_b32_e32 v0, v1, v0
	scratch_store_b32 off, v0, s33 offset:324 ; 4-byte Folded Spill
.LBB6_14079:                            ;   in Loop: Header=BB6_13467 Depth=2
	s_wait_xcnt 0x0
	s_or_b32 exec_lo, exec_lo, s29
                                        ; implicit-def: $vgpr0
.LBB6_14080:                            ;   in Loop: Header=BB6_13467 Depth=2
	s_and_not1_saveexec_b32 s10, s28
	s_cbranch_execz .LBB6_14082
; %bb.14081:                            ;   in Loop: Header=BB6_13467 Depth=2
	v_or_b32_e32 v0, 0x7e, v0
	scratch_store_b32 off, v0, s33 offset:324 ; 4-byte Folded Spill
.LBB6_14082:                            ;   in Loop: Header=BB6_13467 Depth=2
	s_wait_xcnt 0x0
	s_or_b32 exec_lo, exec_lo, s10
                                        ; implicit-def: $vgpr0
.LBB6_14083:                            ;   in Loop: Header=BB6_13467 Depth=2
	s_and_not1_saveexec_b32 s10, s27
	s_cbranch_execz .LBB6_14085
; %bb.14084:                            ;   in Loop: Header=BB6_13467 Depth=2
	v_or_b32_e32 v0, 0x7f, v0
	scratch_store_b32 off, v0, s33 offset:324 ; 4-byte Folded Spill
.LBB6_14085:                            ;   in Loop: Header=BB6_13467 Depth=2
	s_wait_xcnt 0x0
	s_or_b32 exec_lo, exec_lo, s10
	v_dual_mov_b32 v1, 0 :: v_dual_lshrrev_b32 v0, 16, v12
	s_mov_b32 s10, exec_lo
	s_delay_alu instid0(VALU_DEP_1) | instskip(NEXT) | instid1(VALU_DEP_1)
	v_and_b32_e32 v2, 0xff, v0
	v_cmpx_ne_u16_e32 0, v2
	s_cbranch_execz .LBB6_14093
; %bb.14086:                            ;   in Loop: Header=BB6_13467 Depth=2
	v_bfrev_b32_e32 v1, 1
	s_mov_b32 s27, exec_lo
	v_cmpx_ne_u16_e32 0x80, v2
	s_cbranch_execz .LBB6_14092
; %bb.14087:                            ;   in Loop: Header=BB6_13467 Depth=2
	v_bfe_u32 v2, v12, 16, 7
	v_mov_b32_e32 v1, 0x7f800001
	s_mov_b32 s28, exec_lo
	s_delay_alu instid0(VALU_DEP_2)
	v_cmpx_ne_u32_e32 0x7f, v2
	s_cbranch_execz .LBB6_14091
; %bb.14088:                            ;   in Loop: Header=BB6_13467 Depth=2
	v_dual_lshrrev_b32 v1, 3, v2 :: v_dual_bitop2_b32 v54, 7, v0 bitop3:0x40
	s_mov_b32 s29, exec_lo
	v_cmpx_gt_u32_e32 8, v2
; %bb.14089:                            ;   in Loop: Header=BB6_13467 Depth=2
	s_delay_alu instid0(VALU_DEP_2) | instskip(NEXT) | instid1(VALU_DEP_1)
	v_clz_i32_u32_e32 v1, v54
	v_min_u32_e32 v1, 32, v1
	s_delay_alu instid0(VALU_DEP_1) | instskip(NEXT) | instid1(VALU_DEP_1)
	v_subrev_nc_u32_e32 v2, 28, v1
	v_lshlrev_b64_e32 v[2:3], v2, v[54:55]
	s_delay_alu instid0(VALU_DEP_1)
	v_dual_sub_nc_u32 v1, 29, v1 :: v_dual_bitop2_b32 v54, 7, v2 bitop3:0x40
; %bb.14090:                            ;   in Loop: Header=BB6_13467 Depth=2
	s_or_b32 exec_lo, exec_lo, s29
	s_delay_alu instid0(VALU_DEP_1) | instskip(NEXT) | instid1(VALU_DEP_2)
	v_dual_lshlrev_b32 v0, 24, v0 :: v_dual_lshlrev_b32 v2, 20, v54
	v_lshl_add_u32 v1, v1, 23, 0x3c000000
	s_delay_alu instid0(VALU_DEP_2) | instskip(NEXT) | instid1(VALU_DEP_1)
	v_and_b32_e32 v0, 0x80000000, v0
	v_or3_b32 v1, v2, v0, v1
.LBB6_14091:                            ;   in Loop: Header=BB6_13467 Depth=2
	s_or_b32 exec_lo, exec_lo, s28
.LBB6_14092:                            ;   in Loop: Header=BB6_13467 Depth=2
	s_delay_alu instid0(SALU_CYCLE_1)
	s_or_b32 exec_lo, exec_lo, s27
.LBB6_14093:                            ;   in Loop: Header=BB6_13467 Depth=2
	s_delay_alu instid0(SALU_CYCLE_1) | instskip(NEXT) | instid1(VALU_DEP_1)
	s_or_b32 exec_lo, exec_lo, s10
	v_mul_f32_e32 v1, s26, v1
                                        ; implicit-def: $vgpr2
                                        ; kill: killed $vgpr2
	s_mov_b32 s10, exec_lo
	s_delay_alu instid0(VALU_DEP_1) | instskip(SKIP_1) | instid1(VALU_DEP_2)
	v_and_b32_e32 v54, 0x7f800000, v1
	v_lshrrev_b32_e32 v0, 24, v1
	v_cmpx_ne_u64_e32 0x7f800000, v[54:55]
	s_xor_b32 s27, exec_lo, s10
	s_cbranch_execz .LBB6_14107
; %bb.14094:                            ;   in Loop: Header=BB6_13467 Depth=2
	v_and_b32_e32 v54, 0x7fffffff, v1
	v_and_b32_e32 v0, 0x80, v0
                                        ; implicit-def: $vgpr2
                                        ; kill: killed $vgpr2
	s_mov_b32 s10, exec_lo
	s_delay_alu instid0(VALU_DEP_2)
	v_cmpx_gt_u64_e32 0x43e00001, v[54:55]
	s_xor_b32 s28, exec_lo, s10
	s_cbranch_execz .LBB6_14104
; %bb.14095:                            ;   in Loop: Header=BB6_13467 Depth=2
	v_mov_b32_e32 v2, 0
	s_mov_b32 s29, exec_lo
	scratch_store_b32 off, v2, s33 offset:328 ; 4-byte Folded Spill
	s_wait_xcnt 0x0
	v_cmpx_ne_u32_e32 0, v1
	s_cbranch_execz .LBB6_14103
; %bb.14096:                            ;   in Loop: Header=BB6_13467 Depth=2
	v_bfe_u32 v2, v1, 23, 8
	v_and_b32_e32 v1, 0x7fffff, v1
	s_mov_b32 s40, exec_lo
	s_delay_alu instid0(VALU_DEP_2) | instskip(NEXT) | instid1(VALU_DEP_2)
	v_cmp_gt_u32_e32 vcc_lo, 0x7a, v2
	v_or_b32_e32 v6, 0x800000, v1
	v_sub_nc_u32_e32 v3, 0x79, v2
	s_delay_alu instid0(VALU_DEP_1) | instskip(SKIP_1) | instid1(VALU_DEP_2)
	v_cndmask_b32_e32 v3, 0, v3, vcc_lo
	v_cmp_eq_u32_e32 vcc_lo, 0, v2
	v_cndmask_b32_e64 v3, v3, 0x78, vcc_lo
	s_delay_alu instid0(VALU_DEP_1) | instskip(SKIP_1) | instid1(VALU_DEP_2)
	v_dual_cndmask_b32 v54, v6, v1, vcc_lo :: v_dual_add_nc_u32 v4, 20, v3
	v_add_nc_u32_e32 v7, 19, v3
	v_lshrrev_b64 v[10:11], v3, v[54:55]
	s_delay_alu instid0(VALU_DEP_3) | instskip(NEXT) | instid1(VALU_DEP_3)
	v_lshlrev_b64_e64 v[4:5], v4, -1
	v_lshlrev_b64_e64 v[6:7], v7, 1
	s_delay_alu instid0(VALU_DEP_3) | instskip(NEXT) | instid1(VALU_DEP_3)
	v_mov_b64_e32 v[16:17], v[10:11]
	v_bfi_b32 v5, v5, 0, 0
	s_delay_alu instid0(VALU_DEP_4) | instskip(NEXT) | instid1(VALU_DEP_1)
	v_bfi_b32 v4, v4, 0, v54
	v_cmpx_eq_u64_e64 v[4:5], v[6:7]
; %bb.14097:                            ;   in Loop: Header=BB6_13467 Depth=2
	v_bfe_u32 v54, v10, 20, 1
	s_delay_alu instid0(VALU_DEP_1) | instskip(NEXT) | instid1(VALU_DEP_1)
	v_add_nc_u64_e32 v[4:5], v[10:11], v[54:55]
	v_add_nc_u64_e32 v[16:17], -1, v[4:5]
; %bb.14098:                            ;   in Loop: Header=BB6_13467 Depth=2
	s_or_b32 exec_lo, exec_lo, s40
	v_add_nc_u32_e32 v1, 0xffffff81, v2
	v_lshrrev_b32_e32 v2, 23, v10
	s_mov_b32 s10, exec_lo
	s_delay_alu instid0(VALU_DEP_2) | instskip(NEXT) | instid1(VALU_DEP_1)
	v_cndmask_b32_e64 v1, v1, 0xffffff82, vcc_lo
	v_add3_u32 v2, v3, v1, v2
	v_and_b32_e32 v1, 0xfffff, v16
	s_delay_alu instid0(VALU_DEP_2) | instskip(NEXT) | instid1(VALU_DEP_2)
	v_add_nc_u32_e32 v3, 6, v2
	v_add_nc_u32_e32 v54, v1, v10
                                        ; implicit-def: $vgpr10_vgpr11
                                        ; implicit-def: $vgpr1
	s_delay_alu instid0(VALU_DEP_2)
	v_cmpx_ne_u32_e32 0, v3
	s_xor_b32 s10, exec_lo, s10
; %bb.14099:                            ;   in Loop: Header=BB6_13467 Depth=2
	s_delay_alu instid0(VALU_DEP_2) | instskip(SKIP_2) | instid1(VALU_DEP_2)
	v_cmp_lt_u64_e32 vcc_lo, 0xffffff, v[54:55]
	v_add_nc_u32_e32 v1, 7, v2
	v_cndmask_b32_e64 v2, 0, 1, vcc_lo
	v_cndmask_b32_e32 v1, v3, v1, vcc_lo
	s_delay_alu instid0(VALU_DEP_2)
	v_lshrrev_b64 v[10:11], v2, v[54:55]
; %bb.14100:                            ;   in Loop: Header=BB6_13467 Depth=2
	s_and_not1_saveexec_b32 s10, s10
; %bb.14101:                            ;   in Loop: Header=BB6_13467 Depth=2
	v_mov_b64_e32 v[10:11], v[54:55]
	v_bfe_u32 v1, v54, 23, 1
; %bb.14102:                            ;   in Loop: Header=BB6_13467 Depth=2
	s_or_b32 exec_lo, exec_lo, s10
	s_delay_alu instid0(VALU_DEP_2) | instskip(NEXT) | instid1(VALU_DEP_2)
	v_lshrrev_b64 v[2:3], 20, v[10:11]
	v_cmp_gt_i32_e32 vcc_lo, 16, v1
	v_min_i32_e32 v4, 15, v1
	v_cmp_eq_u32_e64 s10, 0, v1
	s_delay_alu instid0(VALU_DEP_2) | instskip(SKIP_1) | instid1(VALU_DEP_2)
	v_dual_cndmask_b32 v3, 0, v3 :: v_dual_lshlrev_b32 v4, 3, v4
	v_cndmask_b32_e32 v2, 7, v2, vcc_lo
	v_and_b32_e32 v4, 0xf8, v4
	s_delay_alu instid0(VALU_DEP_2) | instskip(NEXT) | instid1(VALU_DEP_2)
	v_cmp_eq_u64_e32 vcc_lo, 0, v[2:3]
	v_and_or_b32 v1, v2, 7, v4
	s_and_b32 s10, s10, vcc_lo
	s_delay_alu instid0(VALU_DEP_1) | instid1(SALU_CYCLE_1)
	v_cndmask_b32_e64 v1, v1, 0, s10
	s_delay_alu instid0(VALU_DEP_1)
	v_or_b32_e32 v0, v1, v0
	scratch_store_b32 off, v0, s33 offset:328 ; 4-byte Folded Spill
.LBB6_14103:                            ;   in Loop: Header=BB6_13467 Depth=2
	s_wait_xcnt 0x0
	s_or_b32 exec_lo, exec_lo, s29
                                        ; implicit-def: $vgpr0
.LBB6_14104:                            ;   in Loop: Header=BB6_13467 Depth=2
	s_and_not1_saveexec_b32 s10, s28
	s_cbranch_execz .LBB6_14106
; %bb.14105:                            ;   in Loop: Header=BB6_13467 Depth=2
	v_or_b32_e32 v0, 0x7e, v0
	scratch_store_b32 off, v0, s33 offset:328 ; 4-byte Folded Spill
.LBB6_14106:                            ;   in Loop: Header=BB6_13467 Depth=2
	s_wait_xcnt 0x0
	s_or_b32 exec_lo, exec_lo, s10
                                        ; implicit-def: $vgpr0
.LBB6_14107:                            ;   in Loop: Header=BB6_13467 Depth=2
	s_and_not1_saveexec_b32 s10, s27
	s_cbranch_execz .LBB6_14109
; %bb.14108:                            ;   in Loop: Header=BB6_13467 Depth=2
	v_or_b32_e32 v0, 0x7f, v0
	scratch_store_b32 off, v0, s33 offset:328 ; 4-byte Folded Spill
.LBB6_14109:                            ;   in Loop: Header=BB6_13467 Depth=2
	s_wait_xcnt 0x0
	s_or_b32 exec_lo, exec_lo, s10
	v_mov_b32_e32 v1, 0
	s_mov_b32 s10, exec_lo
	v_cmpx_lt_u32_e32 0xffffff, v12
	s_cbranch_execz .LBB6_14117
; %bb.14110:                            ;   in Loop: Header=BB6_13467 Depth=2
	v_lshrrev_b32_e32 v0, 24, v12
	v_bfrev_b32_e32 v1, 1
	s_mov_b32 s27, exec_lo
	s_delay_alu instid0(VALU_DEP_2)
	v_cmpx_ne_u32_e32 0x80, v0
	s_cbranch_execz .LBB6_14116
; %bb.14111:                            ;   in Loop: Header=BB6_13467 Depth=2
	v_bfe_u32 v2, v12, 24, 7
	v_mov_b32_e32 v1, 0x7f800001
	s_mov_b32 s28, exec_lo
	s_delay_alu instid0(VALU_DEP_2)
	v_cmpx_ne_u32_e32 0x7f, v2
	s_cbranch_execz .LBB6_14115
; %bb.14112:                            ;   in Loop: Header=BB6_13467 Depth=2
	v_dual_lshrrev_b32 v1, 3, v2 :: v_dual_bitop2_b32 v54, 7, v0 bitop3:0x40
	s_mov_b32 s29, exec_lo
	v_cmpx_gt_u32_e32 8, v2
; %bb.14113:                            ;   in Loop: Header=BB6_13467 Depth=2
	s_delay_alu instid0(VALU_DEP_2) | instskip(NEXT) | instid1(VALU_DEP_1)
	v_clz_i32_u32_e32 v1, v54
	v_min_u32_e32 v1, 32, v1
	s_delay_alu instid0(VALU_DEP_1) | instskip(NEXT) | instid1(VALU_DEP_1)
	v_subrev_nc_u32_e32 v2, 28, v1
	v_lshlrev_b64_e32 v[2:3], v2, v[54:55]
	s_delay_alu instid0(VALU_DEP_1)
	v_dual_sub_nc_u32 v1, 29, v1 :: v_dual_bitop2_b32 v54, 7, v2 bitop3:0x40
; %bb.14114:                            ;   in Loop: Header=BB6_13467 Depth=2
	s_or_b32 exec_lo, exec_lo, s29
	s_delay_alu instid0(VALU_DEP_1) | instskip(NEXT) | instid1(VALU_DEP_2)
	v_dual_lshlrev_b32 v0, 24, v0 :: v_dual_lshlrev_b32 v2, 20, v54
	v_lshl_add_u32 v1, v1, 23, 0x3c000000
	s_delay_alu instid0(VALU_DEP_2) | instskip(NEXT) | instid1(VALU_DEP_1)
	v_and_b32_e32 v0, 0x80000000, v0
	v_or3_b32 v1, v2, v0, v1
.LBB6_14115:                            ;   in Loop: Header=BB6_13467 Depth=2
	s_or_b32 exec_lo, exec_lo, s28
.LBB6_14116:                            ;   in Loop: Header=BB6_13467 Depth=2
	s_delay_alu instid0(SALU_CYCLE_1)
	s_or_b32 exec_lo, exec_lo, s27
.LBB6_14117:                            ;   in Loop: Header=BB6_13467 Depth=2
	s_delay_alu instid0(SALU_CYCLE_1) | instskip(NEXT) | instid1(VALU_DEP_1)
	s_or_b32 exec_lo, exec_lo, s10
	v_mul_f32_e32 v1, s26, v1
                                        ; implicit-def: $vgpr89
	s_mov_b32 s10, exec_lo
	s_delay_alu instid0(VALU_DEP_1) | instskip(SKIP_1) | instid1(VALU_DEP_2)
	v_and_b32_e32 v54, 0x7f800000, v1
	v_lshrrev_b32_e32 v0, 24, v1
	v_cmpx_ne_u64_e32 0x7f800000, v[54:55]
	s_xor_b32 s27, exec_lo, s10
	s_cbranch_execz .LBB6_14131
; %bb.14118:                            ;   in Loop: Header=BB6_13467 Depth=2
	v_and_b32_e32 v54, 0x7fffffff, v1
	v_and_b32_e32 v0, 0x80, v0
                                        ; implicit-def: $vgpr89
	s_mov_b32 s10, exec_lo
	s_delay_alu instid0(VALU_DEP_2)
	v_cmpx_gt_u64_e32 0x43e00001, v[54:55]
	s_xor_b32 s28, exec_lo, s10
	s_cbranch_execz .LBB6_14128
; %bb.14119:                            ;   in Loop: Header=BB6_13467 Depth=2
	v_mov_b32_e32 v89, 0
	s_mov_b32 s29, exec_lo
	v_cmpx_ne_u32_e32 0, v1
	s_cbranch_execz .LBB6_14127
; %bb.14120:                            ;   in Loop: Header=BB6_13467 Depth=2
	v_bfe_u32 v2, v1, 23, 8
	v_and_b32_e32 v1, 0x7fffff, v1
	s_mov_b32 s40, exec_lo
	s_delay_alu instid0(VALU_DEP_2) | instskip(NEXT) | instid1(VALU_DEP_2)
	v_cmp_gt_u32_e32 vcc_lo, 0x7a, v2
	v_or_b32_e32 v6, 0x800000, v1
	v_sub_nc_u32_e32 v3, 0x79, v2
	s_delay_alu instid0(VALU_DEP_1) | instskip(SKIP_1) | instid1(VALU_DEP_2)
	v_cndmask_b32_e32 v3, 0, v3, vcc_lo
	v_cmp_eq_u32_e32 vcc_lo, 0, v2
	v_cndmask_b32_e64 v3, v3, 0x78, vcc_lo
	s_delay_alu instid0(VALU_DEP_1) | instskip(SKIP_1) | instid1(VALU_DEP_2)
	v_dual_cndmask_b32 v54, v6, v1, vcc_lo :: v_dual_add_nc_u32 v4, 20, v3
	v_add_nc_u32_e32 v7, 19, v3
	v_lshrrev_b64 v[10:11], v3, v[54:55]
	s_delay_alu instid0(VALU_DEP_3) | instskip(NEXT) | instid1(VALU_DEP_3)
	v_lshlrev_b64_e64 v[4:5], v4, -1
	v_lshlrev_b64_e64 v[6:7], v7, 1
	s_delay_alu instid0(VALU_DEP_3) | instskip(NEXT) | instid1(VALU_DEP_3)
	v_mov_b64_e32 v[16:17], v[10:11]
	v_bfi_b32 v5, v5, 0, 0
	s_delay_alu instid0(VALU_DEP_4) | instskip(NEXT) | instid1(VALU_DEP_1)
	v_bfi_b32 v4, v4, 0, v54
	v_cmpx_eq_u64_e64 v[4:5], v[6:7]
; %bb.14121:                            ;   in Loop: Header=BB6_13467 Depth=2
	v_bfe_u32 v54, v10, 20, 1
	s_delay_alu instid0(VALU_DEP_1) | instskip(NEXT) | instid1(VALU_DEP_1)
	v_add_nc_u64_e32 v[4:5], v[10:11], v[54:55]
	v_add_nc_u64_e32 v[16:17], -1, v[4:5]
; %bb.14122:                            ;   in Loop: Header=BB6_13467 Depth=2
	s_or_b32 exec_lo, exec_lo, s40
	v_add_nc_u32_e32 v1, 0xffffff81, v2
	v_lshrrev_b32_e32 v2, 23, v10
	s_mov_b32 s10, exec_lo
	s_delay_alu instid0(VALU_DEP_2) | instskip(NEXT) | instid1(VALU_DEP_1)
	v_cndmask_b32_e64 v1, v1, 0xffffff82, vcc_lo
	v_add3_u32 v2, v3, v1, v2
	v_and_b32_e32 v1, 0xfffff, v16
	s_delay_alu instid0(VALU_DEP_2) | instskip(NEXT) | instid1(VALU_DEP_2)
	v_add_nc_u32_e32 v3, 6, v2
	v_add_nc_u32_e32 v54, v1, v10
                                        ; implicit-def: $vgpr10_vgpr11
                                        ; implicit-def: $vgpr1
	s_delay_alu instid0(VALU_DEP_2)
	v_cmpx_ne_u32_e32 0, v3
	s_xor_b32 s10, exec_lo, s10
; %bb.14123:                            ;   in Loop: Header=BB6_13467 Depth=2
	s_delay_alu instid0(VALU_DEP_2) | instskip(SKIP_2) | instid1(VALU_DEP_2)
	v_cmp_lt_u64_e32 vcc_lo, 0xffffff, v[54:55]
	v_add_nc_u32_e32 v1, 7, v2
	v_cndmask_b32_e64 v2, 0, 1, vcc_lo
	v_cndmask_b32_e32 v1, v3, v1, vcc_lo
	s_delay_alu instid0(VALU_DEP_2)
	v_lshrrev_b64 v[10:11], v2, v[54:55]
; %bb.14124:                            ;   in Loop: Header=BB6_13467 Depth=2
	s_and_not1_saveexec_b32 s10, s10
; %bb.14125:                            ;   in Loop: Header=BB6_13467 Depth=2
	v_mov_b64_e32 v[10:11], v[54:55]
	v_bfe_u32 v1, v54, 23, 1
; %bb.14126:                            ;   in Loop: Header=BB6_13467 Depth=2
	s_or_b32 exec_lo, exec_lo, s10
	s_delay_alu instid0(VALU_DEP_2) | instskip(NEXT) | instid1(VALU_DEP_2)
	v_lshrrev_b64 v[2:3], 20, v[10:11]
	v_cmp_gt_i32_e32 vcc_lo, 16, v1
	v_min_i32_e32 v4, 15, v1
	v_cmp_eq_u32_e64 s10, 0, v1
	s_delay_alu instid0(VALU_DEP_2) | instskip(SKIP_1) | instid1(VALU_DEP_2)
	v_dual_cndmask_b32 v3, 0, v3 :: v_dual_lshlrev_b32 v4, 3, v4
	v_cndmask_b32_e32 v2, 7, v2, vcc_lo
	v_and_b32_e32 v4, 0xf8, v4
	s_delay_alu instid0(VALU_DEP_2) | instskip(NEXT) | instid1(VALU_DEP_2)
	v_cmp_eq_u64_e32 vcc_lo, 0, v[2:3]
	v_and_or_b32 v1, v2, 7, v4
	s_and_b32 s10, s10, vcc_lo
	s_delay_alu instid0(VALU_DEP_1) | instid1(SALU_CYCLE_1)
	v_cndmask_b32_e64 v1, v1, 0, s10
	s_delay_alu instid0(VALU_DEP_1)
	v_or_b32_e32 v89, v1, v0
.LBB6_14127:                            ;   in Loop: Header=BB6_13467 Depth=2
	s_or_b32 exec_lo, exec_lo, s29
                                        ; implicit-def: $vgpr0
.LBB6_14128:                            ;   in Loop: Header=BB6_13467 Depth=2
	s_and_not1_saveexec_b32 s10, s28
; %bb.14129:                            ;   in Loop: Header=BB6_13467 Depth=2
	v_or_b32_e32 v89, 0x7e, v0
; %bb.14130:                            ;   in Loop: Header=BB6_13467 Depth=2
	s_or_b32 exec_lo, exec_lo, s10
                                        ; implicit-def: $vgpr0
.LBB6_14131:                            ;   in Loop: Header=BB6_13467 Depth=2
	s_and_not1_saveexec_b32 s10, s27
; %bb.14132:                            ;   in Loop: Header=BB6_13467 Depth=2
	v_or_b32_e32 v89, 0x7f, v0
; %bb.14133:                            ;   in Loop: Header=BB6_13467 Depth=2
	s_or_b32 exec_lo, exec_lo, s10
	v_and_b32_e32 v1, 0xff, v13
	v_dual_mov_b32 v54, v13 :: v_dual_mov_b32 v0, 0
	s_mov_b32 s10, exec_lo
	s_delay_alu instid0(VALU_DEP_2)
	v_cmpx_ne_u16_e32 0, v1
	s_cbranch_execz .LBB6_14139
; %bb.14134:                            ;   in Loop: Header=BB6_13467 Depth=2
	v_bfrev_b32_e32 v0, 1
	s_mov_b32 s27, exec_lo
	v_cmpx_ne_u16_e32 0x80, v1
	s_cbranch_execz .LBB6_14138
; %bb.14135:                            ;   in Loop: Header=BB6_13467 Depth=2
	v_and_b32_e32 v1, 0x7f, v13
	v_mov_b32_e32 v0, 0x7f800001
	s_mov_b32 s28, exec_lo
	s_delay_alu instid0(VALU_DEP_2)
	v_cmpx_ne_u32_e32 0x7f, v1
	s_cbranch_execz .LBB6_14137
; %bb.14136:                            ;   in Loop: Header=BB6_13467 Depth=2
	v_and_b32_e32 v0, 7, v13
	v_cmp_gt_u32_e32 vcc_lo, 8, v1
	s_delay_alu instid0(VALU_DEP_2) | instskip(NEXT) | instid1(VALU_DEP_1)
	v_clz_i32_u32_e32 v0, v0
	v_min_u32_e32 v0, 32, v0
	v_lshrrev_b32_e32 v2, 3, v1
	s_delay_alu instid0(VALU_DEP_2) | instskip(SKIP_1) | instid1(VALU_DEP_1)
	v_subrev_nc_u32_e32 v3, 28, v0
	v_sub_nc_u32_e32 v0, 29, v0
	v_dual_cndmask_b32 v2, v2, v0, vcc_lo :: v_dual_cndmask_b32 v0, 0, v3, vcc_lo
	s_delay_alu instid0(VALU_DEP_1) | instskip(NEXT) | instid1(VALU_DEP_2)
	v_lshl_add_u32 v2, v2, 23, 0x3c000000
	v_lshlrev_b64_e32 v[0:1], v0, v[54:55]
	v_lshlrev_b32_e32 v1, 24, v54
	s_delay_alu instid0(VALU_DEP_1) | instskip(NEXT) | instid1(VALU_DEP_3)
	v_and_b32_e32 v1, 0x80000000, v1
	v_lshlrev_b32_e32 v0, 20, v0
	s_delay_alu instid0(VALU_DEP_1) | instskip(NEXT) | instid1(VALU_DEP_1)
	v_and_b32_e32 v0, 0x700000, v0
	v_or3_b32 v0, v0, v1, v2
.LBB6_14137:                            ;   in Loop: Header=BB6_13467 Depth=2
	s_or_b32 exec_lo, exec_lo, s28
.LBB6_14138:                            ;   in Loop: Header=BB6_13467 Depth=2
	s_delay_alu instid0(SALU_CYCLE_1)
	s_or_b32 exec_lo, exec_lo, s27
.LBB6_14139:                            ;   in Loop: Header=BB6_13467 Depth=2
	s_delay_alu instid0(SALU_CYCLE_1) | instskip(NEXT) | instid1(VALU_DEP_1)
	s_or_b32 exec_lo, exec_lo, s10
	v_dual_mul_f32 v1, s26, v0 :: v_dual_mov_b32 v3, v55
                                        ; implicit-def: $vgpr90
	s_mov_b32 s10, exec_lo
	s_delay_alu instid0(VALU_DEP_1) | instskip(SKIP_1) | instid1(VALU_DEP_2)
	v_and_b32_e32 v2, 0x7f800000, v1
	v_lshrrev_b32_e32 v0, 24, v1
	v_cmpx_ne_u64_e32 0x7f800000, v[2:3]
	s_xor_b32 s27, exec_lo, s10
	s_cbranch_execz .LBB6_14153
; %bb.14140:                            ;   in Loop: Header=BB6_13467 Depth=2
	v_and_b32_e32 v2, 0x7fffffff, v1
	v_mov_b32_e32 v3, v55
	v_and_b32_e32 v0, 0x80, v0
                                        ; implicit-def: $vgpr90
	s_mov_b32 s10, exec_lo
	s_delay_alu instid0(VALU_DEP_2)
	v_cmpx_gt_u64_e32 0x43e00001, v[2:3]
	s_xor_b32 s28, exec_lo, s10
	s_cbranch_execz .LBB6_14150
; %bb.14141:                            ;   in Loop: Header=BB6_13467 Depth=2
	v_mov_b32_e32 v90, 0
	s_mov_b32 s29, exec_lo
	v_cmpx_ne_u32_e32 0, v1
	s_cbranch_execz .LBB6_14149
; %bb.14142:                            ;   in Loop: Header=BB6_13467 Depth=2
	v_bfe_u32 v2, v1, 23, 8
	v_and_b32_e32 v1, 0x7fffff, v1
	s_mov_b32 s40, exec_lo
	v_mov_b32_e32 v7, v55
	s_delay_alu instid0(VALU_DEP_3) | instskip(NEXT) | instid1(VALU_DEP_3)
	v_cmp_gt_u32_e32 vcc_lo, 0x7a, v2
	v_or_b32_e32 v6, 0x800000, v1
	v_sub_nc_u32_e32 v3, 0x79, v2
	s_delay_alu instid0(VALU_DEP_1) | instskip(SKIP_1) | instid1(VALU_DEP_2)
	v_cndmask_b32_e32 v3, 0, v3, vcc_lo
	v_cmp_eq_u32_e32 vcc_lo, 0, v2
	v_cndmask_b32_e64 v3, v3, 0x78, vcc_lo
	s_delay_alu instid0(VALU_DEP_1) | instskip(SKIP_1) | instid1(VALU_DEP_2)
	v_dual_cndmask_b32 v6, v6, v1, vcc_lo :: v_dual_add_nc_u32 v4, 20, v3
	v_add_nc_u32_e32 v8, 19, v3
	v_lshrrev_b64 v[10:11], v3, v[6:7]
	s_delay_alu instid0(VALU_DEP_3) | instskip(NEXT) | instid1(VALU_DEP_3)
	v_lshlrev_b64_e64 v[4:5], v4, -1
	v_lshlrev_b64_e64 v[8:9], v8, 1
	s_delay_alu instid0(VALU_DEP_3) | instskip(NEXT) | instid1(VALU_DEP_3)
	v_mov_b64_e32 v[16:17], v[10:11]
	v_bfi_b32 v5, v5, 0, 0
	s_delay_alu instid0(VALU_DEP_4) | instskip(NEXT) | instid1(VALU_DEP_1)
	v_bfi_b32 v4, v4, 0, v6
	v_cmpx_eq_u64_e64 v[4:5], v[8:9]
; %bb.14143:                            ;   in Loop: Header=BB6_13467 Depth=2
	v_bfe_u32 v4, v10, 20, 1
	v_mov_b32_e32 v5, v55
	s_delay_alu instid0(VALU_DEP_1) | instskip(NEXT) | instid1(VALU_DEP_1)
	v_add_nc_u64_e32 v[4:5], v[10:11], v[4:5]
	v_add_nc_u64_e32 v[16:17], -1, v[4:5]
; %bb.14144:                            ;   in Loop: Header=BB6_13467 Depth=2
	s_or_b32 exec_lo, exec_lo, s40
	v_add_nc_u32_e32 v1, 0xffffff81, v2
	v_lshrrev_b32_e32 v2, 23, v10
	s_mov_b32 s10, exec_lo
	v_mov_b32_e32 v11, v55
	s_delay_alu instid0(VALU_DEP_3) | instskip(NEXT) | instid1(VALU_DEP_1)
	v_cndmask_b32_e64 v1, v1, 0xffffff82, vcc_lo
	v_add3_u32 v2, v3, v1, v2
	v_and_b32_e32 v1, 0xfffff, v16
	s_delay_alu instid0(VALU_DEP_2) | instskip(NEXT) | instid1(VALU_DEP_2)
	v_add_nc_u32_e32 v3, 6, v2
	v_add_nc_u32_e32 v10, v1, v10
                                        ; implicit-def: $vgpr1
	s_delay_alu instid0(VALU_DEP_2)
	v_cmpx_ne_u32_e32 0, v3
	s_xor_b32 s10, exec_lo, s10
; %bb.14145:                            ;   in Loop: Header=BB6_13467 Depth=2
	s_delay_alu instid0(VALU_DEP_2) | instskip(SKIP_2) | instid1(VALU_DEP_2)
	v_cmp_lt_u64_e32 vcc_lo, 0xffffff, v[10:11]
	v_add_nc_u32_e32 v1, 7, v2
	v_cndmask_b32_e64 v2, 0, 1, vcc_lo
	v_cndmask_b32_e32 v1, v3, v1, vcc_lo
	s_delay_alu instid0(VALU_DEP_2)
	v_lshrrev_b64 v[10:11], v2, v[10:11]
; %bb.14146:                            ;   in Loop: Header=BB6_13467 Depth=2
	s_and_not1_saveexec_b32 s10, s10
; %bb.14147:                            ;   in Loop: Header=BB6_13467 Depth=2
	s_delay_alu instid0(VALU_DEP_1)
	v_bfe_u32 v1, v10, 23, 1
; %bb.14148:                            ;   in Loop: Header=BB6_13467 Depth=2
	s_or_b32 exec_lo, exec_lo, s10
	s_delay_alu instid0(VALU_DEP_2) | instskip(NEXT) | instid1(VALU_DEP_2)
	v_lshrrev_b64 v[2:3], 20, v[10:11]
	v_cmp_gt_i32_e32 vcc_lo, 16, v1
	v_min_i32_e32 v4, 15, v1
	v_cmp_eq_u32_e64 s10, 0, v1
	s_delay_alu instid0(VALU_DEP_2) | instskip(SKIP_1) | instid1(VALU_DEP_2)
	v_dual_cndmask_b32 v3, 0, v3 :: v_dual_lshlrev_b32 v4, 3, v4
	v_cndmask_b32_e32 v2, 7, v2, vcc_lo
	v_and_b32_e32 v4, 0xf8, v4
	s_delay_alu instid0(VALU_DEP_2) | instskip(NEXT) | instid1(VALU_DEP_2)
	v_cmp_eq_u64_e32 vcc_lo, 0, v[2:3]
	v_and_or_b32 v1, v2, 7, v4
	s_and_b32 s10, s10, vcc_lo
	s_delay_alu instid0(VALU_DEP_1) | instid1(SALU_CYCLE_1)
	v_cndmask_b32_e64 v1, v1, 0, s10
	s_delay_alu instid0(VALU_DEP_1)
	v_or_b32_e32 v90, v1, v0
.LBB6_14149:                            ;   in Loop: Header=BB6_13467 Depth=2
	s_or_b32 exec_lo, exec_lo, s29
                                        ; implicit-def: $vgpr0
.LBB6_14150:                            ;   in Loop: Header=BB6_13467 Depth=2
	s_and_not1_saveexec_b32 s10, s28
; %bb.14151:                            ;   in Loop: Header=BB6_13467 Depth=2
	v_or_b32_e32 v90, 0x7e, v0
; %bb.14152:                            ;   in Loop: Header=BB6_13467 Depth=2
	s_or_b32 exec_lo, exec_lo, s10
                                        ; implicit-def: $vgpr0
.LBB6_14153:                            ;   in Loop: Header=BB6_13467 Depth=2
	s_and_not1_saveexec_b32 s10, s27
; %bb.14154:                            ;   in Loop: Header=BB6_13467 Depth=2
	v_or_b32_e32 v90, 0x7f, v0
; %bb.14155:                            ;   in Loop: Header=BB6_13467 Depth=2
	s_or_b32 exec_lo, exec_lo, s10
	v_lshrrev_b16 v1, 8, v54
	v_mov_b32_e32 v0, 0
	s_mov_b32 s10, exec_lo
	s_delay_alu instid0(VALU_DEP_2)
	v_cmpx_ne_u16_e32 0, v1
	s_cbranch_execz .LBB6_14163
; %bb.14156:                            ;   in Loop: Header=BB6_13467 Depth=2
	v_bfrev_b32_e32 v0, 1
	s_mov_b32 s27, exec_lo
	v_cmpx_ne_u16_e32 0x80, v1
	s_cbranch_execz .LBB6_14162
; %bb.14157:                            ;   in Loop: Header=BB6_13467 Depth=2
	v_and_b32_e32 v2, 0xffff, v1
	v_mov_b32_e32 v0, 0x7f800001
	s_mov_b32 s28, exec_lo
	s_delay_alu instid0(VALU_DEP_2) | instskip(NEXT) | instid1(VALU_DEP_1)
	v_and_b32_e32 v1, 0x7f, v2
	v_cmpx_ne_u32_e32 0x7f, v1
	s_cbranch_execz .LBB6_14161
; %bb.14158:                            ;   in Loop: Header=BB6_13467 Depth=2
	v_dual_mov_b32 v11, v55 :: v_dual_bitop2_b32 v10, 7, v2 bitop3:0x40
	v_lshrrev_b32_e32 v0, 3, v1
	s_mov_b32 s29, exec_lo
	v_cmpx_gt_u32_e32 8, v1
; %bb.14159:                            ;   in Loop: Header=BB6_13467 Depth=2
	s_delay_alu instid0(VALU_DEP_3) | instskip(NEXT) | instid1(VALU_DEP_1)
	v_clz_i32_u32_e32 v0, v10
	v_min_u32_e32 v0, 32, v0
	s_delay_alu instid0(VALU_DEP_1) | instskip(NEXT) | instid1(VALU_DEP_1)
	v_subrev_nc_u32_e32 v1, 28, v0
	v_lshlrev_b64_e32 v[2:3], v1, v[10:11]
	s_delay_alu instid0(VALU_DEP_1)
	v_dual_sub_nc_u32 v0, 29, v0 :: v_dual_bitop2_b32 v10, 7, v2 bitop3:0x40
; %bb.14160:                            ;   in Loop: Header=BB6_13467 Depth=2
	s_or_b32 exec_lo, exec_lo, s29
	v_lshlrev_b32_e32 v1, 16, v54
	s_delay_alu instid0(VALU_DEP_2) | instskip(NEXT) | instid1(VALU_DEP_3)
	v_lshlrev_b32_e32 v2, 20, v10
	v_lshl_add_u32 v0, v0, 23, 0x3c000000
	s_delay_alu instid0(VALU_DEP_3) | instskip(NEXT) | instid1(VALU_DEP_1)
	v_and_b32_e32 v1, 0x80000000, v1
	v_or3_b32 v0, v2, v1, v0
.LBB6_14161:                            ;   in Loop: Header=BB6_13467 Depth=2
	s_or_b32 exec_lo, exec_lo, s28
.LBB6_14162:                            ;   in Loop: Header=BB6_13467 Depth=2
	s_delay_alu instid0(SALU_CYCLE_1)
	s_or_b32 exec_lo, exec_lo, s27
.LBB6_14163:                            ;   in Loop: Header=BB6_13467 Depth=2
	s_delay_alu instid0(SALU_CYCLE_1) | instskip(NEXT) | instid1(VALU_DEP_1)
	s_or_b32 exec_lo, exec_lo, s10
	v_mul_f32_e32 v1, s26, v0
                                        ; implicit-def: $vgpr91
	s_mov_b32 s10, exec_lo
	s_delay_alu instid0(VALU_DEP_1) | instskip(SKIP_1) | instid1(VALU_DEP_2)
	v_and_b32_e32 v54, 0x7f800000, v1
	v_lshrrev_b32_e32 v0, 24, v1
	v_cmpx_ne_u64_e32 0x7f800000, v[54:55]
	s_xor_b32 s27, exec_lo, s10
	s_cbranch_execz .LBB6_14177
; %bb.14164:                            ;   in Loop: Header=BB6_13467 Depth=2
	v_and_b32_e32 v54, 0x7fffffff, v1
	v_and_b32_e32 v0, 0x80, v0
                                        ; implicit-def: $vgpr91
	s_mov_b32 s10, exec_lo
	s_delay_alu instid0(VALU_DEP_2)
	v_cmpx_gt_u64_e32 0x43e00001, v[54:55]
	s_xor_b32 s28, exec_lo, s10
	s_cbranch_execz .LBB6_14174
; %bb.14165:                            ;   in Loop: Header=BB6_13467 Depth=2
	v_mov_b32_e32 v91, 0
	s_mov_b32 s29, exec_lo
	v_cmpx_ne_u32_e32 0, v1
	s_cbranch_execz .LBB6_14173
; %bb.14166:                            ;   in Loop: Header=BB6_13467 Depth=2
	v_bfe_u32 v2, v1, 23, 8
	v_and_b32_e32 v1, 0x7fffff, v1
	s_mov_b32 s40, exec_lo
	s_delay_alu instid0(VALU_DEP_2) | instskip(NEXT) | instid1(VALU_DEP_2)
	v_cmp_gt_u32_e32 vcc_lo, 0x7a, v2
	v_or_b32_e32 v6, 0x800000, v1
	v_sub_nc_u32_e32 v3, 0x79, v2
	s_delay_alu instid0(VALU_DEP_1) | instskip(SKIP_1) | instid1(VALU_DEP_2)
	v_cndmask_b32_e32 v3, 0, v3, vcc_lo
	v_cmp_eq_u32_e32 vcc_lo, 0, v2
	v_cndmask_b32_e64 v3, v3, 0x78, vcc_lo
	s_delay_alu instid0(VALU_DEP_1) | instskip(SKIP_1) | instid1(VALU_DEP_2)
	v_dual_cndmask_b32 v54, v6, v1, vcc_lo :: v_dual_add_nc_u32 v4, 20, v3
	v_add_nc_u32_e32 v7, 19, v3
	v_lshrrev_b64 v[10:11], v3, v[54:55]
	s_delay_alu instid0(VALU_DEP_3) | instskip(NEXT) | instid1(VALU_DEP_3)
	v_lshlrev_b64_e64 v[4:5], v4, -1
	v_lshlrev_b64_e64 v[6:7], v7, 1
	s_delay_alu instid0(VALU_DEP_3) | instskip(NEXT) | instid1(VALU_DEP_3)
	v_mov_b64_e32 v[16:17], v[10:11]
	v_bfi_b32 v5, v5, 0, 0
	s_delay_alu instid0(VALU_DEP_4) | instskip(NEXT) | instid1(VALU_DEP_1)
	v_bfi_b32 v4, v4, 0, v54
	v_cmpx_eq_u64_e64 v[4:5], v[6:7]
; %bb.14167:                            ;   in Loop: Header=BB6_13467 Depth=2
	v_bfe_u32 v54, v10, 20, 1
	s_delay_alu instid0(VALU_DEP_1) | instskip(NEXT) | instid1(VALU_DEP_1)
	v_add_nc_u64_e32 v[4:5], v[10:11], v[54:55]
	v_add_nc_u64_e32 v[16:17], -1, v[4:5]
; %bb.14168:                            ;   in Loop: Header=BB6_13467 Depth=2
	s_or_b32 exec_lo, exec_lo, s40
	v_add_nc_u32_e32 v1, 0xffffff81, v2
	v_lshrrev_b32_e32 v2, 23, v10
	s_mov_b32 s10, exec_lo
	s_delay_alu instid0(VALU_DEP_2) | instskip(NEXT) | instid1(VALU_DEP_1)
	v_cndmask_b32_e64 v1, v1, 0xffffff82, vcc_lo
	v_add3_u32 v2, v3, v1, v2
	v_and_b32_e32 v1, 0xfffff, v16
	s_delay_alu instid0(VALU_DEP_2) | instskip(NEXT) | instid1(VALU_DEP_2)
	v_add_nc_u32_e32 v3, 6, v2
	v_add_nc_u32_e32 v54, v1, v10
                                        ; implicit-def: $vgpr10_vgpr11
                                        ; implicit-def: $vgpr1
	s_delay_alu instid0(VALU_DEP_2)
	v_cmpx_ne_u32_e32 0, v3
	s_xor_b32 s10, exec_lo, s10
; %bb.14169:                            ;   in Loop: Header=BB6_13467 Depth=2
	s_delay_alu instid0(VALU_DEP_2) | instskip(SKIP_2) | instid1(VALU_DEP_2)
	v_cmp_lt_u64_e32 vcc_lo, 0xffffff, v[54:55]
	v_add_nc_u32_e32 v1, 7, v2
	v_cndmask_b32_e64 v2, 0, 1, vcc_lo
	v_cndmask_b32_e32 v1, v3, v1, vcc_lo
	s_delay_alu instid0(VALU_DEP_2)
	v_lshrrev_b64 v[10:11], v2, v[54:55]
; %bb.14170:                            ;   in Loop: Header=BB6_13467 Depth=2
	s_and_not1_saveexec_b32 s10, s10
; %bb.14171:                            ;   in Loop: Header=BB6_13467 Depth=2
	v_mov_b64_e32 v[10:11], v[54:55]
	v_bfe_u32 v1, v54, 23, 1
; %bb.14172:                            ;   in Loop: Header=BB6_13467 Depth=2
	s_or_b32 exec_lo, exec_lo, s10
	s_delay_alu instid0(VALU_DEP_2) | instskip(NEXT) | instid1(VALU_DEP_2)
	v_lshrrev_b64 v[2:3], 20, v[10:11]
	v_cmp_gt_i32_e32 vcc_lo, 16, v1
	v_min_i32_e32 v4, 15, v1
	v_cmp_eq_u32_e64 s10, 0, v1
	s_delay_alu instid0(VALU_DEP_2) | instskip(SKIP_1) | instid1(VALU_DEP_2)
	v_dual_cndmask_b32 v3, 0, v3 :: v_dual_lshlrev_b32 v4, 3, v4
	v_cndmask_b32_e32 v2, 7, v2, vcc_lo
	v_and_b32_e32 v4, 0xf8, v4
	s_delay_alu instid0(VALU_DEP_2) | instskip(NEXT) | instid1(VALU_DEP_2)
	v_cmp_eq_u64_e32 vcc_lo, 0, v[2:3]
	v_and_or_b32 v1, v2, 7, v4
	s_and_b32 s10, s10, vcc_lo
	s_delay_alu instid0(VALU_DEP_1) | instid1(SALU_CYCLE_1)
	v_cndmask_b32_e64 v1, v1, 0, s10
	s_delay_alu instid0(VALU_DEP_1)
	v_or_b32_e32 v91, v1, v0
.LBB6_14173:                            ;   in Loop: Header=BB6_13467 Depth=2
	s_or_b32 exec_lo, exec_lo, s29
                                        ; implicit-def: $vgpr0
.LBB6_14174:                            ;   in Loop: Header=BB6_13467 Depth=2
	s_and_not1_saveexec_b32 s10, s28
; %bb.14175:                            ;   in Loop: Header=BB6_13467 Depth=2
	v_or_b32_e32 v91, 0x7e, v0
; %bb.14176:                            ;   in Loop: Header=BB6_13467 Depth=2
	s_or_b32 exec_lo, exec_lo, s10
                                        ; implicit-def: $vgpr0
.LBB6_14177:                            ;   in Loop: Header=BB6_13467 Depth=2
	s_and_not1_saveexec_b32 s10, s27
; %bb.14178:                            ;   in Loop: Header=BB6_13467 Depth=2
	v_or_b32_e32 v91, 0x7f, v0
; %bb.14179:                            ;   in Loop: Header=BB6_13467 Depth=2
	s_or_b32 exec_lo, exec_lo, s10
	v_dual_mov_b32 v1, 0 :: v_dual_lshrrev_b32 v0, 16, v13
	s_mov_b32 s10, exec_lo
	s_delay_alu instid0(VALU_DEP_1) | instskip(NEXT) | instid1(VALU_DEP_1)
	v_and_b32_e32 v2, 0xff, v0
	v_cmpx_ne_u16_e32 0, v2
	s_cbranch_execz .LBB6_14187
; %bb.14180:                            ;   in Loop: Header=BB6_13467 Depth=2
	v_bfrev_b32_e32 v1, 1
	s_mov_b32 s27, exec_lo
	v_cmpx_ne_u16_e32 0x80, v2
	s_cbranch_execz .LBB6_14186
; %bb.14181:                            ;   in Loop: Header=BB6_13467 Depth=2
	v_bfe_u32 v2, v13, 16, 7
	v_mov_b32_e32 v1, 0x7f800001
	s_mov_b32 s28, exec_lo
	s_delay_alu instid0(VALU_DEP_2)
	v_cmpx_ne_u32_e32 0x7f, v2
	s_cbranch_execz .LBB6_14185
; %bb.14182:                            ;   in Loop: Header=BB6_13467 Depth=2
	v_dual_lshrrev_b32 v1, 3, v2 :: v_dual_bitop2_b32 v54, 7, v0 bitop3:0x40
	s_mov_b32 s29, exec_lo
	v_cmpx_gt_u32_e32 8, v2
; %bb.14183:                            ;   in Loop: Header=BB6_13467 Depth=2
	s_delay_alu instid0(VALU_DEP_2) | instskip(NEXT) | instid1(VALU_DEP_1)
	v_clz_i32_u32_e32 v1, v54
	v_min_u32_e32 v1, 32, v1
	s_delay_alu instid0(VALU_DEP_1) | instskip(NEXT) | instid1(VALU_DEP_1)
	v_subrev_nc_u32_e32 v2, 28, v1
	v_lshlrev_b64_e32 v[2:3], v2, v[54:55]
	s_delay_alu instid0(VALU_DEP_1)
	v_dual_sub_nc_u32 v1, 29, v1 :: v_dual_bitop2_b32 v54, 7, v2 bitop3:0x40
; %bb.14184:                            ;   in Loop: Header=BB6_13467 Depth=2
	s_or_b32 exec_lo, exec_lo, s29
	s_delay_alu instid0(VALU_DEP_1) | instskip(NEXT) | instid1(VALU_DEP_2)
	v_dual_lshlrev_b32 v0, 24, v0 :: v_dual_lshlrev_b32 v2, 20, v54
	v_lshl_add_u32 v1, v1, 23, 0x3c000000
	s_delay_alu instid0(VALU_DEP_2) | instskip(NEXT) | instid1(VALU_DEP_1)
	v_and_b32_e32 v0, 0x80000000, v0
	v_or3_b32 v1, v2, v0, v1
.LBB6_14185:                            ;   in Loop: Header=BB6_13467 Depth=2
	s_or_b32 exec_lo, exec_lo, s28
.LBB6_14186:                            ;   in Loop: Header=BB6_13467 Depth=2
	s_delay_alu instid0(SALU_CYCLE_1)
	s_or_b32 exec_lo, exec_lo, s27
.LBB6_14187:                            ;   in Loop: Header=BB6_13467 Depth=2
	s_delay_alu instid0(SALU_CYCLE_1) | instskip(NEXT) | instid1(VALU_DEP_1)
	s_or_b32 exec_lo, exec_lo, s10
	v_mul_f32_e32 v1, s26, v1
                                        ; implicit-def: $vgpr92
	s_mov_b32 s10, exec_lo
	s_delay_alu instid0(VALU_DEP_1) | instskip(SKIP_1) | instid1(VALU_DEP_2)
	v_and_b32_e32 v54, 0x7f800000, v1
	v_lshrrev_b32_e32 v0, 24, v1
	v_cmpx_ne_u64_e32 0x7f800000, v[54:55]
	s_xor_b32 s27, exec_lo, s10
	s_cbranch_execz .LBB6_14201
; %bb.14188:                            ;   in Loop: Header=BB6_13467 Depth=2
	v_and_b32_e32 v54, 0x7fffffff, v1
	v_and_b32_e32 v0, 0x80, v0
                                        ; implicit-def: $vgpr92
	s_mov_b32 s10, exec_lo
	s_delay_alu instid0(VALU_DEP_2)
	v_cmpx_gt_u64_e32 0x43e00001, v[54:55]
	s_xor_b32 s28, exec_lo, s10
	s_cbranch_execz .LBB6_14198
; %bb.14189:                            ;   in Loop: Header=BB6_13467 Depth=2
	v_mov_b32_e32 v92, 0
	s_mov_b32 s29, exec_lo
	v_cmpx_ne_u32_e32 0, v1
	s_cbranch_execz .LBB6_14197
; %bb.14190:                            ;   in Loop: Header=BB6_13467 Depth=2
	v_bfe_u32 v2, v1, 23, 8
	v_and_b32_e32 v1, 0x7fffff, v1
	s_mov_b32 s40, exec_lo
	s_delay_alu instid0(VALU_DEP_2) | instskip(NEXT) | instid1(VALU_DEP_2)
	v_cmp_gt_u32_e32 vcc_lo, 0x7a, v2
	v_or_b32_e32 v6, 0x800000, v1
	v_sub_nc_u32_e32 v3, 0x79, v2
	s_delay_alu instid0(VALU_DEP_1) | instskip(SKIP_1) | instid1(VALU_DEP_2)
	v_cndmask_b32_e32 v3, 0, v3, vcc_lo
	v_cmp_eq_u32_e32 vcc_lo, 0, v2
	v_cndmask_b32_e64 v3, v3, 0x78, vcc_lo
	s_delay_alu instid0(VALU_DEP_1) | instskip(SKIP_1) | instid1(VALU_DEP_2)
	v_dual_cndmask_b32 v54, v6, v1, vcc_lo :: v_dual_add_nc_u32 v4, 20, v3
	v_add_nc_u32_e32 v7, 19, v3
	v_lshrrev_b64 v[10:11], v3, v[54:55]
	s_delay_alu instid0(VALU_DEP_3) | instskip(NEXT) | instid1(VALU_DEP_3)
	v_lshlrev_b64_e64 v[4:5], v4, -1
	v_lshlrev_b64_e64 v[6:7], v7, 1
	s_delay_alu instid0(VALU_DEP_3) | instskip(NEXT) | instid1(VALU_DEP_3)
	v_mov_b64_e32 v[16:17], v[10:11]
	v_bfi_b32 v5, v5, 0, 0
	s_delay_alu instid0(VALU_DEP_4) | instskip(NEXT) | instid1(VALU_DEP_1)
	v_bfi_b32 v4, v4, 0, v54
	v_cmpx_eq_u64_e64 v[4:5], v[6:7]
; %bb.14191:                            ;   in Loop: Header=BB6_13467 Depth=2
	v_bfe_u32 v54, v10, 20, 1
	s_delay_alu instid0(VALU_DEP_1) | instskip(NEXT) | instid1(VALU_DEP_1)
	v_add_nc_u64_e32 v[4:5], v[10:11], v[54:55]
	v_add_nc_u64_e32 v[16:17], -1, v[4:5]
; %bb.14192:                            ;   in Loop: Header=BB6_13467 Depth=2
	s_or_b32 exec_lo, exec_lo, s40
	v_add_nc_u32_e32 v1, 0xffffff81, v2
	v_lshrrev_b32_e32 v2, 23, v10
	s_mov_b32 s10, exec_lo
	s_delay_alu instid0(VALU_DEP_2) | instskip(NEXT) | instid1(VALU_DEP_1)
	v_cndmask_b32_e64 v1, v1, 0xffffff82, vcc_lo
	v_add3_u32 v2, v3, v1, v2
	v_and_b32_e32 v1, 0xfffff, v16
	s_delay_alu instid0(VALU_DEP_2) | instskip(NEXT) | instid1(VALU_DEP_2)
	v_add_nc_u32_e32 v3, 6, v2
	v_add_nc_u32_e32 v54, v1, v10
                                        ; implicit-def: $vgpr10_vgpr11
                                        ; implicit-def: $vgpr1
	s_delay_alu instid0(VALU_DEP_2)
	v_cmpx_ne_u32_e32 0, v3
	s_xor_b32 s10, exec_lo, s10
; %bb.14193:                            ;   in Loop: Header=BB6_13467 Depth=2
	s_delay_alu instid0(VALU_DEP_2) | instskip(SKIP_2) | instid1(VALU_DEP_2)
	v_cmp_lt_u64_e32 vcc_lo, 0xffffff, v[54:55]
	v_add_nc_u32_e32 v1, 7, v2
	v_cndmask_b32_e64 v2, 0, 1, vcc_lo
	v_cndmask_b32_e32 v1, v3, v1, vcc_lo
	s_delay_alu instid0(VALU_DEP_2)
	v_lshrrev_b64 v[10:11], v2, v[54:55]
; %bb.14194:                            ;   in Loop: Header=BB6_13467 Depth=2
	s_and_not1_saveexec_b32 s10, s10
; %bb.14195:                            ;   in Loop: Header=BB6_13467 Depth=2
	v_mov_b64_e32 v[10:11], v[54:55]
	v_bfe_u32 v1, v54, 23, 1
; %bb.14196:                            ;   in Loop: Header=BB6_13467 Depth=2
	s_or_b32 exec_lo, exec_lo, s10
	s_delay_alu instid0(VALU_DEP_2) | instskip(NEXT) | instid1(VALU_DEP_2)
	v_lshrrev_b64 v[2:3], 20, v[10:11]
	v_cmp_gt_i32_e32 vcc_lo, 16, v1
	v_min_i32_e32 v4, 15, v1
	v_cmp_eq_u32_e64 s10, 0, v1
	s_delay_alu instid0(VALU_DEP_2) | instskip(SKIP_1) | instid1(VALU_DEP_2)
	v_dual_cndmask_b32 v3, 0, v3 :: v_dual_lshlrev_b32 v4, 3, v4
	v_cndmask_b32_e32 v2, 7, v2, vcc_lo
	v_and_b32_e32 v4, 0xf8, v4
	s_delay_alu instid0(VALU_DEP_2) | instskip(NEXT) | instid1(VALU_DEP_2)
	v_cmp_eq_u64_e32 vcc_lo, 0, v[2:3]
	v_and_or_b32 v1, v2, 7, v4
	s_and_b32 s10, s10, vcc_lo
	s_delay_alu instid0(VALU_DEP_1) | instid1(SALU_CYCLE_1)
	v_cndmask_b32_e64 v1, v1, 0, s10
	s_delay_alu instid0(VALU_DEP_1)
	v_or_b32_e32 v92, v1, v0
.LBB6_14197:                            ;   in Loop: Header=BB6_13467 Depth=2
	s_or_b32 exec_lo, exec_lo, s29
                                        ; implicit-def: $vgpr0
.LBB6_14198:                            ;   in Loop: Header=BB6_13467 Depth=2
	s_and_not1_saveexec_b32 s10, s28
; %bb.14199:                            ;   in Loop: Header=BB6_13467 Depth=2
	v_or_b32_e32 v92, 0x7e, v0
; %bb.14200:                            ;   in Loop: Header=BB6_13467 Depth=2
	s_or_b32 exec_lo, exec_lo, s10
                                        ; implicit-def: $vgpr0
.LBB6_14201:                            ;   in Loop: Header=BB6_13467 Depth=2
	s_and_not1_saveexec_b32 s10, s27
; %bb.14202:                            ;   in Loop: Header=BB6_13467 Depth=2
	v_or_b32_e32 v92, 0x7f, v0
; %bb.14203:                            ;   in Loop: Header=BB6_13467 Depth=2
	s_or_b32 exec_lo, exec_lo, s10
	v_mov_b32_e32 v1, 0
	s_mov_b32 s10, exec_lo
	v_cmpx_lt_u64_e64 s[12:13], v[12:13]
	s_cbranch_execz .LBB6_14211
; %bb.14204:                            ;   in Loop: Header=BB6_13467 Depth=2
	v_lshrrev_b32_e32 v0, 24, v13
	v_bfrev_b32_e32 v1, 1
	s_mov_b32 s27, exec_lo
	s_delay_alu instid0(VALU_DEP_2)
	v_cmpx_ne_u32_e32 0x80, v0
	s_cbranch_execz .LBB6_14210
; %bb.14205:                            ;   in Loop: Header=BB6_13467 Depth=2
	v_bfe_u32 v2, v13, 24, 7
	v_mov_b32_e32 v1, 0x7f800001
	s_mov_b32 s28, exec_lo
	s_delay_alu instid0(VALU_DEP_2)
	v_cmpx_ne_u32_e32 0x7f, v2
	s_cbranch_execz .LBB6_14209
; %bb.14206:                            ;   in Loop: Header=BB6_13467 Depth=2
	v_dual_lshrrev_b32 v1, 3, v2 :: v_dual_bitop2_b32 v54, 7, v0 bitop3:0x40
	s_mov_b32 s29, exec_lo
	v_cmpx_gt_u32_e32 8, v2
; %bb.14207:                            ;   in Loop: Header=BB6_13467 Depth=2
	s_delay_alu instid0(VALU_DEP_2) | instskip(NEXT) | instid1(VALU_DEP_1)
	v_clz_i32_u32_e32 v1, v54
	v_min_u32_e32 v1, 32, v1
	s_delay_alu instid0(VALU_DEP_1) | instskip(NEXT) | instid1(VALU_DEP_1)
	v_subrev_nc_u32_e32 v2, 28, v1
	v_lshlrev_b64_e32 v[2:3], v2, v[54:55]
	s_delay_alu instid0(VALU_DEP_1)
	v_dual_sub_nc_u32 v1, 29, v1 :: v_dual_bitop2_b32 v54, 7, v2 bitop3:0x40
; %bb.14208:                            ;   in Loop: Header=BB6_13467 Depth=2
	s_or_b32 exec_lo, exec_lo, s29
	s_delay_alu instid0(VALU_DEP_1) | instskip(NEXT) | instid1(VALU_DEP_2)
	v_dual_lshlrev_b32 v0, 24, v0 :: v_dual_lshlrev_b32 v2, 20, v54
	v_lshl_add_u32 v1, v1, 23, 0x3c000000
	s_delay_alu instid0(VALU_DEP_2) | instskip(NEXT) | instid1(VALU_DEP_1)
	v_and_b32_e32 v0, 0x80000000, v0
	v_or3_b32 v1, v2, v0, v1
.LBB6_14209:                            ;   in Loop: Header=BB6_13467 Depth=2
	s_or_b32 exec_lo, exec_lo, s28
.LBB6_14210:                            ;   in Loop: Header=BB6_13467 Depth=2
	s_delay_alu instid0(SALU_CYCLE_1)
	s_or_b32 exec_lo, exec_lo, s27
.LBB6_14211:                            ;   in Loop: Header=BB6_13467 Depth=2
	s_delay_alu instid0(SALU_CYCLE_1) | instskip(NEXT) | instid1(VALU_DEP_1)
	s_or_b32 exec_lo, exec_lo, s10
	v_mul_f32_e32 v1, s26, v1
                                        ; implicit-def: $vgpr93
	s_mov_b32 s10, exec_lo
	s_delay_alu instid0(VALU_DEP_1) | instskip(SKIP_1) | instid1(VALU_DEP_2)
	v_and_b32_e32 v54, 0x7f800000, v1
	v_lshrrev_b32_e32 v0, 24, v1
	v_cmpx_ne_u64_e32 0x7f800000, v[54:55]
	s_xor_b32 s27, exec_lo, s10
	s_cbranch_execz .LBB6_14225
; %bb.14212:                            ;   in Loop: Header=BB6_13467 Depth=2
	v_and_b32_e32 v54, 0x7fffffff, v1
	v_and_b32_e32 v0, 0x80, v0
                                        ; implicit-def: $vgpr93
	s_mov_b32 s10, exec_lo
	s_delay_alu instid0(VALU_DEP_2)
	v_cmpx_gt_u64_e32 0x43e00001, v[54:55]
	s_xor_b32 s28, exec_lo, s10
	s_cbranch_execz .LBB6_14222
; %bb.14213:                            ;   in Loop: Header=BB6_13467 Depth=2
	v_mov_b32_e32 v93, 0
	s_mov_b32 s29, exec_lo
	v_cmpx_ne_u32_e32 0, v1
	s_cbranch_execz .LBB6_14221
; %bb.14214:                            ;   in Loop: Header=BB6_13467 Depth=2
	v_bfe_u32 v2, v1, 23, 8
	v_and_b32_e32 v1, 0x7fffff, v1
	s_mov_b32 s40, exec_lo
	s_delay_alu instid0(VALU_DEP_2) | instskip(NEXT) | instid1(VALU_DEP_2)
	v_cmp_gt_u32_e32 vcc_lo, 0x7a, v2
	v_or_b32_e32 v6, 0x800000, v1
	v_sub_nc_u32_e32 v3, 0x79, v2
	s_delay_alu instid0(VALU_DEP_1) | instskip(SKIP_1) | instid1(VALU_DEP_2)
	v_cndmask_b32_e32 v3, 0, v3, vcc_lo
	v_cmp_eq_u32_e32 vcc_lo, 0, v2
	v_cndmask_b32_e64 v3, v3, 0x78, vcc_lo
	s_delay_alu instid0(VALU_DEP_1) | instskip(SKIP_1) | instid1(VALU_DEP_2)
	v_dual_cndmask_b32 v54, v6, v1, vcc_lo :: v_dual_add_nc_u32 v4, 20, v3
	v_add_nc_u32_e32 v7, 19, v3
	v_lshrrev_b64 v[10:11], v3, v[54:55]
	s_delay_alu instid0(VALU_DEP_3) | instskip(NEXT) | instid1(VALU_DEP_3)
	v_lshlrev_b64_e64 v[4:5], v4, -1
	v_lshlrev_b64_e64 v[6:7], v7, 1
	s_delay_alu instid0(VALU_DEP_3) | instskip(NEXT) | instid1(VALU_DEP_3)
	v_mov_b64_e32 v[12:13], v[10:11]
	v_bfi_b32 v5, v5, 0, 0
	s_delay_alu instid0(VALU_DEP_4) | instskip(NEXT) | instid1(VALU_DEP_1)
	v_bfi_b32 v4, v4, 0, v54
	v_cmpx_eq_u64_e64 v[4:5], v[6:7]
; %bb.14215:                            ;   in Loop: Header=BB6_13467 Depth=2
	v_bfe_u32 v54, v10, 20, 1
	s_delay_alu instid0(VALU_DEP_1) | instskip(NEXT) | instid1(VALU_DEP_1)
	v_add_nc_u64_e32 v[4:5], v[10:11], v[54:55]
	v_add_nc_u64_e32 v[12:13], -1, v[4:5]
; %bb.14216:                            ;   in Loop: Header=BB6_13467 Depth=2
	s_or_b32 exec_lo, exec_lo, s40
	v_add_nc_u32_e32 v1, 0xffffff81, v2
	v_lshrrev_b32_e32 v2, 23, v10
	s_mov_b32 s10, exec_lo
	s_delay_alu instid0(VALU_DEP_2) | instskip(NEXT) | instid1(VALU_DEP_1)
	v_cndmask_b32_e64 v1, v1, 0xffffff82, vcc_lo
	v_add3_u32 v2, v3, v1, v2
	v_and_b32_e32 v1, 0xfffff, v12
	s_delay_alu instid0(VALU_DEP_2) | instskip(NEXT) | instid1(VALU_DEP_2)
	v_add_nc_u32_e32 v3, 6, v2
	v_add_nc_u32_e32 v54, v1, v10
                                        ; implicit-def: $vgpr10_vgpr11
                                        ; implicit-def: $vgpr1
	s_delay_alu instid0(VALU_DEP_2)
	v_cmpx_ne_u32_e32 0, v3
	s_xor_b32 s10, exec_lo, s10
; %bb.14217:                            ;   in Loop: Header=BB6_13467 Depth=2
	s_delay_alu instid0(VALU_DEP_2) | instskip(SKIP_2) | instid1(VALU_DEP_2)
	v_cmp_lt_u64_e32 vcc_lo, 0xffffff, v[54:55]
	v_add_nc_u32_e32 v1, 7, v2
	v_cndmask_b32_e64 v2, 0, 1, vcc_lo
	v_cndmask_b32_e32 v1, v3, v1, vcc_lo
	s_delay_alu instid0(VALU_DEP_2)
	v_lshrrev_b64 v[10:11], v2, v[54:55]
; %bb.14218:                            ;   in Loop: Header=BB6_13467 Depth=2
	s_and_not1_saveexec_b32 s10, s10
; %bb.14219:                            ;   in Loop: Header=BB6_13467 Depth=2
	v_mov_b64_e32 v[10:11], v[54:55]
	v_bfe_u32 v1, v54, 23, 1
; %bb.14220:                            ;   in Loop: Header=BB6_13467 Depth=2
	s_or_b32 exec_lo, exec_lo, s10
	s_delay_alu instid0(VALU_DEP_2) | instskip(NEXT) | instid1(VALU_DEP_2)
	v_lshrrev_b64 v[2:3], 20, v[10:11]
	v_cmp_gt_i32_e32 vcc_lo, 16, v1
	v_min_i32_e32 v4, 15, v1
	v_cmp_eq_u32_e64 s10, 0, v1
	s_delay_alu instid0(VALU_DEP_2) | instskip(SKIP_1) | instid1(VALU_DEP_2)
	v_dual_cndmask_b32 v3, 0, v3 :: v_dual_lshlrev_b32 v4, 3, v4
	v_cndmask_b32_e32 v2, 7, v2, vcc_lo
	v_and_b32_e32 v4, 0xf8, v4
	s_delay_alu instid0(VALU_DEP_2) | instskip(NEXT) | instid1(VALU_DEP_2)
	v_cmp_eq_u64_e32 vcc_lo, 0, v[2:3]
	v_and_or_b32 v1, v2, 7, v4
	s_and_b32 s10, s10, vcc_lo
	s_delay_alu instid0(VALU_DEP_1) | instid1(SALU_CYCLE_1)
	v_cndmask_b32_e64 v1, v1, 0, s10
	s_delay_alu instid0(VALU_DEP_1)
	v_or_b32_e32 v93, v1, v0
.LBB6_14221:                            ;   in Loop: Header=BB6_13467 Depth=2
	s_or_b32 exec_lo, exec_lo, s29
                                        ; implicit-def: $vgpr0
.LBB6_14222:                            ;   in Loop: Header=BB6_13467 Depth=2
	s_and_not1_saveexec_b32 s10, s28
; %bb.14223:                            ;   in Loop: Header=BB6_13467 Depth=2
	v_or_b32_e32 v93, 0x7e, v0
; %bb.14224:                            ;   in Loop: Header=BB6_13467 Depth=2
	s_or_b32 exec_lo, exec_lo, s10
                                        ; implicit-def: $vgpr0
.LBB6_14225:                            ;   in Loop: Header=BB6_13467 Depth=2
	s_and_not1_saveexec_b32 s10, s27
; %bb.14226:                            ;   in Loop: Header=BB6_13467 Depth=2
	v_or_b32_e32 v93, 0x7f, v0
; %bb.14227:                            ;   in Loop: Header=BB6_13467 Depth=2
	s_or_b32 exec_lo, exec_lo, s10
	global_load_b128 v[10:13], v[14:15], off offset:1024 th:TH_LOAD_NT
	v_mov_b32_e32 v0, 0
	s_mov_b32 s10, exec_lo
	s_wait_loadcnt 0x0
	v_and_b32_e32 v1, 0xff, v10
	s_wait_xcnt 0x0
	s_delay_alu instid0(VALU_DEP_1)
	v_cmpx_ne_u16_e32 0, v1
	s_cbranch_execz .LBB6_14233
; %bb.14228:                            ;   in Loop: Header=BB6_13467 Depth=2
	v_bfrev_b32_e32 v0, 1
	s_mov_b32 s27, exec_lo
	v_cmpx_ne_u16_e32 0x80, v1
	s_cbranch_execz .LBB6_14232
; %bb.14229:                            ;   in Loop: Header=BB6_13467 Depth=2
	v_and_b32_e32 v1, 0x7f, v10
	v_mov_b32_e32 v0, 0x7f800001
	s_mov_b32 s28, exec_lo
	s_delay_alu instid0(VALU_DEP_2)
	v_cmpx_ne_u32_e32 0x7f, v1
	s_cbranch_execz .LBB6_14231
; %bb.14230:                            ;   in Loop: Header=BB6_13467 Depth=2
	v_dual_lshrrev_b32 v2, 3, v1 :: v_dual_bitop2_b32 v0, 7, v10 bitop3:0x40
	v_cmp_gt_u32_e32 vcc_lo, 8, v1
	s_delay_alu instid0(VALU_DEP_2) | instskip(NEXT) | instid1(VALU_DEP_1)
	v_clz_i32_u32_e32 v0, v0
	v_min_u32_e32 v0, 32, v0
	s_delay_alu instid0(VALU_DEP_1) | instskip(SKIP_1) | instid1(VALU_DEP_1)
	v_subrev_nc_u32_e32 v3, 28, v0
	v_sub_nc_u32_e32 v0, 29, v0
	v_dual_cndmask_b32 v2, v2, v0, vcc_lo :: v_dual_cndmask_b32 v0, 0, v3, vcc_lo
	s_delay_alu instid0(VALU_DEP_1) | instskip(NEXT) | instid1(VALU_DEP_2)
	v_lshl_add_u32 v2, v2, 23, 0x3c000000
	v_lshlrev_b64_e32 v[0:1], v0, v[10:11]
	v_lshlrev_b32_e32 v1, 24, v10
	s_delay_alu instid0(VALU_DEP_1) | instskip(NEXT) | instid1(VALU_DEP_3)
	v_and_b32_e32 v1, 0x80000000, v1
	v_lshlrev_b32_e32 v0, 20, v0
	s_delay_alu instid0(VALU_DEP_1) | instskip(NEXT) | instid1(VALU_DEP_1)
	v_and_b32_e32 v0, 0x700000, v0
	v_or3_b32 v0, v0, v1, v2
.LBB6_14231:                            ;   in Loop: Header=BB6_13467 Depth=2
	s_or_b32 exec_lo, exec_lo, s28
.LBB6_14232:                            ;   in Loop: Header=BB6_13467 Depth=2
	s_delay_alu instid0(SALU_CYCLE_1)
	s_or_b32 exec_lo, exec_lo, s27
.LBB6_14233:                            ;   in Loop: Header=BB6_13467 Depth=2
	s_delay_alu instid0(SALU_CYCLE_1) | instskip(NEXT) | instid1(VALU_DEP_1)
	s_or_b32 exec_lo, exec_lo, s10
	v_mul_f32_e32 v1, s26, v0
                                        ; implicit-def: $vgpr94
	s_mov_b32 s10, exec_lo
	s_delay_alu instid0(VALU_DEP_1) | instskip(SKIP_1) | instid1(VALU_DEP_2)
	v_and_b32_e32 v54, 0x7f800000, v1
	v_lshrrev_b32_e32 v0, 24, v1
	v_cmpx_ne_u64_e32 0x7f800000, v[54:55]
	s_xor_b32 s27, exec_lo, s10
	s_cbranch_execz .LBB6_14247
; %bb.14234:                            ;   in Loop: Header=BB6_13467 Depth=2
	v_and_b32_e32 v54, 0x7fffffff, v1
	v_and_b32_e32 v0, 0x80, v0
                                        ; implicit-def: $vgpr94
	s_mov_b32 s10, exec_lo
	s_delay_alu instid0(VALU_DEP_2)
	v_cmpx_gt_u64_e32 0x43e00001, v[54:55]
	s_xor_b32 s28, exec_lo, s10
	s_cbranch_execz .LBB6_14244
; %bb.14235:                            ;   in Loop: Header=BB6_13467 Depth=2
	v_mov_b32_e32 v94, 0
	s_mov_b32 s29, exec_lo
	v_cmpx_ne_u32_e32 0, v1
	s_cbranch_execz .LBB6_14243
; %bb.14236:                            ;   in Loop: Header=BB6_13467 Depth=2
	v_bfe_u32 v2, v1, 23, 8
	v_and_b32_e32 v1, 0x7fffff, v1
	s_mov_b32 s40, exec_lo
	s_delay_alu instid0(VALU_DEP_2) | instskip(NEXT) | instid1(VALU_DEP_2)
	v_cmp_gt_u32_e32 vcc_lo, 0x7a, v2
	v_or_b32_e32 v6, 0x800000, v1
	v_sub_nc_u32_e32 v3, 0x79, v2
	s_delay_alu instid0(VALU_DEP_1) | instskip(SKIP_1) | instid1(VALU_DEP_2)
	v_cndmask_b32_e32 v3, 0, v3, vcc_lo
	v_cmp_eq_u32_e32 vcc_lo, 0, v2
	v_cndmask_b32_e64 v3, v3, 0x78, vcc_lo
	s_delay_alu instid0(VALU_DEP_1) | instskip(SKIP_1) | instid1(VALU_DEP_2)
	v_dual_cndmask_b32 v54, v6, v1, vcc_lo :: v_dual_add_nc_u32 v4, 20, v3
	v_add_nc_u32_e32 v7, 19, v3
	v_lshrrev_b64 v[16:17], v3, v[54:55]
	s_delay_alu instid0(VALU_DEP_3) | instskip(NEXT) | instid1(VALU_DEP_3)
	v_lshlrev_b64_e64 v[4:5], v4, -1
	v_lshlrev_b64_e64 v[6:7], v7, 1
	s_delay_alu instid0(VALU_DEP_3) | instskip(NEXT) | instid1(VALU_DEP_3)
	v_mov_b64_e32 v[18:19], v[16:17]
	v_bfi_b32 v5, v5, 0, 0
	s_delay_alu instid0(VALU_DEP_4) | instskip(NEXT) | instid1(VALU_DEP_1)
	v_bfi_b32 v4, v4, 0, v54
	v_cmpx_eq_u64_e64 v[4:5], v[6:7]
; %bb.14237:                            ;   in Loop: Header=BB6_13467 Depth=2
	v_bfe_u32 v54, v16, 20, 1
	s_delay_alu instid0(VALU_DEP_1) | instskip(NEXT) | instid1(VALU_DEP_1)
	v_add_nc_u64_e32 v[4:5], v[16:17], v[54:55]
	v_add_nc_u64_e32 v[18:19], -1, v[4:5]
; %bb.14238:                            ;   in Loop: Header=BB6_13467 Depth=2
	s_or_b32 exec_lo, exec_lo, s40
	v_add_nc_u32_e32 v1, 0xffffff81, v2
	v_lshrrev_b32_e32 v2, 23, v16
	s_mov_b32 s10, exec_lo
	s_delay_alu instid0(VALU_DEP_2) | instskip(NEXT) | instid1(VALU_DEP_1)
	v_cndmask_b32_e64 v1, v1, 0xffffff82, vcc_lo
	v_add3_u32 v2, v3, v1, v2
	v_and_b32_e32 v1, 0xfffff, v18
	s_delay_alu instid0(VALU_DEP_1) | instskip(NEXT) | instid1(VALU_DEP_1)
	v_dual_add_nc_u32 v3, 6, v2 :: v_dual_add_nc_u32 v54, v1, v16
                                        ; implicit-def: $vgpr16_vgpr17
                                        ; implicit-def: $vgpr1
	v_cmpx_ne_u32_e32 0, v3
	s_xor_b32 s10, exec_lo, s10
; %bb.14239:                            ;   in Loop: Header=BB6_13467 Depth=2
	s_delay_alu instid0(VALU_DEP_2) | instskip(SKIP_2) | instid1(VALU_DEP_2)
	v_cmp_lt_u64_e32 vcc_lo, 0xffffff, v[54:55]
	v_add_nc_u32_e32 v1, 7, v2
	v_cndmask_b32_e64 v2, 0, 1, vcc_lo
	v_cndmask_b32_e32 v1, v3, v1, vcc_lo
	s_delay_alu instid0(VALU_DEP_2)
	v_lshrrev_b64 v[16:17], v2, v[54:55]
; %bb.14240:                            ;   in Loop: Header=BB6_13467 Depth=2
	s_and_not1_saveexec_b32 s10, s10
; %bb.14241:                            ;   in Loop: Header=BB6_13467 Depth=2
	v_mov_b64_e32 v[16:17], v[54:55]
	v_bfe_u32 v1, v54, 23, 1
; %bb.14242:                            ;   in Loop: Header=BB6_13467 Depth=2
	s_or_b32 exec_lo, exec_lo, s10
	s_delay_alu instid0(VALU_DEP_2) | instskip(NEXT) | instid1(VALU_DEP_2)
	v_lshrrev_b64 v[2:3], 20, v[16:17]
	v_cmp_gt_i32_e32 vcc_lo, 16, v1
	v_min_i32_e32 v4, 15, v1
	v_cmp_eq_u32_e64 s10, 0, v1
	s_delay_alu instid0(VALU_DEP_2) | instskip(SKIP_1) | instid1(VALU_DEP_2)
	v_dual_cndmask_b32 v3, 0, v3 :: v_dual_lshlrev_b32 v4, 3, v4
	v_cndmask_b32_e32 v2, 7, v2, vcc_lo
	v_and_b32_e32 v4, 0xf8, v4
	s_delay_alu instid0(VALU_DEP_2) | instskip(NEXT) | instid1(VALU_DEP_2)
	v_cmp_eq_u64_e32 vcc_lo, 0, v[2:3]
	v_and_or_b32 v1, v2, 7, v4
	s_and_b32 s10, s10, vcc_lo
	s_delay_alu instid0(VALU_DEP_1) | instid1(SALU_CYCLE_1)
	v_cndmask_b32_e64 v1, v1, 0, s10
	s_delay_alu instid0(VALU_DEP_1)
	v_or_b32_e32 v94, v1, v0
.LBB6_14243:                            ;   in Loop: Header=BB6_13467 Depth=2
	s_or_b32 exec_lo, exec_lo, s29
                                        ; implicit-def: $vgpr0
.LBB6_14244:                            ;   in Loop: Header=BB6_13467 Depth=2
	s_and_not1_saveexec_b32 s10, s28
; %bb.14245:                            ;   in Loop: Header=BB6_13467 Depth=2
	v_or_b32_e32 v94, 0x7e, v0
; %bb.14246:                            ;   in Loop: Header=BB6_13467 Depth=2
	s_or_b32 exec_lo, exec_lo, s10
                                        ; implicit-def: $vgpr0
.LBB6_14247:                            ;   in Loop: Header=BB6_13467 Depth=2
	s_and_not1_saveexec_b32 s10, s27
; %bb.14248:                            ;   in Loop: Header=BB6_13467 Depth=2
	v_or_b32_e32 v94, 0x7f, v0
; %bb.14249:                            ;   in Loop: Header=BB6_13467 Depth=2
	s_or_b32 exec_lo, exec_lo, s10
	v_lshrrev_b16 v1, 8, v10
	v_mov_b32_e32 v0, 0
	s_mov_b32 s10, exec_lo
	s_delay_alu instid0(VALU_DEP_2)
	v_cmpx_ne_u16_e32 0, v1
	s_cbranch_execz .LBB6_14257
; %bb.14250:                            ;   in Loop: Header=BB6_13467 Depth=2
	v_bfrev_b32_e32 v0, 1
	s_mov_b32 s27, exec_lo
	v_cmpx_ne_u16_e32 0x80, v1
	s_cbranch_execz .LBB6_14256
; %bb.14251:                            ;   in Loop: Header=BB6_13467 Depth=2
	v_and_b32_e32 v2, 0xffff, v1
	v_mov_b32_e32 v0, 0x7f800001
	s_mov_b32 s28, exec_lo
	s_delay_alu instid0(VALU_DEP_2) | instskip(NEXT) | instid1(VALU_DEP_1)
	v_and_b32_e32 v1, 0x7f, v2
	v_cmpx_ne_u32_e32 0x7f, v1
	s_cbranch_execz .LBB6_14255
; %bb.14252:                            ;   in Loop: Header=BB6_13467 Depth=2
	v_dual_lshrrev_b32 v0, 3, v1 :: v_dual_bitop2_b32 v54, 7, v2 bitop3:0x40
	s_mov_b32 s29, exec_lo
	v_cmpx_gt_u32_e32 8, v1
; %bb.14253:                            ;   in Loop: Header=BB6_13467 Depth=2
	s_delay_alu instid0(VALU_DEP_2) | instskip(NEXT) | instid1(VALU_DEP_1)
	v_clz_i32_u32_e32 v0, v54
	v_min_u32_e32 v0, 32, v0
	s_delay_alu instid0(VALU_DEP_1) | instskip(NEXT) | instid1(VALU_DEP_1)
	v_subrev_nc_u32_e32 v1, 28, v0
	v_lshlrev_b64_e32 v[2:3], v1, v[54:55]
	s_delay_alu instid0(VALU_DEP_1)
	v_dual_sub_nc_u32 v0, 29, v0 :: v_dual_bitop2_b32 v54, 7, v2 bitop3:0x40
; %bb.14254:                            ;   in Loop: Header=BB6_13467 Depth=2
	s_or_b32 exec_lo, exec_lo, s29
	v_lshlrev_b32_e32 v1, 16, v10
	s_delay_alu instid0(VALU_DEP_2) | instskip(NEXT) | instid1(VALU_DEP_3)
	v_lshlrev_b32_e32 v2, 20, v54
	v_lshl_add_u32 v0, v0, 23, 0x3c000000
	s_delay_alu instid0(VALU_DEP_3) | instskip(NEXT) | instid1(VALU_DEP_1)
	v_and_b32_e32 v1, 0x80000000, v1
	v_or3_b32 v0, v2, v1, v0
.LBB6_14255:                            ;   in Loop: Header=BB6_13467 Depth=2
	s_or_b32 exec_lo, exec_lo, s28
.LBB6_14256:                            ;   in Loop: Header=BB6_13467 Depth=2
	s_delay_alu instid0(SALU_CYCLE_1)
	s_or_b32 exec_lo, exec_lo, s27
.LBB6_14257:                            ;   in Loop: Header=BB6_13467 Depth=2
	s_delay_alu instid0(SALU_CYCLE_1) | instskip(NEXT) | instid1(VALU_DEP_1)
	s_or_b32 exec_lo, exec_lo, s10
	v_mul_f32_e32 v1, s26, v0
                                        ; implicit-def: $vgpr95
	s_mov_b32 s10, exec_lo
	s_delay_alu instid0(VALU_DEP_1) | instskip(SKIP_1) | instid1(VALU_DEP_2)
	v_and_b32_e32 v54, 0x7f800000, v1
	v_lshrrev_b32_e32 v0, 24, v1
	v_cmpx_ne_u64_e32 0x7f800000, v[54:55]
	s_xor_b32 s27, exec_lo, s10
	s_cbranch_execz .LBB6_14271
; %bb.14258:                            ;   in Loop: Header=BB6_13467 Depth=2
	v_and_b32_e32 v54, 0x7fffffff, v1
	v_and_b32_e32 v0, 0x80, v0
                                        ; implicit-def: $vgpr95
	s_mov_b32 s10, exec_lo
	s_delay_alu instid0(VALU_DEP_2)
	v_cmpx_gt_u64_e32 0x43e00001, v[54:55]
	s_xor_b32 s28, exec_lo, s10
	s_cbranch_execz .LBB6_14268
; %bb.14259:                            ;   in Loop: Header=BB6_13467 Depth=2
	v_mov_b32_e32 v95, 0
	s_mov_b32 s29, exec_lo
	v_cmpx_ne_u32_e32 0, v1
	s_cbranch_execz .LBB6_14267
; %bb.14260:                            ;   in Loop: Header=BB6_13467 Depth=2
	v_bfe_u32 v2, v1, 23, 8
	v_and_b32_e32 v1, 0x7fffff, v1
	s_mov_b32 s40, exec_lo
	s_delay_alu instid0(VALU_DEP_2) | instskip(NEXT) | instid1(VALU_DEP_2)
	v_cmp_gt_u32_e32 vcc_lo, 0x7a, v2
	v_or_b32_e32 v6, 0x800000, v1
	v_sub_nc_u32_e32 v3, 0x79, v2
	s_delay_alu instid0(VALU_DEP_1) | instskip(SKIP_1) | instid1(VALU_DEP_2)
	v_cndmask_b32_e32 v3, 0, v3, vcc_lo
	v_cmp_eq_u32_e32 vcc_lo, 0, v2
	v_cndmask_b32_e64 v3, v3, 0x78, vcc_lo
	s_delay_alu instid0(VALU_DEP_1) | instskip(SKIP_1) | instid1(VALU_DEP_2)
	v_dual_cndmask_b32 v54, v6, v1, vcc_lo :: v_dual_add_nc_u32 v4, 20, v3
	v_add_nc_u32_e32 v7, 19, v3
	v_lshrrev_b64 v[16:17], v3, v[54:55]
	s_delay_alu instid0(VALU_DEP_3) | instskip(NEXT) | instid1(VALU_DEP_3)
	v_lshlrev_b64_e64 v[4:5], v4, -1
	v_lshlrev_b64_e64 v[6:7], v7, 1
	s_delay_alu instid0(VALU_DEP_3) | instskip(NEXT) | instid1(VALU_DEP_3)
	v_mov_b64_e32 v[18:19], v[16:17]
	v_bfi_b32 v5, v5, 0, 0
	s_delay_alu instid0(VALU_DEP_4) | instskip(NEXT) | instid1(VALU_DEP_1)
	v_bfi_b32 v4, v4, 0, v54
	v_cmpx_eq_u64_e64 v[4:5], v[6:7]
; %bb.14261:                            ;   in Loop: Header=BB6_13467 Depth=2
	v_bfe_u32 v54, v16, 20, 1
	s_delay_alu instid0(VALU_DEP_1) | instskip(NEXT) | instid1(VALU_DEP_1)
	v_add_nc_u64_e32 v[4:5], v[16:17], v[54:55]
	v_add_nc_u64_e32 v[18:19], -1, v[4:5]
; %bb.14262:                            ;   in Loop: Header=BB6_13467 Depth=2
	s_or_b32 exec_lo, exec_lo, s40
	v_add_nc_u32_e32 v1, 0xffffff81, v2
	v_lshrrev_b32_e32 v2, 23, v16
	s_mov_b32 s10, exec_lo
	s_delay_alu instid0(VALU_DEP_2) | instskip(NEXT) | instid1(VALU_DEP_1)
	v_cndmask_b32_e64 v1, v1, 0xffffff82, vcc_lo
	v_add3_u32 v2, v3, v1, v2
	v_and_b32_e32 v1, 0xfffff, v18
	s_delay_alu instid0(VALU_DEP_1) | instskip(NEXT) | instid1(VALU_DEP_1)
	v_dual_add_nc_u32 v3, 6, v2 :: v_dual_add_nc_u32 v54, v1, v16
                                        ; implicit-def: $vgpr16_vgpr17
                                        ; implicit-def: $vgpr1
	v_cmpx_ne_u32_e32 0, v3
	s_xor_b32 s10, exec_lo, s10
; %bb.14263:                            ;   in Loop: Header=BB6_13467 Depth=2
	s_delay_alu instid0(VALU_DEP_2) | instskip(SKIP_2) | instid1(VALU_DEP_2)
	v_cmp_lt_u64_e32 vcc_lo, 0xffffff, v[54:55]
	v_add_nc_u32_e32 v1, 7, v2
	v_cndmask_b32_e64 v2, 0, 1, vcc_lo
	v_cndmask_b32_e32 v1, v3, v1, vcc_lo
	s_delay_alu instid0(VALU_DEP_2)
	v_lshrrev_b64 v[16:17], v2, v[54:55]
; %bb.14264:                            ;   in Loop: Header=BB6_13467 Depth=2
	s_and_not1_saveexec_b32 s10, s10
; %bb.14265:                            ;   in Loop: Header=BB6_13467 Depth=2
	v_mov_b64_e32 v[16:17], v[54:55]
	v_bfe_u32 v1, v54, 23, 1
; %bb.14266:                            ;   in Loop: Header=BB6_13467 Depth=2
	s_or_b32 exec_lo, exec_lo, s10
	s_delay_alu instid0(VALU_DEP_2) | instskip(NEXT) | instid1(VALU_DEP_2)
	v_lshrrev_b64 v[2:3], 20, v[16:17]
	v_cmp_gt_i32_e32 vcc_lo, 16, v1
	v_min_i32_e32 v4, 15, v1
	v_cmp_eq_u32_e64 s10, 0, v1
	s_delay_alu instid0(VALU_DEP_2) | instskip(SKIP_1) | instid1(VALU_DEP_2)
	v_dual_cndmask_b32 v3, 0, v3 :: v_dual_lshlrev_b32 v4, 3, v4
	v_cndmask_b32_e32 v2, 7, v2, vcc_lo
	v_and_b32_e32 v4, 0xf8, v4
	s_delay_alu instid0(VALU_DEP_2) | instskip(NEXT) | instid1(VALU_DEP_2)
	v_cmp_eq_u64_e32 vcc_lo, 0, v[2:3]
	v_and_or_b32 v1, v2, 7, v4
	s_and_b32 s10, s10, vcc_lo
	s_delay_alu instid0(VALU_DEP_1) | instid1(SALU_CYCLE_1)
	v_cndmask_b32_e64 v1, v1, 0, s10
	s_delay_alu instid0(VALU_DEP_1)
	v_or_b32_e32 v95, v1, v0
.LBB6_14267:                            ;   in Loop: Header=BB6_13467 Depth=2
	s_or_b32 exec_lo, exec_lo, s29
                                        ; implicit-def: $vgpr0
.LBB6_14268:                            ;   in Loop: Header=BB6_13467 Depth=2
	s_and_not1_saveexec_b32 s10, s28
; %bb.14269:                            ;   in Loop: Header=BB6_13467 Depth=2
	v_or_b32_e32 v95, 0x7e, v0
; %bb.14270:                            ;   in Loop: Header=BB6_13467 Depth=2
	s_or_b32 exec_lo, exec_lo, s10
                                        ; implicit-def: $vgpr0
.LBB6_14271:                            ;   in Loop: Header=BB6_13467 Depth=2
	s_and_not1_saveexec_b32 s10, s27
; %bb.14272:                            ;   in Loop: Header=BB6_13467 Depth=2
	v_or_b32_e32 v95, 0x7f, v0
; %bb.14273:                            ;   in Loop: Header=BB6_13467 Depth=2
	s_or_b32 exec_lo, exec_lo, s10
	v_dual_mov_b32 v1, 0 :: v_dual_lshrrev_b32 v0, 16, v10
	s_mov_b32 s10, exec_lo
	s_delay_alu instid0(VALU_DEP_1) | instskip(NEXT) | instid1(VALU_DEP_1)
	v_and_b32_e32 v2, 0xff, v0
	v_cmpx_ne_u16_e32 0, v2
	s_cbranch_execz .LBB6_14281
; %bb.14274:                            ;   in Loop: Header=BB6_13467 Depth=2
	v_bfrev_b32_e32 v1, 1
	s_mov_b32 s27, exec_lo
	v_cmpx_ne_u16_e32 0x80, v2
	s_cbranch_execz .LBB6_14280
; %bb.14275:                            ;   in Loop: Header=BB6_13467 Depth=2
	v_bfe_u32 v2, v10, 16, 7
	v_mov_b32_e32 v1, 0x7f800001
	s_mov_b32 s28, exec_lo
	s_delay_alu instid0(VALU_DEP_2)
	v_cmpx_ne_u32_e32 0x7f, v2
	s_cbranch_execz .LBB6_14279
; %bb.14276:                            ;   in Loop: Header=BB6_13467 Depth=2
	v_dual_lshrrev_b32 v1, 3, v2 :: v_dual_bitop2_b32 v54, 7, v0 bitop3:0x40
	s_mov_b32 s29, exec_lo
	v_cmpx_gt_u32_e32 8, v2
; %bb.14277:                            ;   in Loop: Header=BB6_13467 Depth=2
	s_delay_alu instid0(VALU_DEP_2) | instskip(NEXT) | instid1(VALU_DEP_1)
	v_clz_i32_u32_e32 v1, v54
	v_min_u32_e32 v1, 32, v1
	s_delay_alu instid0(VALU_DEP_1) | instskip(NEXT) | instid1(VALU_DEP_1)
	v_subrev_nc_u32_e32 v2, 28, v1
	v_lshlrev_b64_e32 v[2:3], v2, v[54:55]
	s_delay_alu instid0(VALU_DEP_1)
	v_dual_sub_nc_u32 v1, 29, v1 :: v_dual_bitop2_b32 v54, 7, v2 bitop3:0x40
; %bb.14278:                            ;   in Loop: Header=BB6_13467 Depth=2
	s_or_b32 exec_lo, exec_lo, s29
	s_delay_alu instid0(VALU_DEP_1) | instskip(NEXT) | instid1(VALU_DEP_2)
	v_dual_lshlrev_b32 v0, 24, v0 :: v_dual_lshlrev_b32 v2, 20, v54
	v_lshl_add_u32 v1, v1, 23, 0x3c000000
	s_delay_alu instid0(VALU_DEP_2) | instskip(NEXT) | instid1(VALU_DEP_1)
	v_and_b32_e32 v0, 0x80000000, v0
	v_or3_b32 v1, v2, v0, v1
.LBB6_14279:                            ;   in Loop: Header=BB6_13467 Depth=2
	s_or_b32 exec_lo, exec_lo, s28
.LBB6_14280:                            ;   in Loop: Header=BB6_13467 Depth=2
	s_delay_alu instid0(SALU_CYCLE_1)
	s_or_b32 exec_lo, exec_lo, s27
.LBB6_14281:                            ;   in Loop: Header=BB6_13467 Depth=2
	s_delay_alu instid0(SALU_CYCLE_1) | instskip(NEXT) | instid1(VALU_DEP_1)
	s_or_b32 exec_lo, exec_lo, s10
	v_mul_f32_e32 v1, s26, v1
                                        ; implicit-def: $vgpr104
	s_mov_b32 s10, exec_lo
	s_delay_alu instid0(VALU_DEP_1) | instskip(SKIP_1) | instid1(VALU_DEP_2)
	v_and_b32_e32 v54, 0x7f800000, v1
	v_lshrrev_b32_e32 v0, 24, v1
	v_cmpx_ne_u64_e32 0x7f800000, v[54:55]
	s_xor_b32 s27, exec_lo, s10
	s_cbranch_execz .LBB6_14295
; %bb.14282:                            ;   in Loop: Header=BB6_13467 Depth=2
	v_and_b32_e32 v54, 0x7fffffff, v1
	v_and_b32_e32 v0, 0x80, v0
                                        ; implicit-def: $vgpr104
	s_mov_b32 s10, exec_lo
	s_delay_alu instid0(VALU_DEP_2)
	v_cmpx_gt_u64_e32 0x43e00001, v[54:55]
	s_xor_b32 s28, exec_lo, s10
	s_cbranch_execz .LBB6_14292
; %bb.14283:                            ;   in Loop: Header=BB6_13467 Depth=2
	v_mov_b32_e32 v104, 0
	s_mov_b32 s29, exec_lo
	v_cmpx_ne_u32_e32 0, v1
	s_cbranch_execz .LBB6_14291
; %bb.14284:                            ;   in Loop: Header=BB6_13467 Depth=2
	v_bfe_u32 v2, v1, 23, 8
	v_and_b32_e32 v1, 0x7fffff, v1
	s_mov_b32 s40, exec_lo
	s_delay_alu instid0(VALU_DEP_2) | instskip(NEXT) | instid1(VALU_DEP_2)
	v_cmp_gt_u32_e32 vcc_lo, 0x7a, v2
	v_or_b32_e32 v6, 0x800000, v1
	v_sub_nc_u32_e32 v3, 0x79, v2
	s_delay_alu instid0(VALU_DEP_1) | instskip(SKIP_1) | instid1(VALU_DEP_2)
	v_cndmask_b32_e32 v3, 0, v3, vcc_lo
	v_cmp_eq_u32_e32 vcc_lo, 0, v2
	v_cndmask_b32_e64 v3, v3, 0x78, vcc_lo
	s_delay_alu instid0(VALU_DEP_1) | instskip(SKIP_1) | instid1(VALU_DEP_2)
	v_dual_cndmask_b32 v54, v6, v1, vcc_lo :: v_dual_add_nc_u32 v4, 20, v3
	v_add_nc_u32_e32 v7, 19, v3
	v_lshrrev_b64 v[16:17], v3, v[54:55]
	s_delay_alu instid0(VALU_DEP_3) | instskip(NEXT) | instid1(VALU_DEP_3)
	v_lshlrev_b64_e64 v[4:5], v4, -1
	v_lshlrev_b64_e64 v[6:7], v7, 1
	s_delay_alu instid0(VALU_DEP_3) | instskip(NEXT) | instid1(VALU_DEP_3)
	v_mov_b64_e32 v[18:19], v[16:17]
	v_bfi_b32 v5, v5, 0, 0
	s_delay_alu instid0(VALU_DEP_4) | instskip(NEXT) | instid1(VALU_DEP_1)
	v_bfi_b32 v4, v4, 0, v54
	v_cmpx_eq_u64_e64 v[4:5], v[6:7]
; %bb.14285:                            ;   in Loop: Header=BB6_13467 Depth=2
	v_bfe_u32 v54, v16, 20, 1
	s_delay_alu instid0(VALU_DEP_1) | instskip(NEXT) | instid1(VALU_DEP_1)
	v_add_nc_u64_e32 v[4:5], v[16:17], v[54:55]
	v_add_nc_u64_e32 v[18:19], -1, v[4:5]
; %bb.14286:                            ;   in Loop: Header=BB6_13467 Depth=2
	s_or_b32 exec_lo, exec_lo, s40
	v_add_nc_u32_e32 v1, 0xffffff81, v2
	v_lshrrev_b32_e32 v2, 23, v16
	s_mov_b32 s10, exec_lo
	s_delay_alu instid0(VALU_DEP_2) | instskip(NEXT) | instid1(VALU_DEP_1)
	v_cndmask_b32_e64 v1, v1, 0xffffff82, vcc_lo
	v_add3_u32 v2, v3, v1, v2
	v_and_b32_e32 v1, 0xfffff, v18
	s_delay_alu instid0(VALU_DEP_1) | instskip(NEXT) | instid1(VALU_DEP_1)
	v_dual_add_nc_u32 v3, 6, v2 :: v_dual_add_nc_u32 v54, v1, v16
                                        ; implicit-def: $vgpr16_vgpr17
                                        ; implicit-def: $vgpr1
	v_cmpx_ne_u32_e32 0, v3
	s_xor_b32 s10, exec_lo, s10
; %bb.14287:                            ;   in Loop: Header=BB6_13467 Depth=2
	s_delay_alu instid0(VALU_DEP_2) | instskip(SKIP_2) | instid1(VALU_DEP_2)
	v_cmp_lt_u64_e32 vcc_lo, 0xffffff, v[54:55]
	v_add_nc_u32_e32 v1, 7, v2
	v_cndmask_b32_e64 v2, 0, 1, vcc_lo
	v_cndmask_b32_e32 v1, v3, v1, vcc_lo
	s_delay_alu instid0(VALU_DEP_2)
	v_lshrrev_b64 v[16:17], v2, v[54:55]
; %bb.14288:                            ;   in Loop: Header=BB6_13467 Depth=2
	s_and_not1_saveexec_b32 s10, s10
; %bb.14289:                            ;   in Loop: Header=BB6_13467 Depth=2
	v_mov_b64_e32 v[16:17], v[54:55]
	v_bfe_u32 v1, v54, 23, 1
; %bb.14290:                            ;   in Loop: Header=BB6_13467 Depth=2
	s_or_b32 exec_lo, exec_lo, s10
	s_delay_alu instid0(VALU_DEP_2) | instskip(NEXT) | instid1(VALU_DEP_2)
	v_lshrrev_b64 v[2:3], 20, v[16:17]
	v_cmp_gt_i32_e32 vcc_lo, 16, v1
	v_min_i32_e32 v4, 15, v1
	v_cmp_eq_u32_e64 s10, 0, v1
	s_delay_alu instid0(VALU_DEP_2) | instskip(SKIP_1) | instid1(VALU_DEP_2)
	v_dual_cndmask_b32 v3, 0, v3 :: v_dual_lshlrev_b32 v4, 3, v4
	v_cndmask_b32_e32 v2, 7, v2, vcc_lo
	v_and_b32_e32 v4, 0xf8, v4
	s_delay_alu instid0(VALU_DEP_2) | instskip(NEXT) | instid1(VALU_DEP_2)
	v_cmp_eq_u64_e32 vcc_lo, 0, v[2:3]
	v_and_or_b32 v1, v2, 7, v4
	s_and_b32 s10, s10, vcc_lo
	s_delay_alu instid0(VALU_DEP_1) | instid1(SALU_CYCLE_1)
	v_cndmask_b32_e64 v1, v1, 0, s10
	s_delay_alu instid0(VALU_DEP_1)
	v_or_b32_e32 v104, v1, v0
.LBB6_14291:                            ;   in Loop: Header=BB6_13467 Depth=2
	s_or_b32 exec_lo, exec_lo, s29
                                        ; implicit-def: $vgpr0
.LBB6_14292:                            ;   in Loop: Header=BB6_13467 Depth=2
	s_and_not1_saveexec_b32 s10, s28
; %bb.14293:                            ;   in Loop: Header=BB6_13467 Depth=2
	v_or_b32_e32 v104, 0x7e, v0
; %bb.14294:                            ;   in Loop: Header=BB6_13467 Depth=2
	s_or_b32 exec_lo, exec_lo, s10
                                        ; implicit-def: $vgpr0
.LBB6_14295:                            ;   in Loop: Header=BB6_13467 Depth=2
	s_and_not1_saveexec_b32 s10, s27
; %bb.14296:                            ;   in Loop: Header=BB6_13467 Depth=2
	v_or_b32_e32 v104, 0x7f, v0
; %bb.14297:                            ;   in Loop: Header=BB6_13467 Depth=2
	s_or_b32 exec_lo, exec_lo, s10
	v_mov_b32_e32 v1, 0
	s_mov_b32 s10, exec_lo
	v_cmpx_lt_u32_e32 0xffffff, v10
	s_cbranch_execz .LBB6_14305
; %bb.14298:                            ;   in Loop: Header=BB6_13467 Depth=2
	v_lshrrev_b32_e32 v0, 24, v10
	v_bfrev_b32_e32 v1, 1
	s_mov_b32 s27, exec_lo
	s_delay_alu instid0(VALU_DEP_2)
	v_cmpx_ne_u32_e32 0x80, v0
	s_cbranch_execz .LBB6_14304
; %bb.14299:                            ;   in Loop: Header=BB6_13467 Depth=2
	v_bfe_u32 v2, v10, 24, 7
	v_mov_b32_e32 v1, 0x7f800001
	s_mov_b32 s28, exec_lo
	s_delay_alu instid0(VALU_DEP_2)
	v_cmpx_ne_u32_e32 0x7f, v2
	s_cbranch_execz .LBB6_14303
; %bb.14300:                            ;   in Loop: Header=BB6_13467 Depth=2
	v_dual_lshrrev_b32 v1, 3, v2 :: v_dual_bitop2_b32 v54, 7, v0 bitop3:0x40
	s_mov_b32 s29, exec_lo
	v_cmpx_gt_u32_e32 8, v2
; %bb.14301:                            ;   in Loop: Header=BB6_13467 Depth=2
	s_delay_alu instid0(VALU_DEP_2) | instskip(NEXT) | instid1(VALU_DEP_1)
	v_clz_i32_u32_e32 v1, v54
	v_min_u32_e32 v1, 32, v1
	s_delay_alu instid0(VALU_DEP_1) | instskip(NEXT) | instid1(VALU_DEP_1)
	v_subrev_nc_u32_e32 v2, 28, v1
	v_lshlrev_b64_e32 v[2:3], v2, v[54:55]
	s_delay_alu instid0(VALU_DEP_1)
	v_dual_sub_nc_u32 v1, 29, v1 :: v_dual_bitop2_b32 v54, 7, v2 bitop3:0x40
; %bb.14302:                            ;   in Loop: Header=BB6_13467 Depth=2
	s_or_b32 exec_lo, exec_lo, s29
	s_delay_alu instid0(VALU_DEP_1) | instskip(NEXT) | instid1(VALU_DEP_2)
	v_dual_lshlrev_b32 v0, 24, v0 :: v_dual_lshlrev_b32 v2, 20, v54
	v_lshl_add_u32 v1, v1, 23, 0x3c000000
	s_delay_alu instid0(VALU_DEP_2) | instskip(NEXT) | instid1(VALU_DEP_1)
	v_and_b32_e32 v0, 0x80000000, v0
	v_or3_b32 v1, v2, v0, v1
.LBB6_14303:                            ;   in Loop: Header=BB6_13467 Depth=2
	s_or_b32 exec_lo, exec_lo, s28
.LBB6_14304:                            ;   in Loop: Header=BB6_13467 Depth=2
	s_delay_alu instid0(SALU_CYCLE_1)
	s_or_b32 exec_lo, exec_lo, s27
.LBB6_14305:                            ;   in Loop: Header=BB6_13467 Depth=2
	s_delay_alu instid0(SALU_CYCLE_1) | instskip(NEXT) | instid1(VALU_DEP_1)
	s_or_b32 exec_lo, exec_lo, s10
	v_mul_f32_e32 v1, s26, v1
                                        ; implicit-def: $vgpr105
	s_mov_b32 s10, exec_lo
	s_delay_alu instid0(VALU_DEP_1) | instskip(SKIP_1) | instid1(VALU_DEP_2)
	v_and_b32_e32 v54, 0x7f800000, v1
	v_lshrrev_b32_e32 v0, 24, v1
	v_cmpx_ne_u64_e32 0x7f800000, v[54:55]
	s_xor_b32 s27, exec_lo, s10
	s_cbranch_execz .LBB6_14319
; %bb.14306:                            ;   in Loop: Header=BB6_13467 Depth=2
	v_and_b32_e32 v54, 0x7fffffff, v1
	v_and_b32_e32 v0, 0x80, v0
                                        ; implicit-def: $vgpr105
	s_mov_b32 s10, exec_lo
	s_delay_alu instid0(VALU_DEP_2)
	v_cmpx_gt_u64_e32 0x43e00001, v[54:55]
	s_xor_b32 s28, exec_lo, s10
	s_cbranch_execz .LBB6_14316
; %bb.14307:                            ;   in Loop: Header=BB6_13467 Depth=2
	v_mov_b32_e32 v105, 0
	s_mov_b32 s29, exec_lo
	v_cmpx_ne_u32_e32 0, v1
	s_cbranch_execz .LBB6_14315
; %bb.14308:                            ;   in Loop: Header=BB6_13467 Depth=2
	v_bfe_u32 v2, v1, 23, 8
	v_and_b32_e32 v1, 0x7fffff, v1
	s_mov_b32 s40, exec_lo
	s_delay_alu instid0(VALU_DEP_2) | instskip(NEXT) | instid1(VALU_DEP_2)
	v_cmp_gt_u32_e32 vcc_lo, 0x7a, v2
	v_or_b32_e32 v6, 0x800000, v1
	v_sub_nc_u32_e32 v3, 0x79, v2
	s_delay_alu instid0(VALU_DEP_1) | instskip(SKIP_1) | instid1(VALU_DEP_2)
	v_cndmask_b32_e32 v3, 0, v3, vcc_lo
	v_cmp_eq_u32_e32 vcc_lo, 0, v2
	v_cndmask_b32_e64 v3, v3, 0x78, vcc_lo
	s_delay_alu instid0(VALU_DEP_1) | instskip(SKIP_1) | instid1(VALU_DEP_2)
	v_dual_cndmask_b32 v54, v6, v1, vcc_lo :: v_dual_add_nc_u32 v4, 20, v3
	v_add_nc_u32_e32 v7, 19, v3
	v_lshrrev_b64 v[16:17], v3, v[54:55]
	s_delay_alu instid0(VALU_DEP_3) | instskip(NEXT) | instid1(VALU_DEP_3)
	v_lshlrev_b64_e64 v[4:5], v4, -1
	v_lshlrev_b64_e64 v[6:7], v7, 1
	s_delay_alu instid0(VALU_DEP_3) | instskip(NEXT) | instid1(VALU_DEP_3)
	v_mov_b64_e32 v[18:19], v[16:17]
	v_bfi_b32 v5, v5, 0, 0
	s_delay_alu instid0(VALU_DEP_4) | instskip(NEXT) | instid1(VALU_DEP_1)
	v_bfi_b32 v4, v4, 0, v54
	v_cmpx_eq_u64_e64 v[4:5], v[6:7]
; %bb.14309:                            ;   in Loop: Header=BB6_13467 Depth=2
	v_bfe_u32 v54, v16, 20, 1
	s_delay_alu instid0(VALU_DEP_1) | instskip(NEXT) | instid1(VALU_DEP_1)
	v_add_nc_u64_e32 v[4:5], v[16:17], v[54:55]
	v_add_nc_u64_e32 v[18:19], -1, v[4:5]
; %bb.14310:                            ;   in Loop: Header=BB6_13467 Depth=2
	s_or_b32 exec_lo, exec_lo, s40
	v_add_nc_u32_e32 v1, 0xffffff81, v2
	v_lshrrev_b32_e32 v2, 23, v16
	s_mov_b32 s10, exec_lo
	s_delay_alu instid0(VALU_DEP_2) | instskip(NEXT) | instid1(VALU_DEP_1)
	v_cndmask_b32_e64 v1, v1, 0xffffff82, vcc_lo
	v_add3_u32 v2, v3, v1, v2
	v_and_b32_e32 v1, 0xfffff, v18
	s_delay_alu instid0(VALU_DEP_1) | instskip(NEXT) | instid1(VALU_DEP_1)
	v_dual_add_nc_u32 v3, 6, v2 :: v_dual_add_nc_u32 v54, v1, v16
                                        ; implicit-def: $vgpr16_vgpr17
                                        ; implicit-def: $vgpr1
	v_cmpx_ne_u32_e32 0, v3
	s_xor_b32 s10, exec_lo, s10
; %bb.14311:                            ;   in Loop: Header=BB6_13467 Depth=2
	s_delay_alu instid0(VALU_DEP_2) | instskip(SKIP_2) | instid1(VALU_DEP_2)
	v_cmp_lt_u64_e32 vcc_lo, 0xffffff, v[54:55]
	v_add_nc_u32_e32 v1, 7, v2
	v_cndmask_b32_e64 v2, 0, 1, vcc_lo
	v_cndmask_b32_e32 v1, v3, v1, vcc_lo
	s_delay_alu instid0(VALU_DEP_2)
	v_lshrrev_b64 v[16:17], v2, v[54:55]
; %bb.14312:                            ;   in Loop: Header=BB6_13467 Depth=2
	s_and_not1_saveexec_b32 s10, s10
; %bb.14313:                            ;   in Loop: Header=BB6_13467 Depth=2
	v_mov_b64_e32 v[16:17], v[54:55]
	v_bfe_u32 v1, v54, 23, 1
; %bb.14314:                            ;   in Loop: Header=BB6_13467 Depth=2
	s_or_b32 exec_lo, exec_lo, s10
	s_delay_alu instid0(VALU_DEP_2) | instskip(NEXT) | instid1(VALU_DEP_2)
	v_lshrrev_b64 v[2:3], 20, v[16:17]
	v_cmp_gt_i32_e32 vcc_lo, 16, v1
	v_min_i32_e32 v4, 15, v1
	v_cmp_eq_u32_e64 s10, 0, v1
	s_delay_alu instid0(VALU_DEP_2) | instskip(SKIP_1) | instid1(VALU_DEP_2)
	v_dual_cndmask_b32 v3, 0, v3 :: v_dual_lshlrev_b32 v4, 3, v4
	v_cndmask_b32_e32 v2, 7, v2, vcc_lo
	v_and_b32_e32 v4, 0xf8, v4
	s_delay_alu instid0(VALU_DEP_2) | instskip(NEXT) | instid1(VALU_DEP_2)
	v_cmp_eq_u64_e32 vcc_lo, 0, v[2:3]
	v_and_or_b32 v1, v2, 7, v4
	s_and_b32 s10, s10, vcc_lo
	s_delay_alu instid0(VALU_DEP_1) | instid1(SALU_CYCLE_1)
	v_cndmask_b32_e64 v1, v1, 0, s10
	s_delay_alu instid0(VALU_DEP_1)
	v_or_b32_e32 v105, v1, v0
.LBB6_14315:                            ;   in Loop: Header=BB6_13467 Depth=2
	s_or_b32 exec_lo, exec_lo, s29
                                        ; implicit-def: $vgpr0
.LBB6_14316:                            ;   in Loop: Header=BB6_13467 Depth=2
	s_and_not1_saveexec_b32 s10, s28
; %bb.14317:                            ;   in Loop: Header=BB6_13467 Depth=2
	v_or_b32_e32 v105, 0x7e, v0
; %bb.14318:                            ;   in Loop: Header=BB6_13467 Depth=2
	s_or_b32 exec_lo, exec_lo, s10
                                        ; implicit-def: $vgpr0
.LBB6_14319:                            ;   in Loop: Header=BB6_13467 Depth=2
	s_and_not1_saveexec_b32 s10, s27
; %bb.14320:                            ;   in Loop: Header=BB6_13467 Depth=2
	v_or_b32_e32 v105, 0x7f, v0
; %bb.14321:                            ;   in Loop: Header=BB6_13467 Depth=2
	s_or_b32 exec_lo, exec_lo, s10
	v_and_b32_e32 v1, 0xff, v11
	v_dual_mov_b32 v54, v11 :: v_dual_mov_b32 v0, 0
	s_mov_b32 s10, exec_lo
	s_delay_alu instid0(VALU_DEP_2)
	v_cmpx_ne_u16_e32 0, v1
	s_cbranch_execz .LBB6_14327
; %bb.14322:                            ;   in Loop: Header=BB6_13467 Depth=2
	v_bfrev_b32_e32 v0, 1
	s_mov_b32 s27, exec_lo
	v_cmpx_ne_u16_e32 0x80, v1
	s_cbranch_execz .LBB6_14326
; %bb.14323:                            ;   in Loop: Header=BB6_13467 Depth=2
	v_and_b32_e32 v1, 0x7f, v11
	v_mov_b32_e32 v0, 0x7f800001
	s_mov_b32 s28, exec_lo
	s_delay_alu instid0(VALU_DEP_2)
	v_cmpx_ne_u32_e32 0x7f, v1
	s_cbranch_execz .LBB6_14325
; %bb.14324:                            ;   in Loop: Header=BB6_13467 Depth=2
	v_dual_lshrrev_b32 v2, 3, v1 :: v_dual_bitop2_b32 v0, 7, v11 bitop3:0x40
	v_cmp_gt_u32_e32 vcc_lo, 8, v1
	s_delay_alu instid0(VALU_DEP_2) | instskip(NEXT) | instid1(VALU_DEP_1)
	v_clz_i32_u32_e32 v0, v0
	v_min_u32_e32 v0, 32, v0
	s_delay_alu instid0(VALU_DEP_1) | instskip(SKIP_1) | instid1(VALU_DEP_1)
	v_subrev_nc_u32_e32 v3, 28, v0
	v_sub_nc_u32_e32 v0, 29, v0
	v_dual_cndmask_b32 v2, v2, v0, vcc_lo :: v_dual_cndmask_b32 v0, 0, v3, vcc_lo
	s_delay_alu instid0(VALU_DEP_1) | instskip(NEXT) | instid1(VALU_DEP_2)
	v_lshl_add_u32 v2, v2, 23, 0x3c000000
	v_lshlrev_b64_e32 v[0:1], v0, v[54:55]
	v_lshlrev_b32_e32 v1, 24, v54
	s_delay_alu instid0(VALU_DEP_1) | instskip(NEXT) | instid1(VALU_DEP_3)
	v_and_b32_e32 v1, 0x80000000, v1
	v_lshlrev_b32_e32 v0, 20, v0
	s_delay_alu instid0(VALU_DEP_1) | instskip(NEXT) | instid1(VALU_DEP_1)
	v_and_b32_e32 v0, 0x700000, v0
	v_or3_b32 v0, v0, v1, v2
.LBB6_14325:                            ;   in Loop: Header=BB6_13467 Depth=2
	s_or_b32 exec_lo, exec_lo, s28
.LBB6_14326:                            ;   in Loop: Header=BB6_13467 Depth=2
	s_delay_alu instid0(SALU_CYCLE_1)
	s_or_b32 exec_lo, exec_lo, s27
.LBB6_14327:                            ;   in Loop: Header=BB6_13467 Depth=2
	s_delay_alu instid0(SALU_CYCLE_1) | instskip(NEXT) | instid1(VALU_DEP_1)
	s_or_b32 exec_lo, exec_lo, s10
	v_dual_mul_f32 v1, s26, v0 :: v_dual_mov_b32 v3, v55
                                        ; implicit-def: $vgpr22
	s_mov_b32 s10, exec_lo
	s_delay_alu instid0(VALU_DEP_1) | instskip(SKIP_1) | instid1(VALU_DEP_2)
	v_and_b32_e32 v2, 0x7f800000, v1
	v_lshrrev_b32_e32 v0, 24, v1
	v_cmpx_ne_u64_e32 0x7f800000, v[2:3]
	s_xor_b32 s27, exec_lo, s10
	s_cbranch_execz .LBB6_14341
; %bb.14328:                            ;   in Loop: Header=BB6_13467 Depth=2
	v_and_b32_e32 v2, 0x7fffffff, v1
	v_mov_b32_e32 v3, v55
	v_and_b32_e32 v0, 0x80, v0
                                        ; implicit-def: $vgpr22
	s_mov_b32 s10, exec_lo
	s_delay_alu instid0(VALU_DEP_2)
	v_cmpx_gt_u64_e32 0x43e00001, v[2:3]
	s_xor_b32 s28, exec_lo, s10
	s_cbranch_execz .LBB6_14338
; %bb.14329:                            ;   in Loop: Header=BB6_13467 Depth=2
	v_mov_b32_e32 v22, 0
	s_mov_b32 s29, exec_lo
	v_cmpx_ne_u32_e32 0, v1
	s_cbranch_execz .LBB6_14337
; %bb.14330:                            ;   in Loop: Header=BB6_13467 Depth=2
	v_bfe_u32 v2, v1, 23, 8
	v_and_b32_e32 v1, 0x7fffff, v1
	s_mov_b32 s40, exec_lo
	v_mov_b32_e32 v7, v55
	s_delay_alu instid0(VALU_DEP_3) | instskip(NEXT) | instid1(VALU_DEP_3)
	v_cmp_gt_u32_e32 vcc_lo, 0x7a, v2
	v_or_b32_e32 v6, 0x800000, v1
	v_sub_nc_u32_e32 v3, 0x79, v2
	s_delay_alu instid0(VALU_DEP_1) | instskip(SKIP_1) | instid1(VALU_DEP_2)
	v_cndmask_b32_e32 v3, 0, v3, vcc_lo
	v_cmp_eq_u32_e32 vcc_lo, 0, v2
	v_cndmask_b32_e64 v3, v3, 0x78, vcc_lo
	s_delay_alu instid0(VALU_DEP_1) | instskip(SKIP_1) | instid1(VALU_DEP_2)
	v_dual_cndmask_b32 v6, v6, v1, vcc_lo :: v_dual_add_nc_u32 v4, 20, v3
	v_add_nc_u32_e32 v8, 19, v3
	v_lshrrev_b64 v[16:17], v3, v[6:7]
	s_delay_alu instid0(VALU_DEP_3) | instskip(NEXT) | instid1(VALU_DEP_3)
	v_lshlrev_b64_e64 v[4:5], v4, -1
	v_lshlrev_b64_e64 v[8:9], v8, 1
	s_delay_alu instid0(VALU_DEP_3) | instskip(NEXT) | instid1(VALU_DEP_3)
	v_mov_b64_e32 v[18:19], v[16:17]
	v_bfi_b32 v5, v5, 0, 0
	s_delay_alu instid0(VALU_DEP_4) | instskip(NEXT) | instid1(VALU_DEP_1)
	v_bfi_b32 v4, v4, 0, v6
	v_cmpx_eq_u64_e64 v[4:5], v[8:9]
; %bb.14331:                            ;   in Loop: Header=BB6_13467 Depth=2
	v_bfe_u32 v4, v16, 20, 1
	v_mov_b32_e32 v5, v55
	s_delay_alu instid0(VALU_DEP_1) | instskip(NEXT) | instid1(VALU_DEP_1)
	v_add_nc_u64_e32 v[4:5], v[16:17], v[4:5]
	v_add_nc_u64_e32 v[18:19], -1, v[4:5]
; %bb.14332:                            ;   in Loop: Header=BB6_13467 Depth=2
	s_or_b32 exec_lo, exec_lo, s40
	v_add_nc_u32_e32 v1, 0xffffff81, v2
	v_lshrrev_b32_e32 v2, 23, v16
	s_mov_b32 s10, exec_lo
	v_mov_b32_e32 v17, v55
	s_delay_alu instid0(VALU_DEP_3) | instskip(NEXT) | instid1(VALU_DEP_1)
	v_cndmask_b32_e64 v1, v1, 0xffffff82, vcc_lo
	v_add3_u32 v2, v3, v1, v2
	v_and_b32_e32 v1, 0xfffff, v18
	s_delay_alu instid0(VALU_DEP_1) | instskip(NEXT) | instid1(VALU_DEP_1)
	v_dual_add_nc_u32 v3, 6, v2 :: v_dual_add_nc_u32 v16, v1, v16
                                        ; implicit-def: $vgpr1
	v_cmpx_ne_u32_e32 0, v3
	s_xor_b32 s10, exec_lo, s10
; %bb.14333:                            ;   in Loop: Header=BB6_13467 Depth=2
	s_delay_alu instid0(VALU_DEP_2) | instskip(SKIP_2) | instid1(VALU_DEP_2)
	v_cmp_lt_u64_e32 vcc_lo, 0xffffff, v[16:17]
	v_add_nc_u32_e32 v1, 7, v2
	v_cndmask_b32_e64 v2, 0, 1, vcc_lo
	v_cndmask_b32_e32 v1, v3, v1, vcc_lo
	s_delay_alu instid0(VALU_DEP_2)
	v_lshrrev_b64 v[16:17], v2, v[16:17]
; %bb.14334:                            ;   in Loop: Header=BB6_13467 Depth=2
	s_and_not1_saveexec_b32 s10, s10
; %bb.14335:                            ;   in Loop: Header=BB6_13467 Depth=2
	s_delay_alu instid0(VALU_DEP_1)
	v_bfe_u32 v1, v16, 23, 1
; %bb.14336:                            ;   in Loop: Header=BB6_13467 Depth=2
	s_or_b32 exec_lo, exec_lo, s10
	s_delay_alu instid0(VALU_DEP_2) | instskip(NEXT) | instid1(VALU_DEP_2)
	v_lshrrev_b64 v[2:3], 20, v[16:17]
	v_cmp_gt_i32_e32 vcc_lo, 16, v1
	v_min_i32_e32 v4, 15, v1
	v_cmp_eq_u32_e64 s10, 0, v1
	s_delay_alu instid0(VALU_DEP_2) | instskip(SKIP_1) | instid1(VALU_DEP_2)
	v_dual_cndmask_b32 v3, 0, v3 :: v_dual_lshlrev_b32 v4, 3, v4
	v_cndmask_b32_e32 v2, 7, v2, vcc_lo
	v_and_b32_e32 v4, 0xf8, v4
	s_delay_alu instid0(VALU_DEP_2) | instskip(NEXT) | instid1(VALU_DEP_2)
	v_cmp_eq_u64_e32 vcc_lo, 0, v[2:3]
	v_and_or_b32 v1, v2, 7, v4
	s_and_b32 s10, s10, vcc_lo
	s_delay_alu instid0(VALU_DEP_1) | instid1(SALU_CYCLE_1)
	v_cndmask_b32_e64 v1, v1, 0, s10
	s_delay_alu instid0(VALU_DEP_1)
	v_or_b32_e32 v22, v1, v0
.LBB6_14337:                            ;   in Loop: Header=BB6_13467 Depth=2
	s_or_b32 exec_lo, exec_lo, s29
                                        ; implicit-def: $vgpr0
.LBB6_14338:                            ;   in Loop: Header=BB6_13467 Depth=2
	s_and_not1_saveexec_b32 s10, s28
; %bb.14339:                            ;   in Loop: Header=BB6_13467 Depth=2
	v_or_b32_e32 v22, 0x7e, v0
; %bb.14340:                            ;   in Loop: Header=BB6_13467 Depth=2
	s_or_b32 exec_lo, exec_lo, s10
                                        ; implicit-def: $vgpr0
.LBB6_14341:                            ;   in Loop: Header=BB6_13467 Depth=2
	s_and_not1_saveexec_b32 s10, s27
; %bb.14342:                            ;   in Loop: Header=BB6_13467 Depth=2
	v_or_b32_e32 v22, 0x7f, v0
; %bb.14343:                            ;   in Loop: Header=BB6_13467 Depth=2
	s_or_b32 exec_lo, exec_lo, s10
	v_lshrrev_b16 v1, 8, v54
	v_mov_b32_e32 v0, 0
	s_mov_b32 s10, exec_lo
	s_delay_alu instid0(VALU_DEP_2)
	v_cmpx_ne_u16_e32 0, v1
	s_cbranch_execz .LBB6_14351
; %bb.14344:                            ;   in Loop: Header=BB6_13467 Depth=2
	v_bfrev_b32_e32 v0, 1
	s_mov_b32 s27, exec_lo
	v_cmpx_ne_u16_e32 0x80, v1
	s_cbranch_execz .LBB6_14350
; %bb.14345:                            ;   in Loop: Header=BB6_13467 Depth=2
	v_and_b32_e32 v2, 0xffff, v1
	v_mov_b32_e32 v0, 0x7f800001
	s_mov_b32 s28, exec_lo
	s_delay_alu instid0(VALU_DEP_2) | instskip(NEXT) | instid1(VALU_DEP_1)
	v_and_b32_e32 v1, 0x7f, v2
	v_cmpx_ne_u32_e32 0x7f, v1
	s_cbranch_execz .LBB6_14349
; %bb.14346:                            ;   in Loop: Header=BB6_13467 Depth=2
	v_dual_mov_b32 v17, v55 :: v_dual_bitop2_b32 v16, 7, v2 bitop3:0x40
	v_lshrrev_b32_e32 v0, 3, v1
	s_mov_b32 s29, exec_lo
	v_cmpx_gt_u32_e32 8, v1
; %bb.14347:                            ;   in Loop: Header=BB6_13467 Depth=2
	s_delay_alu instid0(VALU_DEP_3) | instskip(NEXT) | instid1(VALU_DEP_1)
	v_clz_i32_u32_e32 v0, v16
	v_min_u32_e32 v0, 32, v0
	s_delay_alu instid0(VALU_DEP_1) | instskip(NEXT) | instid1(VALU_DEP_1)
	v_subrev_nc_u32_e32 v1, 28, v0
	v_lshlrev_b64_e32 v[2:3], v1, v[16:17]
	s_delay_alu instid0(VALU_DEP_1)
	v_dual_sub_nc_u32 v0, 29, v0 :: v_dual_bitop2_b32 v16, 7, v2 bitop3:0x40
; %bb.14348:                            ;   in Loop: Header=BB6_13467 Depth=2
	s_or_b32 exec_lo, exec_lo, s29
	s_delay_alu instid0(VALU_DEP_1) | instskip(NEXT) | instid1(VALU_DEP_2)
	v_dual_lshlrev_b32 v1, 16, v54 :: v_dual_lshlrev_b32 v2, 20, v16
	v_lshl_add_u32 v0, v0, 23, 0x3c000000
	s_delay_alu instid0(VALU_DEP_2) | instskip(NEXT) | instid1(VALU_DEP_1)
	v_and_b32_e32 v1, 0x80000000, v1
	v_or3_b32 v0, v2, v1, v0
.LBB6_14349:                            ;   in Loop: Header=BB6_13467 Depth=2
	s_or_b32 exec_lo, exec_lo, s28
.LBB6_14350:                            ;   in Loop: Header=BB6_13467 Depth=2
	s_delay_alu instid0(SALU_CYCLE_1)
	s_or_b32 exec_lo, exec_lo, s27
.LBB6_14351:                            ;   in Loop: Header=BB6_13467 Depth=2
	s_delay_alu instid0(SALU_CYCLE_1) | instskip(NEXT) | instid1(VALU_DEP_1)
	s_or_b32 exec_lo, exec_lo, s10
	v_mul_f32_e32 v1, s26, v0
                                        ; implicit-def: $vgpr23
	s_mov_b32 s10, exec_lo
	s_delay_alu instid0(VALU_DEP_1) | instskip(SKIP_1) | instid1(VALU_DEP_2)
	v_and_b32_e32 v54, 0x7f800000, v1
	v_lshrrev_b32_e32 v0, 24, v1
	v_cmpx_ne_u64_e32 0x7f800000, v[54:55]
	s_xor_b32 s27, exec_lo, s10
	s_cbranch_execz .LBB6_14365
; %bb.14352:                            ;   in Loop: Header=BB6_13467 Depth=2
	v_and_b32_e32 v54, 0x7fffffff, v1
	v_and_b32_e32 v0, 0x80, v0
                                        ; implicit-def: $vgpr23
	s_mov_b32 s10, exec_lo
	s_delay_alu instid0(VALU_DEP_2)
	v_cmpx_gt_u64_e32 0x43e00001, v[54:55]
	s_xor_b32 s28, exec_lo, s10
	s_cbranch_execz .LBB6_14362
; %bb.14353:                            ;   in Loop: Header=BB6_13467 Depth=2
	v_mov_b32_e32 v23, 0
	s_mov_b32 s29, exec_lo
	v_cmpx_ne_u32_e32 0, v1
	s_cbranch_execz .LBB6_14361
; %bb.14354:                            ;   in Loop: Header=BB6_13467 Depth=2
	v_bfe_u32 v2, v1, 23, 8
	v_and_b32_e32 v1, 0x7fffff, v1
	s_mov_b32 s40, exec_lo
	s_delay_alu instid0(VALU_DEP_2) | instskip(NEXT) | instid1(VALU_DEP_2)
	v_cmp_gt_u32_e32 vcc_lo, 0x7a, v2
	v_or_b32_e32 v6, 0x800000, v1
	v_sub_nc_u32_e32 v3, 0x79, v2
	s_delay_alu instid0(VALU_DEP_1) | instskip(SKIP_1) | instid1(VALU_DEP_2)
	v_cndmask_b32_e32 v3, 0, v3, vcc_lo
	v_cmp_eq_u32_e32 vcc_lo, 0, v2
	v_cndmask_b32_e64 v3, v3, 0x78, vcc_lo
	s_delay_alu instid0(VALU_DEP_1) | instskip(SKIP_1) | instid1(VALU_DEP_2)
	v_dual_cndmask_b32 v54, v6, v1, vcc_lo :: v_dual_add_nc_u32 v4, 20, v3
	v_add_nc_u32_e32 v7, 19, v3
	v_lshrrev_b64 v[16:17], v3, v[54:55]
	s_delay_alu instid0(VALU_DEP_3) | instskip(NEXT) | instid1(VALU_DEP_3)
	v_lshlrev_b64_e64 v[4:5], v4, -1
	v_lshlrev_b64_e64 v[6:7], v7, 1
	s_delay_alu instid0(VALU_DEP_3) | instskip(NEXT) | instid1(VALU_DEP_3)
	v_mov_b64_e32 v[18:19], v[16:17]
	v_bfi_b32 v5, v5, 0, 0
	s_delay_alu instid0(VALU_DEP_4) | instskip(NEXT) | instid1(VALU_DEP_1)
	v_bfi_b32 v4, v4, 0, v54
	v_cmpx_eq_u64_e64 v[4:5], v[6:7]
; %bb.14355:                            ;   in Loop: Header=BB6_13467 Depth=2
	v_bfe_u32 v54, v16, 20, 1
	s_delay_alu instid0(VALU_DEP_1) | instskip(NEXT) | instid1(VALU_DEP_1)
	v_add_nc_u64_e32 v[4:5], v[16:17], v[54:55]
	v_add_nc_u64_e32 v[18:19], -1, v[4:5]
; %bb.14356:                            ;   in Loop: Header=BB6_13467 Depth=2
	s_or_b32 exec_lo, exec_lo, s40
	v_add_nc_u32_e32 v1, 0xffffff81, v2
	v_lshrrev_b32_e32 v2, 23, v16
	s_mov_b32 s10, exec_lo
	s_delay_alu instid0(VALU_DEP_2) | instskip(NEXT) | instid1(VALU_DEP_1)
	v_cndmask_b32_e64 v1, v1, 0xffffff82, vcc_lo
	v_add3_u32 v2, v3, v1, v2
	v_and_b32_e32 v1, 0xfffff, v18
	s_delay_alu instid0(VALU_DEP_1) | instskip(NEXT) | instid1(VALU_DEP_1)
	v_dual_add_nc_u32 v3, 6, v2 :: v_dual_add_nc_u32 v54, v1, v16
                                        ; implicit-def: $vgpr16_vgpr17
                                        ; implicit-def: $vgpr1
	v_cmpx_ne_u32_e32 0, v3
	s_xor_b32 s10, exec_lo, s10
; %bb.14357:                            ;   in Loop: Header=BB6_13467 Depth=2
	s_delay_alu instid0(VALU_DEP_2) | instskip(SKIP_2) | instid1(VALU_DEP_2)
	v_cmp_lt_u64_e32 vcc_lo, 0xffffff, v[54:55]
	v_add_nc_u32_e32 v1, 7, v2
	v_cndmask_b32_e64 v2, 0, 1, vcc_lo
	v_cndmask_b32_e32 v1, v3, v1, vcc_lo
	s_delay_alu instid0(VALU_DEP_2)
	v_lshrrev_b64 v[16:17], v2, v[54:55]
; %bb.14358:                            ;   in Loop: Header=BB6_13467 Depth=2
	s_and_not1_saveexec_b32 s10, s10
; %bb.14359:                            ;   in Loop: Header=BB6_13467 Depth=2
	v_mov_b64_e32 v[16:17], v[54:55]
	v_bfe_u32 v1, v54, 23, 1
; %bb.14360:                            ;   in Loop: Header=BB6_13467 Depth=2
	s_or_b32 exec_lo, exec_lo, s10
	s_delay_alu instid0(VALU_DEP_2) | instskip(NEXT) | instid1(VALU_DEP_2)
	v_lshrrev_b64 v[2:3], 20, v[16:17]
	v_cmp_gt_i32_e32 vcc_lo, 16, v1
	v_min_i32_e32 v4, 15, v1
	v_cmp_eq_u32_e64 s10, 0, v1
	s_delay_alu instid0(VALU_DEP_2) | instskip(SKIP_1) | instid1(VALU_DEP_2)
	v_dual_cndmask_b32 v3, 0, v3 :: v_dual_lshlrev_b32 v4, 3, v4
	v_cndmask_b32_e32 v2, 7, v2, vcc_lo
	v_and_b32_e32 v4, 0xf8, v4
	s_delay_alu instid0(VALU_DEP_2) | instskip(NEXT) | instid1(VALU_DEP_2)
	v_cmp_eq_u64_e32 vcc_lo, 0, v[2:3]
	v_and_or_b32 v1, v2, 7, v4
	s_and_b32 s10, s10, vcc_lo
	s_delay_alu instid0(VALU_DEP_1) | instid1(SALU_CYCLE_1)
	v_cndmask_b32_e64 v1, v1, 0, s10
	s_delay_alu instid0(VALU_DEP_1)
	v_or_b32_e32 v23, v1, v0
.LBB6_14361:                            ;   in Loop: Header=BB6_13467 Depth=2
	s_or_b32 exec_lo, exec_lo, s29
                                        ; implicit-def: $vgpr0
.LBB6_14362:                            ;   in Loop: Header=BB6_13467 Depth=2
	s_and_not1_saveexec_b32 s10, s28
; %bb.14363:                            ;   in Loop: Header=BB6_13467 Depth=2
	v_or_b32_e32 v23, 0x7e, v0
; %bb.14364:                            ;   in Loop: Header=BB6_13467 Depth=2
	s_or_b32 exec_lo, exec_lo, s10
                                        ; implicit-def: $vgpr0
.LBB6_14365:                            ;   in Loop: Header=BB6_13467 Depth=2
	s_and_not1_saveexec_b32 s10, s27
; %bb.14366:                            ;   in Loop: Header=BB6_13467 Depth=2
	v_or_b32_e32 v23, 0x7f, v0
; %bb.14367:                            ;   in Loop: Header=BB6_13467 Depth=2
	s_or_b32 exec_lo, exec_lo, s10
	v_dual_mov_b32 v1, 0 :: v_dual_lshrrev_b32 v0, 16, v11
	s_mov_b32 s10, exec_lo
	s_delay_alu instid0(VALU_DEP_1) | instskip(NEXT) | instid1(VALU_DEP_1)
	v_and_b32_e32 v2, 0xff, v0
	v_cmpx_ne_u16_e32 0, v2
	s_cbranch_execz .LBB6_14375
; %bb.14368:                            ;   in Loop: Header=BB6_13467 Depth=2
	v_bfrev_b32_e32 v1, 1
	s_mov_b32 s27, exec_lo
	v_cmpx_ne_u16_e32 0x80, v2
	s_cbranch_execz .LBB6_14374
; %bb.14369:                            ;   in Loop: Header=BB6_13467 Depth=2
	v_bfe_u32 v2, v11, 16, 7
	v_mov_b32_e32 v1, 0x7f800001
	s_mov_b32 s28, exec_lo
	s_delay_alu instid0(VALU_DEP_2)
	v_cmpx_ne_u32_e32 0x7f, v2
	s_cbranch_execz .LBB6_14373
; %bb.14370:                            ;   in Loop: Header=BB6_13467 Depth=2
	v_dual_lshrrev_b32 v1, 3, v2 :: v_dual_bitop2_b32 v54, 7, v0 bitop3:0x40
	s_mov_b32 s29, exec_lo
	v_cmpx_gt_u32_e32 8, v2
; %bb.14371:                            ;   in Loop: Header=BB6_13467 Depth=2
	s_delay_alu instid0(VALU_DEP_2) | instskip(NEXT) | instid1(VALU_DEP_1)
	v_clz_i32_u32_e32 v1, v54
	v_min_u32_e32 v1, 32, v1
	s_delay_alu instid0(VALU_DEP_1) | instskip(NEXT) | instid1(VALU_DEP_1)
	v_subrev_nc_u32_e32 v2, 28, v1
	v_lshlrev_b64_e32 v[2:3], v2, v[54:55]
	s_delay_alu instid0(VALU_DEP_1)
	v_dual_sub_nc_u32 v1, 29, v1 :: v_dual_bitop2_b32 v54, 7, v2 bitop3:0x40
; %bb.14372:                            ;   in Loop: Header=BB6_13467 Depth=2
	s_or_b32 exec_lo, exec_lo, s29
	s_delay_alu instid0(VALU_DEP_1) | instskip(NEXT) | instid1(VALU_DEP_2)
	v_dual_lshlrev_b32 v0, 24, v0 :: v_dual_lshlrev_b32 v2, 20, v54
	v_lshl_add_u32 v1, v1, 23, 0x3c000000
	s_delay_alu instid0(VALU_DEP_2) | instskip(NEXT) | instid1(VALU_DEP_1)
	v_and_b32_e32 v0, 0x80000000, v0
	v_or3_b32 v1, v2, v0, v1
.LBB6_14373:                            ;   in Loop: Header=BB6_13467 Depth=2
	s_or_b32 exec_lo, exec_lo, s28
.LBB6_14374:                            ;   in Loop: Header=BB6_13467 Depth=2
	s_delay_alu instid0(SALU_CYCLE_1)
	s_or_b32 exec_lo, exec_lo, s27
.LBB6_14375:                            ;   in Loop: Header=BB6_13467 Depth=2
	s_delay_alu instid0(SALU_CYCLE_1) | instskip(NEXT) | instid1(VALU_DEP_1)
	s_or_b32 exec_lo, exec_lo, s10
	v_mul_f32_e32 v1, s26, v1
                                        ; implicit-def: $vgpr24
	s_mov_b32 s10, exec_lo
	s_delay_alu instid0(VALU_DEP_1) | instskip(SKIP_1) | instid1(VALU_DEP_2)
	v_and_b32_e32 v54, 0x7f800000, v1
	v_lshrrev_b32_e32 v0, 24, v1
	v_cmpx_ne_u64_e32 0x7f800000, v[54:55]
	s_xor_b32 s27, exec_lo, s10
	s_cbranch_execz .LBB6_14389
; %bb.14376:                            ;   in Loop: Header=BB6_13467 Depth=2
	v_and_b32_e32 v54, 0x7fffffff, v1
	v_and_b32_e32 v0, 0x80, v0
                                        ; implicit-def: $vgpr24
	s_mov_b32 s10, exec_lo
	s_delay_alu instid0(VALU_DEP_2)
	v_cmpx_gt_u64_e32 0x43e00001, v[54:55]
	s_xor_b32 s28, exec_lo, s10
	s_cbranch_execz .LBB6_14386
; %bb.14377:                            ;   in Loop: Header=BB6_13467 Depth=2
	v_mov_b32_e32 v24, 0
	s_mov_b32 s29, exec_lo
	v_cmpx_ne_u32_e32 0, v1
	s_cbranch_execz .LBB6_14385
; %bb.14378:                            ;   in Loop: Header=BB6_13467 Depth=2
	v_bfe_u32 v2, v1, 23, 8
	v_and_b32_e32 v1, 0x7fffff, v1
	s_mov_b32 s40, exec_lo
	s_delay_alu instid0(VALU_DEP_2) | instskip(NEXT) | instid1(VALU_DEP_2)
	v_cmp_gt_u32_e32 vcc_lo, 0x7a, v2
	v_or_b32_e32 v6, 0x800000, v1
	v_sub_nc_u32_e32 v3, 0x79, v2
	s_delay_alu instid0(VALU_DEP_1) | instskip(SKIP_1) | instid1(VALU_DEP_2)
	v_cndmask_b32_e32 v3, 0, v3, vcc_lo
	v_cmp_eq_u32_e32 vcc_lo, 0, v2
	v_cndmask_b32_e64 v3, v3, 0x78, vcc_lo
	s_delay_alu instid0(VALU_DEP_1) | instskip(SKIP_1) | instid1(VALU_DEP_2)
	v_dual_cndmask_b32 v54, v6, v1, vcc_lo :: v_dual_add_nc_u32 v4, 20, v3
	v_add_nc_u32_e32 v7, 19, v3
	v_lshrrev_b64 v[16:17], v3, v[54:55]
	s_delay_alu instid0(VALU_DEP_3) | instskip(NEXT) | instid1(VALU_DEP_3)
	v_lshlrev_b64_e64 v[4:5], v4, -1
	v_lshlrev_b64_e64 v[6:7], v7, 1
	s_delay_alu instid0(VALU_DEP_3) | instskip(NEXT) | instid1(VALU_DEP_3)
	v_mov_b64_e32 v[18:19], v[16:17]
	v_bfi_b32 v5, v5, 0, 0
	s_delay_alu instid0(VALU_DEP_4) | instskip(NEXT) | instid1(VALU_DEP_1)
	v_bfi_b32 v4, v4, 0, v54
	v_cmpx_eq_u64_e64 v[4:5], v[6:7]
; %bb.14379:                            ;   in Loop: Header=BB6_13467 Depth=2
	v_bfe_u32 v54, v16, 20, 1
	s_delay_alu instid0(VALU_DEP_1) | instskip(NEXT) | instid1(VALU_DEP_1)
	v_add_nc_u64_e32 v[4:5], v[16:17], v[54:55]
	v_add_nc_u64_e32 v[18:19], -1, v[4:5]
; %bb.14380:                            ;   in Loop: Header=BB6_13467 Depth=2
	s_or_b32 exec_lo, exec_lo, s40
	v_add_nc_u32_e32 v1, 0xffffff81, v2
	v_lshrrev_b32_e32 v2, 23, v16
	s_mov_b32 s10, exec_lo
	s_delay_alu instid0(VALU_DEP_2) | instskip(NEXT) | instid1(VALU_DEP_1)
	v_cndmask_b32_e64 v1, v1, 0xffffff82, vcc_lo
	v_add3_u32 v2, v3, v1, v2
	v_and_b32_e32 v1, 0xfffff, v18
	s_delay_alu instid0(VALU_DEP_1) | instskip(NEXT) | instid1(VALU_DEP_1)
	v_dual_add_nc_u32 v3, 6, v2 :: v_dual_add_nc_u32 v54, v1, v16
                                        ; implicit-def: $vgpr16_vgpr17
                                        ; implicit-def: $vgpr1
	v_cmpx_ne_u32_e32 0, v3
	s_xor_b32 s10, exec_lo, s10
; %bb.14381:                            ;   in Loop: Header=BB6_13467 Depth=2
	s_delay_alu instid0(VALU_DEP_2) | instskip(SKIP_2) | instid1(VALU_DEP_2)
	v_cmp_lt_u64_e32 vcc_lo, 0xffffff, v[54:55]
	v_add_nc_u32_e32 v1, 7, v2
	v_cndmask_b32_e64 v2, 0, 1, vcc_lo
	v_cndmask_b32_e32 v1, v3, v1, vcc_lo
	s_delay_alu instid0(VALU_DEP_2)
	v_lshrrev_b64 v[16:17], v2, v[54:55]
; %bb.14382:                            ;   in Loop: Header=BB6_13467 Depth=2
	s_and_not1_saveexec_b32 s10, s10
; %bb.14383:                            ;   in Loop: Header=BB6_13467 Depth=2
	v_mov_b64_e32 v[16:17], v[54:55]
	v_bfe_u32 v1, v54, 23, 1
; %bb.14384:                            ;   in Loop: Header=BB6_13467 Depth=2
	s_or_b32 exec_lo, exec_lo, s10
	s_delay_alu instid0(VALU_DEP_2) | instskip(NEXT) | instid1(VALU_DEP_2)
	v_lshrrev_b64 v[2:3], 20, v[16:17]
	v_cmp_gt_i32_e32 vcc_lo, 16, v1
	v_min_i32_e32 v4, 15, v1
	v_cmp_eq_u32_e64 s10, 0, v1
	s_delay_alu instid0(VALU_DEP_2) | instskip(SKIP_1) | instid1(VALU_DEP_2)
	v_dual_cndmask_b32 v3, 0, v3 :: v_dual_lshlrev_b32 v4, 3, v4
	v_cndmask_b32_e32 v2, 7, v2, vcc_lo
	v_and_b32_e32 v4, 0xf8, v4
	s_delay_alu instid0(VALU_DEP_2) | instskip(NEXT) | instid1(VALU_DEP_2)
	v_cmp_eq_u64_e32 vcc_lo, 0, v[2:3]
	v_and_or_b32 v1, v2, 7, v4
	s_and_b32 s10, s10, vcc_lo
	s_delay_alu instid0(VALU_DEP_1) | instid1(SALU_CYCLE_1)
	v_cndmask_b32_e64 v1, v1, 0, s10
	s_delay_alu instid0(VALU_DEP_1)
	v_or_b32_e32 v24, v1, v0
.LBB6_14385:                            ;   in Loop: Header=BB6_13467 Depth=2
	s_or_b32 exec_lo, exec_lo, s29
                                        ; implicit-def: $vgpr0
.LBB6_14386:                            ;   in Loop: Header=BB6_13467 Depth=2
	s_and_not1_saveexec_b32 s10, s28
; %bb.14387:                            ;   in Loop: Header=BB6_13467 Depth=2
	v_or_b32_e32 v24, 0x7e, v0
; %bb.14388:                            ;   in Loop: Header=BB6_13467 Depth=2
	s_or_b32 exec_lo, exec_lo, s10
                                        ; implicit-def: $vgpr0
.LBB6_14389:                            ;   in Loop: Header=BB6_13467 Depth=2
	s_and_not1_saveexec_b32 s10, s27
; %bb.14390:                            ;   in Loop: Header=BB6_13467 Depth=2
	v_or_b32_e32 v24, 0x7f, v0
; %bb.14391:                            ;   in Loop: Header=BB6_13467 Depth=2
	s_or_b32 exec_lo, exec_lo, s10
	v_mov_b32_e32 v1, 0
	s_mov_b32 s10, exec_lo
	v_cmpx_lt_u64_e64 s[12:13], v[10:11]
	s_cbranch_execz .LBB6_14399
; %bb.14392:                            ;   in Loop: Header=BB6_13467 Depth=2
	v_lshrrev_b32_e32 v0, 24, v11
	v_bfrev_b32_e32 v1, 1
	s_mov_b32 s27, exec_lo
	s_delay_alu instid0(VALU_DEP_2)
	v_cmpx_ne_u32_e32 0x80, v0
	s_cbranch_execz .LBB6_14398
; %bb.14393:                            ;   in Loop: Header=BB6_13467 Depth=2
	v_bfe_u32 v2, v11, 24, 7
	v_mov_b32_e32 v1, 0x7f800001
	s_mov_b32 s28, exec_lo
	s_delay_alu instid0(VALU_DEP_2)
	v_cmpx_ne_u32_e32 0x7f, v2
	s_cbranch_execz .LBB6_14397
; %bb.14394:                            ;   in Loop: Header=BB6_13467 Depth=2
	v_dual_lshrrev_b32 v1, 3, v2 :: v_dual_bitop2_b32 v54, 7, v0 bitop3:0x40
	s_mov_b32 s29, exec_lo
	v_cmpx_gt_u32_e32 8, v2
; %bb.14395:                            ;   in Loop: Header=BB6_13467 Depth=2
	s_delay_alu instid0(VALU_DEP_2) | instskip(NEXT) | instid1(VALU_DEP_1)
	v_clz_i32_u32_e32 v1, v54
	v_min_u32_e32 v1, 32, v1
	s_delay_alu instid0(VALU_DEP_1) | instskip(NEXT) | instid1(VALU_DEP_1)
	v_subrev_nc_u32_e32 v2, 28, v1
	v_lshlrev_b64_e32 v[2:3], v2, v[54:55]
	s_delay_alu instid0(VALU_DEP_1)
	v_dual_sub_nc_u32 v1, 29, v1 :: v_dual_bitop2_b32 v54, 7, v2 bitop3:0x40
; %bb.14396:                            ;   in Loop: Header=BB6_13467 Depth=2
	s_or_b32 exec_lo, exec_lo, s29
	s_delay_alu instid0(VALU_DEP_1) | instskip(NEXT) | instid1(VALU_DEP_2)
	v_dual_lshlrev_b32 v0, 24, v0 :: v_dual_lshlrev_b32 v2, 20, v54
	v_lshl_add_u32 v1, v1, 23, 0x3c000000
	s_delay_alu instid0(VALU_DEP_2) | instskip(NEXT) | instid1(VALU_DEP_1)
	v_and_b32_e32 v0, 0x80000000, v0
	v_or3_b32 v1, v2, v0, v1
.LBB6_14397:                            ;   in Loop: Header=BB6_13467 Depth=2
	s_or_b32 exec_lo, exec_lo, s28
.LBB6_14398:                            ;   in Loop: Header=BB6_13467 Depth=2
	s_delay_alu instid0(SALU_CYCLE_1)
	s_or_b32 exec_lo, exec_lo, s27
.LBB6_14399:                            ;   in Loop: Header=BB6_13467 Depth=2
	s_delay_alu instid0(SALU_CYCLE_1) | instskip(NEXT) | instid1(VALU_DEP_1)
	s_or_b32 exec_lo, exec_lo, s10
	v_mul_f32_e32 v1, s26, v1
                                        ; implicit-def: $vgpr25
	s_mov_b32 s10, exec_lo
	s_delay_alu instid0(VALU_DEP_1) | instskip(SKIP_1) | instid1(VALU_DEP_2)
	v_and_b32_e32 v54, 0x7f800000, v1
	v_lshrrev_b32_e32 v0, 24, v1
	v_cmpx_ne_u64_e32 0x7f800000, v[54:55]
	s_xor_b32 s27, exec_lo, s10
	s_cbranch_execz .LBB6_14413
; %bb.14400:                            ;   in Loop: Header=BB6_13467 Depth=2
	v_and_b32_e32 v54, 0x7fffffff, v1
	v_and_b32_e32 v0, 0x80, v0
                                        ; implicit-def: $vgpr25
	s_mov_b32 s10, exec_lo
	s_delay_alu instid0(VALU_DEP_2)
	v_cmpx_gt_u64_e32 0x43e00001, v[54:55]
	s_xor_b32 s28, exec_lo, s10
	s_cbranch_execz .LBB6_14410
; %bb.14401:                            ;   in Loop: Header=BB6_13467 Depth=2
	v_mov_b32_e32 v25, 0
	s_mov_b32 s29, exec_lo
	v_cmpx_ne_u32_e32 0, v1
	s_cbranch_execz .LBB6_14409
; %bb.14402:                            ;   in Loop: Header=BB6_13467 Depth=2
	v_bfe_u32 v2, v1, 23, 8
	v_and_b32_e32 v1, 0x7fffff, v1
	s_mov_b32 s40, exec_lo
	s_delay_alu instid0(VALU_DEP_2) | instskip(NEXT) | instid1(VALU_DEP_2)
	v_cmp_gt_u32_e32 vcc_lo, 0x7a, v2
	v_or_b32_e32 v6, 0x800000, v1
	v_sub_nc_u32_e32 v3, 0x79, v2
	s_delay_alu instid0(VALU_DEP_1) | instskip(SKIP_1) | instid1(VALU_DEP_2)
	v_cndmask_b32_e32 v3, 0, v3, vcc_lo
	v_cmp_eq_u32_e32 vcc_lo, 0, v2
	v_cndmask_b32_e64 v3, v3, 0x78, vcc_lo
	s_delay_alu instid0(VALU_DEP_1) | instskip(SKIP_1) | instid1(VALU_DEP_2)
	v_dual_cndmask_b32 v54, v6, v1, vcc_lo :: v_dual_add_nc_u32 v4, 20, v3
	v_add_nc_u32_e32 v7, 19, v3
	v_lshrrev_b64 v[10:11], v3, v[54:55]
	s_delay_alu instid0(VALU_DEP_3) | instskip(NEXT) | instid1(VALU_DEP_3)
	v_lshlrev_b64_e64 v[4:5], v4, -1
	v_lshlrev_b64_e64 v[6:7], v7, 1
	s_delay_alu instid0(VALU_DEP_3) | instskip(NEXT) | instid1(VALU_DEP_3)
	v_mov_b64_e32 v[16:17], v[10:11]
	v_bfi_b32 v5, v5, 0, 0
	s_delay_alu instid0(VALU_DEP_4) | instskip(NEXT) | instid1(VALU_DEP_1)
	v_bfi_b32 v4, v4, 0, v54
	v_cmpx_eq_u64_e64 v[4:5], v[6:7]
; %bb.14403:                            ;   in Loop: Header=BB6_13467 Depth=2
	v_bfe_u32 v54, v10, 20, 1
	s_delay_alu instid0(VALU_DEP_1) | instskip(NEXT) | instid1(VALU_DEP_1)
	v_add_nc_u64_e32 v[4:5], v[10:11], v[54:55]
	v_add_nc_u64_e32 v[16:17], -1, v[4:5]
; %bb.14404:                            ;   in Loop: Header=BB6_13467 Depth=2
	s_or_b32 exec_lo, exec_lo, s40
	v_add_nc_u32_e32 v1, 0xffffff81, v2
	v_lshrrev_b32_e32 v2, 23, v10
	s_mov_b32 s10, exec_lo
	s_delay_alu instid0(VALU_DEP_2) | instskip(NEXT) | instid1(VALU_DEP_1)
	v_cndmask_b32_e64 v1, v1, 0xffffff82, vcc_lo
	v_add3_u32 v2, v3, v1, v2
	v_and_b32_e32 v1, 0xfffff, v16
	s_delay_alu instid0(VALU_DEP_2) | instskip(NEXT) | instid1(VALU_DEP_2)
	v_add_nc_u32_e32 v3, 6, v2
	v_add_nc_u32_e32 v54, v1, v10
                                        ; implicit-def: $vgpr10_vgpr11
                                        ; implicit-def: $vgpr1
	s_delay_alu instid0(VALU_DEP_2)
	v_cmpx_ne_u32_e32 0, v3
	s_xor_b32 s10, exec_lo, s10
; %bb.14405:                            ;   in Loop: Header=BB6_13467 Depth=2
	s_delay_alu instid0(VALU_DEP_2) | instskip(SKIP_2) | instid1(VALU_DEP_2)
	v_cmp_lt_u64_e32 vcc_lo, 0xffffff, v[54:55]
	v_add_nc_u32_e32 v1, 7, v2
	v_cndmask_b32_e64 v2, 0, 1, vcc_lo
	v_cndmask_b32_e32 v1, v3, v1, vcc_lo
	s_delay_alu instid0(VALU_DEP_2)
	v_lshrrev_b64 v[10:11], v2, v[54:55]
; %bb.14406:                            ;   in Loop: Header=BB6_13467 Depth=2
	s_and_not1_saveexec_b32 s10, s10
; %bb.14407:                            ;   in Loop: Header=BB6_13467 Depth=2
	v_mov_b64_e32 v[10:11], v[54:55]
	v_bfe_u32 v1, v54, 23, 1
; %bb.14408:                            ;   in Loop: Header=BB6_13467 Depth=2
	s_or_b32 exec_lo, exec_lo, s10
	s_delay_alu instid0(VALU_DEP_2) | instskip(NEXT) | instid1(VALU_DEP_2)
	v_lshrrev_b64 v[2:3], 20, v[10:11]
	v_cmp_gt_i32_e32 vcc_lo, 16, v1
	v_min_i32_e32 v4, 15, v1
	v_cmp_eq_u32_e64 s10, 0, v1
	s_delay_alu instid0(VALU_DEP_2) | instskip(SKIP_1) | instid1(VALU_DEP_2)
	v_dual_cndmask_b32 v3, 0, v3 :: v_dual_lshlrev_b32 v4, 3, v4
	v_cndmask_b32_e32 v2, 7, v2, vcc_lo
	v_and_b32_e32 v4, 0xf8, v4
	s_delay_alu instid0(VALU_DEP_2) | instskip(NEXT) | instid1(VALU_DEP_2)
	v_cmp_eq_u64_e32 vcc_lo, 0, v[2:3]
	v_and_or_b32 v1, v2, 7, v4
	s_and_b32 s10, s10, vcc_lo
	s_delay_alu instid0(VALU_DEP_1) | instid1(SALU_CYCLE_1)
	v_cndmask_b32_e64 v1, v1, 0, s10
	s_delay_alu instid0(VALU_DEP_1)
	v_or_b32_e32 v25, v1, v0
.LBB6_14409:                            ;   in Loop: Header=BB6_13467 Depth=2
	s_or_b32 exec_lo, exec_lo, s29
                                        ; implicit-def: $vgpr0
.LBB6_14410:                            ;   in Loop: Header=BB6_13467 Depth=2
	s_and_not1_saveexec_b32 s10, s28
; %bb.14411:                            ;   in Loop: Header=BB6_13467 Depth=2
	v_or_b32_e32 v25, 0x7e, v0
; %bb.14412:                            ;   in Loop: Header=BB6_13467 Depth=2
	s_or_b32 exec_lo, exec_lo, s10
                                        ; implicit-def: $vgpr0
.LBB6_14413:                            ;   in Loop: Header=BB6_13467 Depth=2
	s_and_not1_saveexec_b32 s10, s27
; %bb.14414:                            ;   in Loop: Header=BB6_13467 Depth=2
	v_or_b32_e32 v25, 0x7f, v0
; %bb.14415:                            ;   in Loop: Header=BB6_13467 Depth=2
	s_or_b32 exec_lo, exec_lo, s10
	v_and_b32_e32 v1, 0xff, v12
	v_mov_b32_e32 v0, 0
	s_mov_b32 s10, exec_lo
	s_delay_alu instid0(VALU_DEP_2)
	v_cmpx_ne_u16_e32 0, v1
	s_cbranch_execz .LBB6_14421
; %bb.14416:                            ;   in Loop: Header=BB6_13467 Depth=2
	v_bfrev_b32_e32 v0, 1
	s_mov_b32 s27, exec_lo
	v_cmpx_ne_u16_e32 0x80, v1
	s_cbranch_execz .LBB6_14420
; %bb.14417:                            ;   in Loop: Header=BB6_13467 Depth=2
	v_and_b32_e32 v1, 0x7f, v12
	v_mov_b32_e32 v0, 0x7f800001
	s_mov_b32 s28, exec_lo
	s_delay_alu instid0(VALU_DEP_2)
	v_cmpx_ne_u32_e32 0x7f, v1
	s_cbranch_execz .LBB6_14419
; %bb.14418:                            ;   in Loop: Header=BB6_13467 Depth=2
	v_dual_lshrrev_b32 v2, 3, v1 :: v_dual_bitop2_b32 v0, 7, v12 bitop3:0x40
	v_cmp_gt_u32_e32 vcc_lo, 8, v1
	s_delay_alu instid0(VALU_DEP_2) | instskip(NEXT) | instid1(VALU_DEP_1)
	v_clz_i32_u32_e32 v0, v0
	v_min_u32_e32 v0, 32, v0
	s_delay_alu instid0(VALU_DEP_1) | instskip(SKIP_1) | instid1(VALU_DEP_1)
	v_subrev_nc_u32_e32 v3, 28, v0
	v_sub_nc_u32_e32 v0, 29, v0
	v_dual_cndmask_b32 v2, v2, v0, vcc_lo :: v_dual_cndmask_b32 v0, 0, v3, vcc_lo
	s_delay_alu instid0(VALU_DEP_1) | instskip(NEXT) | instid1(VALU_DEP_2)
	v_lshl_add_u32 v2, v2, 23, 0x3c000000
	v_lshlrev_b64_e32 v[0:1], v0, v[12:13]
	v_lshlrev_b32_e32 v1, 24, v12
	s_delay_alu instid0(VALU_DEP_1) | instskip(NEXT) | instid1(VALU_DEP_3)
	v_and_b32_e32 v1, 0x80000000, v1
	v_lshlrev_b32_e32 v0, 20, v0
	s_delay_alu instid0(VALU_DEP_1) | instskip(NEXT) | instid1(VALU_DEP_1)
	v_and_b32_e32 v0, 0x700000, v0
	v_or3_b32 v0, v0, v1, v2
.LBB6_14419:                            ;   in Loop: Header=BB6_13467 Depth=2
	s_or_b32 exec_lo, exec_lo, s28
.LBB6_14420:                            ;   in Loop: Header=BB6_13467 Depth=2
	s_delay_alu instid0(SALU_CYCLE_1)
	s_or_b32 exec_lo, exec_lo, s27
.LBB6_14421:                            ;   in Loop: Header=BB6_13467 Depth=2
	s_delay_alu instid0(SALU_CYCLE_1) | instskip(NEXT) | instid1(VALU_DEP_1)
	s_or_b32 exec_lo, exec_lo, s10
	v_mul_f32_e32 v1, s26, v0
                                        ; implicit-def: $vgpr106
	s_mov_b32 s10, exec_lo
	s_delay_alu instid0(VALU_DEP_1) | instskip(SKIP_1) | instid1(VALU_DEP_2)
	v_and_b32_e32 v54, 0x7f800000, v1
	v_lshrrev_b32_e32 v0, 24, v1
	v_cmpx_ne_u64_e32 0x7f800000, v[54:55]
	s_xor_b32 s27, exec_lo, s10
	s_cbranch_execz .LBB6_14435
; %bb.14422:                            ;   in Loop: Header=BB6_13467 Depth=2
	v_and_b32_e32 v54, 0x7fffffff, v1
	v_and_b32_e32 v0, 0x80, v0
                                        ; implicit-def: $vgpr106
	s_mov_b32 s10, exec_lo
	s_delay_alu instid0(VALU_DEP_2)
	v_cmpx_gt_u64_e32 0x43e00001, v[54:55]
	s_xor_b32 s28, exec_lo, s10
	s_cbranch_execz .LBB6_14432
; %bb.14423:                            ;   in Loop: Header=BB6_13467 Depth=2
	v_mov_b32_e32 v106, 0
	s_mov_b32 s29, exec_lo
	v_cmpx_ne_u32_e32 0, v1
	s_cbranch_execz .LBB6_14431
; %bb.14424:                            ;   in Loop: Header=BB6_13467 Depth=2
	v_bfe_u32 v2, v1, 23, 8
	v_and_b32_e32 v1, 0x7fffff, v1
	s_mov_b32 s40, exec_lo
	s_delay_alu instid0(VALU_DEP_2) | instskip(NEXT) | instid1(VALU_DEP_2)
	v_cmp_gt_u32_e32 vcc_lo, 0x7a, v2
	v_or_b32_e32 v6, 0x800000, v1
	v_sub_nc_u32_e32 v3, 0x79, v2
	s_delay_alu instid0(VALU_DEP_1) | instskip(SKIP_1) | instid1(VALU_DEP_2)
	v_cndmask_b32_e32 v3, 0, v3, vcc_lo
	v_cmp_eq_u32_e32 vcc_lo, 0, v2
	v_cndmask_b32_e64 v3, v3, 0x78, vcc_lo
	s_delay_alu instid0(VALU_DEP_1) | instskip(SKIP_1) | instid1(VALU_DEP_2)
	v_dual_cndmask_b32 v54, v6, v1, vcc_lo :: v_dual_add_nc_u32 v4, 20, v3
	v_add_nc_u32_e32 v7, 19, v3
	v_lshrrev_b64 v[10:11], v3, v[54:55]
	s_delay_alu instid0(VALU_DEP_3) | instskip(NEXT) | instid1(VALU_DEP_3)
	v_lshlrev_b64_e64 v[4:5], v4, -1
	v_lshlrev_b64_e64 v[6:7], v7, 1
	s_delay_alu instid0(VALU_DEP_3) | instskip(NEXT) | instid1(VALU_DEP_3)
	v_mov_b64_e32 v[16:17], v[10:11]
	v_bfi_b32 v5, v5, 0, 0
	s_delay_alu instid0(VALU_DEP_4) | instskip(NEXT) | instid1(VALU_DEP_1)
	v_bfi_b32 v4, v4, 0, v54
	v_cmpx_eq_u64_e64 v[4:5], v[6:7]
; %bb.14425:                            ;   in Loop: Header=BB6_13467 Depth=2
	v_bfe_u32 v54, v10, 20, 1
	s_delay_alu instid0(VALU_DEP_1) | instskip(NEXT) | instid1(VALU_DEP_1)
	v_add_nc_u64_e32 v[4:5], v[10:11], v[54:55]
	v_add_nc_u64_e32 v[16:17], -1, v[4:5]
; %bb.14426:                            ;   in Loop: Header=BB6_13467 Depth=2
	s_or_b32 exec_lo, exec_lo, s40
	v_add_nc_u32_e32 v1, 0xffffff81, v2
	v_lshrrev_b32_e32 v2, 23, v10
	s_mov_b32 s10, exec_lo
	s_delay_alu instid0(VALU_DEP_2) | instskip(NEXT) | instid1(VALU_DEP_1)
	v_cndmask_b32_e64 v1, v1, 0xffffff82, vcc_lo
	v_add3_u32 v2, v3, v1, v2
	v_and_b32_e32 v1, 0xfffff, v16
	s_delay_alu instid0(VALU_DEP_2) | instskip(NEXT) | instid1(VALU_DEP_2)
	v_add_nc_u32_e32 v3, 6, v2
	v_add_nc_u32_e32 v54, v1, v10
                                        ; implicit-def: $vgpr10_vgpr11
                                        ; implicit-def: $vgpr1
	s_delay_alu instid0(VALU_DEP_2)
	v_cmpx_ne_u32_e32 0, v3
	s_xor_b32 s10, exec_lo, s10
; %bb.14427:                            ;   in Loop: Header=BB6_13467 Depth=2
	s_delay_alu instid0(VALU_DEP_2) | instskip(SKIP_2) | instid1(VALU_DEP_2)
	v_cmp_lt_u64_e32 vcc_lo, 0xffffff, v[54:55]
	v_add_nc_u32_e32 v1, 7, v2
	v_cndmask_b32_e64 v2, 0, 1, vcc_lo
	v_cndmask_b32_e32 v1, v3, v1, vcc_lo
	s_delay_alu instid0(VALU_DEP_2)
	v_lshrrev_b64 v[10:11], v2, v[54:55]
; %bb.14428:                            ;   in Loop: Header=BB6_13467 Depth=2
	s_and_not1_saveexec_b32 s10, s10
; %bb.14429:                            ;   in Loop: Header=BB6_13467 Depth=2
	v_mov_b64_e32 v[10:11], v[54:55]
	v_bfe_u32 v1, v54, 23, 1
; %bb.14430:                            ;   in Loop: Header=BB6_13467 Depth=2
	s_or_b32 exec_lo, exec_lo, s10
	s_delay_alu instid0(VALU_DEP_2) | instskip(NEXT) | instid1(VALU_DEP_2)
	v_lshrrev_b64 v[2:3], 20, v[10:11]
	v_cmp_gt_i32_e32 vcc_lo, 16, v1
	v_min_i32_e32 v4, 15, v1
	v_cmp_eq_u32_e64 s10, 0, v1
	s_delay_alu instid0(VALU_DEP_2) | instskip(SKIP_1) | instid1(VALU_DEP_2)
	v_dual_cndmask_b32 v3, 0, v3 :: v_dual_lshlrev_b32 v4, 3, v4
	v_cndmask_b32_e32 v2, 7, v2, vcc_lo
	v_and_b32_e32 v4, 0xf8, v4
	s_delay_alu instid0(VALU_DEP_2) | instskip(NEXT) | instid1(VALU_DEP_2)
	v_cmp_eq_u64_e32 vcc_lo, 0, v[2:3]
	v_and_or_b32 v1, v2, 7, v4
	s_and_b32 s10, s10, vcc_lo
	s_delay_alu instid0(VALU_DEP_1) | instid1(SALU_CYCLE_1)
	v_cndmask_b32_e64 v1, v1, 0, s10
	s_delay_alu instid0(VALU_DEP_1)
	v_or_b32_e32 v106, v1, v0
.LBB6_14431:                            ;   in Loop: Header=BB6_13467 Depth=2
	s_or_b32 exec_lo, exec_lo, s29
                                        ; implicit-def: $vgpr0
.LBB6_14432:                            ;   in Loop: Header=BB6_13467 Depth=2
	s_and_not1_saveexec_b32 s10, s28
; %bb.14433:                            ;   in Loop: Header=BB6_13467 Depth=2
	v_or_b32_e32 v106, 0x7e, v0
; %bb.14434:                            ;   in Loop: Header=BB6_13467 Depth=2
	s_or_b32 exec_lo, exec_lo, s10
                                        ; implicit-def: $vgpr0
.LBB6_14435:                            ;   in Loop: Header=BB6_13467 Depth=2
	s_and_not1_saveexec_b32 s10, s27
; %bb.14436:                            ;   in Loop: Header=BB6_13467 Depth=2
	v_or_b32_e32 v106, 0x7f, v0
; %bb.14437:                            ;   in Loop: Header=BB6_13467 Depth=2
	s_or_b32 exec_lo, exec_lo, s10
	v_lshrrev_b16 v1, 8, v12
	v_mov_b32_e32 v0, 0
	s_mov_b32 s10, exec_lo
	s_delay_alu instid0(VALU_DEP_2)
	v_cmpx_ne_u16_e32 0, v1
	s_cbranch_execz .LBB6_14445
; %bb.14438:                            ;   in Loop: Header=BB6_13467 Depth=2
	v_bfrev_b32_e32 v0, 1
	s_mov_b32 s27, exec_lo
	v_cmpx_ne_u16_e32 0x80, v1
	s_cbranch_execz .LBB6_14444
; %bb.14439:                            ;   in Loop: Header=BB6_13467 Depth=2
	v_and_b32_e32 v2, 0xffff, v1
	v_mov_b32_e32 v0, 0x7f800001
	s_mov_b32 s28, exec_lo
	s_delay_alu instid0(VALU_DEP_2) | instskip(NEXT) | instid1(VALU_DEP_1)
	v_and_b32_e32 v1, 0x7f, v2
	v_cmpx_ne_u32_e32 0x7f, v1
	s_cbranch_execz .LBB6_14443
; %bb.14440:                            ;   in Loop: Header=BB6_13467 Depth=2
	v_dual_lshrrev_b32 v0, 3, v1 :: v_dual_bitop2_b32 v54, 7, v2 bitop3:0x40
	s_mov_b32 s29, exec_lo
	v_cmpx_gt_u32_e32 8, v1
; %bb.14441:                            ;   in Loop: Header=BB6_13467 Depth=2
	s_delay_alu instid0(VALU_DEP_2) | instskip(NEXT) | instid1(VALU_DEP_1)
	v_clz_i32_u32_e32 v0, v54
	v_min_u32_e32 v0, 32, v0
	s_delay_alu instid0(VALU_DEP_1) | instskip(NEXT) | instid1(VALU_DEP_1)
	v_subrev_nc_u32_e32 v1, 28, v0
	v_lshlrev_b64_e32 v[2:3], v1, v[54:55]
	s_delay_alu instid0(VALU_DEP_1)
	v_dual_sub_nc_u32 v0, 29, v0 :: v_dual_bitop2_b32 v54, 7, v2 bitop3:0x40
; %bb.14442:                            ;   in Loop: Header=BB6_13467 Depth=2
	s_or_b32 exec_lo, exec_lo, s29
	s_delay_alu instid0(VALU_DEP_1) | instskip(NEXT) | instid1(VALU_DEP_2)
	v_dual_lshlrev_b32 v1, 16, v12 :: v_dual_lshlrev_b32 v2, 20, v54
	v_lshl_add_u32 v0, v0, 23, 0x3c000000
	s_delay_alu instid0(VALU_DEP_2) | instskip(NEXT) | instid1(VALU_DEP_1)
	v_and_b32_e32 v1, 0x80000000, v1
	v_or3_b32 v0, v2, v1, v0
.LBB6_14443:                            ;   in Loop: Header=BB6_13467 Depth=2
	s_or_b32 exec_lo, exec_lo, s28
.LBB6_14444:                            ;   in Loop: Header=BB6_13467 Depth=2
	s_delay_alu instid0(SALU_CYCLE_1)
	s_or_b32 exec_lo, exec_lo, s27
.LBB6_14445:                            ;   in Loop: Header=BB6_13467 Depth=2
	s_delay_alu instid0(SALU_CYCLE_1) | instskip(NEXT) | instid1(VALU_DEP_1)
	s_or_b32 exec_lo, exec_lo, s10
	v_mul_f32_e32 v1, s26, v0
                                        ; implicit-def: $vgpr107
	s_mov_b32 s10, exec_lo
	s_delay_alu instid0(VALU_DEP_1) | instskip(SKIP_1) | instid1(VALU_DEP_2)
	v_and_b32_e32 v54, 0x7f800000, v1
	v_lshrrev_b32_e32 v0, 24, v1
	v_cmpx_ne_u64_e32 0x7f800000, v[54:55]
	s_xor_b32 s27, exec_lo, s10
	s_cbranch_execz .LBB6_14459
; %bb.14446:                            ;   in Loop: Header=BB6_13467 Depth=2
	v_and_b32_e32 v54, 0x7fffffff, v1
	v_and_b32_e32 v0, 0x80, v0
                                        ; implicit-def: $vgpr107
	s_mov_b32 s10, exec_lo
	s_delay_alu instid0(VALU_DEP_2)
	v_cmpx_gt_u64_e32 0x43e00001, v[54:55]
	s_xor_b32 s28, exec_lo, s10
	s_cbranch_execz .LBB6_14456
; %bb.14447:                            ;   in Loop: Header=BB6_13467 Depth=2
	v_mov_b32_e32 v107, 0
	s_mov_b32 s29, exec_lo
	v_cmpx_ne_u32_e32 0, v1
	s_cbranch_execz .LBB6_14455
; %bb.14448:                            ;   in Loop: Header=BB6_13467 Depth=2
	v_bfe_u32 v2, v1, 23, 8
	v_and_b32_e32 v1, 0x7fffff, v1
	s_mov_b32 s40, exec_lo
	s_delay_alu instid0(VALU_DEP_2) | instskip(NEXT) | instid1(VALU_DEP_2)
	v_cmp_gt_u32_e32 vcc_lo, 0x7a, v2
	v_or_b32_e32 v6, 0x800000, v1
	v_sub_nc_u32_e32 v3, 0x79, v2
	s_delay_alu instid0(VALU_DEP_1) | instskip(SKIP_1) | instid1(VALU_DEP_2)
	v_cndmask_b32_e32 v3, 0, v3, vcc_lo
	v_cmp_eq_u32_e32 vcc_lo, 0, v2
	v_cndmask_b32_e64 v3, v3, 0x78, vcc_lo
	s_delay_alu instid0(VALU_DEP_1) | instskip(SKIP_1) | instid1(VALU_DEP_2)
	v_dual_cndmask_b32 v54, v6, v1, vcc_lo :: v_dual_add_nc_u32 v4, 20, v3
	v_add_nc_u32_e32 v7, 19, v3
	v_lshrrev_b64 v[10:11], v3, v[54:55]
	s_delay_alu instid0(VALU_DEP_3) | instskip(NEXT) | instid1(VALU_DEP_3)
	v_lshlrev_b64_e64 v[4:5], v4, -1
	v_lshlrev_b64_e64 v[6:7], v7, 1
	s_delay_alu instid0(VALU_DEP_3) | instskip(NEXT) | instid1(VALU_DEP_3)
	v_mov_b64_e32 v[16:17], v[10:11]
	v_bfi_b32 v5, v5, 0, 0
	s_delay_alu instid0(VALU_DEP_4) | instskip(NEXT) | instid1(VALU_DEP_1)
	v_bfi_b32 v4, v4, 0, v54
	v_cmpx_eq_u64_e64 v[4:5], v[6:7]
; %bb.14449:                            ;   in Loop: Header=BB6_13467 Depth=2
	v_bfe_u32 v54, v10, 20, 1
	s_delay_alu instid0(VALU_DEP_1) | instskip(NEXT) | instid1(VALU_DEP_1)
	v_add_nc_u64_e32 v[4:5], v[10:11], v[54:55]
	v_add_nc_u64_e32 v[16:17], -1, v[4:5]
; %bb.14450:                            ;   in Loop: Header=BB6_13467 Depth=2
	s_or_b32 exec_lo, exec_lo, s40
	v_add_nc_u32_e32 v1, 0xffffff81, v2
	v_lshrrev_b32_e32 v2, 23, v10
	s_mov_b32 s10, exec_lo
	s_delay_alu instid0(VALU_DEP_2) | instskip(NEXT) | instid1(VALU_DEP_1)
	v_cndmask_b32_e64 v1, v1, 0xffffff82, vcc_lo
	v_add3_u32 v2, v3, v1, v2
	v_and_b32_e32 v1, 0xfffff, v16
	s_delay_alu instid0(VALU_DEP_2) | instskip(NEXT) | instid1(VALU_DEP_2)
	v_add_nc_u32_e32 v3, 6, v2
	v_add_nc_u32_e32 v54, v1, v10
                                        ; implicit-def: $vgpr10_vgpr11
                                        ; implicit-def: $vgpr1
	s_delay_alu instid0(VALU_DEP_2)
	v_cmpx_ne_u32_e32 0, v3
	s_xor_b32 s10, exec_lo, s10
; %bb.14451:                            ;   in Loop: Header=BB6_13467 Depth=2
	s_delay_alu instid0(VALU_DEP_2) | instskip(SKIP_2) | instid1(VALU_DEP_2)
	v_cmp_lt_u64_e32 vcc_lo, 0xffffff, v[54:55]
	v_add_nc_u32_e32 v1, 7, v2
	v_cndmask_b32_e64 v2, 0, 1, vcc_lo
	v_cndmask_b32_e32 v1, v3, v1, vcc_lo
	s_delay_alu instid0(VALU_DEP_2)
	v_lshrrev_b64 v[10:11], v2, v[54:55]
; %bb.14452:                            ;   in Loop: Header=BB6_13467 Depth=2
	s_and_not1_saveexec_b32 s10, s10
; %bb.14453:                            ;   in Loop: Header=BB6_13467 Depth=2
	v_mov_b64_e32 v[10:11], v[54:55]
	v_bfe_u32 v1, v54, 23, 1
; %bb.14454:                            ;   in Loop: Header=BB6_13467 Depth=2
	s_or_b32 exec_lo, exec_lo, s10
	s_delay_alu instid0(VALU_DEP_2) | instskip(NEXT) | instid1(VALU_DEP_2)
	v_lshrrev_b64 v[2:3], 20, v[10:11]
	v_cmp_gt_i32_e32 vcc_lo, 16, v1
	v_min_i32_e32 v4, 15, v1
	v_cmp_eq_u32_e64 s10, 0, v1
	s_delay_alu instid0(VALU_DEP_2) | instskip(SKIP_1) | instid1(VALU_DEP_2)
	v_dual_cndmask_b32 v3, 0, v3 :: v_dual_lshlrev_b32 v4, 3, v4
	v_cndmask_b32_e32 v2, 7, v2, vcc_lo
	v_and_b32_e32 v4, 0xf8, v4
	s_delay_alu instid0(VALU_DEP_2) | instskip(NEXT) | instid1(VALU_DEP_2)
	v_cmp_eq_u64_e32 vcc_lo, 0, v[2:3]
	v_and_or_b32 v1, v2, 7, v4
	s_and_b32 s10, s10, vcc_lo
	s_delay_alu instid0(VALU_DEP_1) | instid1(SALU_CYCLE_1)
	v_cndmask_b32_e64 v1, v1, 0, s10
	s_delay_alu instid0(VALU_DEP_1)
	v_or_b32_e32 v107, v1, v0
.LBB6_14455:                            ;   in Loop: Header=BB6_13467 Depth=2
	s_or_b32 exec_lo, exec_lo, s29
                                        ; implicit-def: $vgpr0
.LBB6_14456:                            ;   in Loop: Header=BB6_13467 Depth=2
	s_and_not1_saveexec_b32 s10, s28
; %bb.14457:                            ;   in Loop: Header=BB6_13467 Depth=2
	v_or_b32_e32 v107, 0x7e, v0
; %bb.14458:                            ;   in Loop: Header=BB6_13467 Depth=2
	s_or_b32 exec_lo, exec_lo, s10
                                        ; implicit-def: $vgpr0
.LBB6_14459:                            ;   in Loop: Header=BB6_13467 Depth=2
	s_and_not1_saveexec_b32 s10, s27
; %bb.14460:                            ;   in Loop: Header=BB6_13467 Depth=2
	v_or_b32_e32 v107, 0x7f, v0
; %bb.14461:                            ;   in Loop: Header=BB6_13467 Depth=2
	s_or_b32 exec_lo, exec_lo, s10
	v_dual_mov_b32 v1, 0 :: v_dual_lshrrev_b32 v0, 16, v12
	s_mov_b32 s10, exec_lo
	s_delay_alu instid0(VALU_DEP_1) | instskip(NEXT) | instid1(VALU_DEP_1)
	v_and_b32_e32 v2, 0xff, v0
	v_cmpx_ne_u16_e32 0, v2
	s_cbranch_execz .LBB6_14469
; %bb.14462:                            ;   in Loop: Header=BB6_13467 Depth=2
	v_bfrev_b32_e32 v1, 1
	s_mov_b32 s27, exec_lo
	v_cmpx_ne_u16_e32 0x80, v2
	s_cbranch_execz .LBB6_14468
; %bb.14463:                            ;   in Loop: Header=BB6_13467 Depth=2
	v_bfe_u32 v2, v12, 16, 7
	v_mov_b32_e32 v1, 0x7f800001
	s_mov_b32 s28, exec_lo
	s_delay_alu instid0(VALU_DEP_2)
	v_cmpx_ne_u32_e32 0x7f, v2
	s_cbranch_execz .LBB6_14467
; %bb.14464:                            ;   in Loop: Header=BB6_13467 Depth=2
	v_dual_lshrrev_b32 v1, 3, v2 :: v_dual_bitop2_b32 v54, 7, v0 bitop3:0x40
	s_mov_b32 s29, exec_lo
	v_cmpx_gt_u32_e32 8, v2
; %bb.14465:                            ;   in Loop: Header=BB6_13467 Depth=2
	s_delay_alu instid0(VALU_DEP_2) | instskip(NEXT) | instid1(VALU_DEP_1)
	v_clz_i32_u32_e32 v1, v54
	v_min_u32_e32 v1, 32, v1
	s_delay_alu instid0(VALU_DEP_1) | instskip(NEXT) | instid1(VALU_DEP_1)
	v_subrev_nc_u32_e32 v2, 28, v1
	v_lshlrev_b64_e32 v[2:3], v2, v[54:55]
	s_delay_alu instid0(VALU_DEP_1)
	v_dual_sub_nc_u32 v1, 29, v1 :: v_dual_bitop2_b32 v54, 7, v2 bitop3:0x40
; %bb.14466:                            ;   in Loop: Header=BB6_13467 Depth=2
	s_or_b32 exec_lo, exec_lo, s29
	s_delay_alu instid0(VALU_DEP_1) | instskip(NEXT) | instid1(VALU_DEP_2)
	v_dual_lshlrev_b32 v0, 24, v0 :: v_dual_lshlrev_b32 v2, 20, v54
	v_lshl_add_u32 v1, v1, 23, 0x3c000000
	s_delay_alu instid0(VALU_DEP_2) | instskip(NEXT) | instid1(VALU_DEP_1)
	v_and_b32_e32 v0, 0x80000000, v0
	v_or3_b32 v1, v2, v0, v1
.LBB6_14467:                            ;   in Loop: Header=BB6_13467 Depth=2
	s_or_b32 exec_lo, exec_lo, s28
.LBB6_14468:                            ;   in Loop: Header=BB6_13467 Depth=2
	s_delay_alu instid0(SALU_CYCLE_1)
	s_or_b32 exec_lo, exec_lo, s27
.LBB6_14469:                            ;   in Loop: Header=BB6_13467 Depth=2
	s_delay_alu instid0(SALU_CYCLE_1) | instskip(NEXT) | instid1(VALU_DEP_1)
	s_or_b32 exec_lo, exec_lo, s10
	v_mul_f32_e32 v1, s26, v1
                                        ; implicit-def: $vgpr108
	s_mov_b32 s10, exec_lo
	s_delay_alu instid0(VALU_DEP_1) | instskip(SKIP_1) | instid1(VALU_DEP_2)
	v_and_b32_e32 v54, 0x7f800000, v1
	v_lshrrev_b32_e32 v0, 24, v1
	v_cmpx_ne_u64_e32 0x7f800000, v[54:55]
	s_xor_b32 s27, exec_lo, s10
	s_cbranch_execz .LBB6_14483
; %bb.14470:                            ;   in Loop: Header=BB6_13467 Depth=2
	v_and_b32_e32 v54, 0x7fffffff, v1
	v_and_b32_e32 v0, 0x80, v0
                                        ; implicit-def: $vgpr108
	s_mov_b32 s10, exec_lo
	s_delay_alu instid0(VALU_DEP_2)
	v_cmpx_gt_u64_e32 0x43e00001, v[54:55]
	s_xor_b32 s28, exec_lo, s10
	s_cbranch_execz .LBB6_14480
; %bb.14471:                            ;   in Loop: Header=BB6_13467 Depth=2
	v_mov_b32_e32 v108, 0
	s_mov_b32 s29, exec_lo
	v_cmpx_ne_u32_e32 0, v1
	s_cbranch_execz .LBB6_14479
; %bb.14472:                            ;   in Loop: Header=BB6_13467 Depth=2
	v_bfe_u32 v2, v1, 23, 8
	v_and_b32_e32 v1, 0x7fffff, v1
	s_mov_b32 s40, exec_lo
	s_delay_alu instid0(VALU_DEP_2) | instskip(NEXT) | instid1(VALU_DEP_2)
	v_cmp_gt_u32_e32 vcc_lo, 0x7a, v2
	v_or_b32_e32 v6, 0x800000, v1
	v_sub_nc_u32_e32 v3, 0x79, v2
	s_delay_alu instid0(VALU_DEP_1) | instskip(SKIP_1) | instid1(VALU_DEP_2)
	v_cndmask_b32_e32 v3, 0, v3, vcc_lo
	v_cmp_eq_u32_e32 vcc_lo, 0, v2
	v_cndmask_b32_e64 v3, v3, 0x78, vcc_lo
	s_delay_alu instid0(VALU_DEP_1) | instskip(SKIP_1) | instid1(VALU_DEP_2)
	v_dual_cndmask_b32 v54, v6, v1, vcc_lo :: v_dual_add_nc_u32 v4, 20, v3
	v_add_nc_u32_e32 v7, 19, v3
	v_lshrrev_b64 v[10:11], v3, v[54:55]
	s_delay_alu instid0(VALU_DEP_3) | instskip(NEXT) | instid1(VALU_DEP_3)
	v_lshlrev_b64_e64 v[4:5], v4, -1
	v_lshlrev_b64_e64 v[6:7], v7, 1
	s_delay_alu instid0(VALU_DEP_3) | instskip(NEXT) | instid1(VALU_DEP_3)
	v_mov_b64_e32 v[16:17], v[10:11]
	v_bfi_b32 v5, v5, 0, 0
	s_delay_alu instid0(VALU_DEP_4) | instskip(NEXT) | instid1(VALU_DEP_1)
	v_bfi_b32 v4, v4, 0, v54
	v_cmpx_eq_u64_e64 v[4:5], v[6:7]
; %bb.14473:                            ;   in Loop: Header=BB6_13467 Depth=2
	v_bfe_u32 v54, v10, 20, 1
	s_delay_alu instid0(VALU_DEP_1) | instskip(NEXT) | instid1(VALU_DEP_1)
	v_add_nc_u64_e32 v[4:5], v[10:11], v[54:55]
	v_add_nc_u64_e32 v[16:17], -1, v[4:5]
; %bb.14474:                            ;   in Loop: Header=BB6_13467 Depth=2
	s_or_b32 exec_lo, exec_lo, s40
	v_add_nc_u32_e32 v1, 0xffffff81, v2
	v_lshrrev_b32_e32 v2, 23, v10
	s_mov_b32 s10, exec_lo
	s_delay_alu instid0(VALU_DEP_2) | instskip(NEXT) | instid1(VALU_DEP_1)
	v_cndmask_b32_e64 v1, v1, 0xffffff82, vcc_lo
	v_add3_u32 v2, v3, v1, v2
	v_and_b32_e32 v1, 0xfffff, v16
	s_delay_alu instid0(VALU_DEP_2) | instskip(NEXT) | instid1(VALU_DEP_2)
	v_add_nc_u32_e32 v3, 6, v2
	v_add_nc_u32_e32 v54, v1, v10
                                        ; implicit-def: $vgpr10_vgpr11
                                        ; implicit-def: $vgpr1
	s_delay_alu instid0(VALU_DEP_2)
	v_cmpx_ne_u32_e32 0, v3
	s_xor_b32 s10, exec_lo, s10
; %bb.14475:                            ;   in Loop: Header=BB6_13467 Depth=2
	s_delay_alu instid0(VALU_DEP_2) | instskip(SKIP_2) | instid1(VALU_DEP_2)
	v_cmp_lt_u64_e32 vcc_lo, 0xffffff, v[54:55]
	v_add_nc_u32_e32 v1, 7, v2
	v_cndmask_b32_e64 v2, 0, 1, vcc_lo
	v_cndmask_b32_e32 v1, v3, v1, vcc_lo
	s_delay_alu instid0(VALU_DEP_2)
	v_lshrrev_b64 v[10:11], v2, v[54:55]
; %bb.14476:                            ;   in Loop: Header=BB6_13467 Depth=2
	s_and_not1_saveexec_b32 s10, s10
; %bb.14477:                            ;   in Loop: Header=BB6_13467 Depth=2
	v_mov_b64_e32 v[10:11], v[54:55]
	v_bfe_u32 v1, v54, 23, 1
; %bb.14478:                            ;   in Loop: Header=BB6_13467 Depth=2
	s_or_b32 exec_lo, exec_lo, s10
	s_delay_alu instid0(VALU_DEP_2) | instskip(NEXT) | instid1(VALU_DEP_2)
	v_lshrrev_b64 v[2:3], 20, v[10:11]
	v_cmp_gt_i32_e32 vcc_lo, 16, v1
	v_min_i32_e32 v4, 15, v1
	v_cmp_eq_u32_e64 s10, 0, v1
	s_delay_alu instid0(VALU_DEP_2) | instskip(SKIP_1) | instid1(VALU_DEP_2)
	v_dual_cndmask_b32 v3, 0, v3 :: v_dual_lshlrev_b32 v4, 3, v4
	v_cndmask_b32_e32 v2, 7, v2, vcc_lo
	v_and_b32_e32 v4, 0xf8, v4
	s_delay_alu instid0(VALU_DEP_2) | instskip(NEXT) | instid1(VALU_DEP_2)
	v_cmp_eq_u64_e32 vcc_lo, 0, v[2:3]
	v_and_or_b32 v1, v2, 7, v4
	s_and_b32 s10, s10, vcc_lo
	s_delay_alu instid0(VALU_DEP_1) | instid1(SALU_CYCLE_1)
	v_cndmask_b32_e64 v1, v1, 0, s10
	s_delay_alu instid0(VALU_DEP_1)
	v_or_b32_e32 v108, v1, v0
.LBB6_14479:                            ;   in Loop: Header=BB6_13467 Depth=2
	s_or_b32 exec_lo, exec_lo, s29
                                        ; implicit-def: $vgpr0
.LBB6_14480:                            ;   in Loop: Header=BB6_13467 Depth=2
	s_and_not1_saveexec_b32 s10, s28
; %bb.14481:                            ;   in Loop: Header=BB6_13467 Depth=2
	v_or_b32_e32 v108, 0x7e, v0
; %bb.14482:                            ;   in Loop: Header=BB6_13467 Depth=2
	s_or_b32 exec_lo, exec_lo, s10
                                        ; implicit-def: $vgpr0
.LBB6_14483:                            ;   in Loop: Header=BB6_13467 Depth=2
	s_and_not1_saveexec_b32 s10, s27
; %bb.14484:                            ;   in Loop: Header=BB6_13467 Depth=2
	v_or_b32_e32 v108, 0x7f, v0
; %bb.14485:                            ;   in Loop: Header=BB6_13467 Depth=2
	s_or_b32 exec_lo, exec_lo, s10
	v_mov_b32_e32 v1, 0
	s_mov_b32 s10, exec_lo
	v_cmpx_lt_u32_e32 0xffffff, v12
	s_cbranch_execz .LBB6_14493
; %bb.14486:                            ;   in Loop: Header=BB6_13467 Depth=2
	v_lshrrev_b32_e32 v0, 24, v12
	v_bfrev_b32_e32 v1, 1
	s_mov_b32 s27, exec_lo
	s_delay_alu instid0(VALU_DEP_2)
	v_cmpx_ne_u32_e32 0x80, v0
	s_cbranch_execz .LBB6_14492
; %bb.14487:                            ;   in Loop: Header=BB6_13467 Depth=2
	v_bfe_u32 v2, v12, 24, 7
	v_mov_b32_e32 v1, 0x7f800001
	s_mov_b32 s28, exec_lo
	s_delay_alu instid0(VALU_DEP_2)
	v_cmpx_ne_u32_e32 0x7f, v2
	s_cbranch_execz .LBB6_14491
; %bb.14488:                            ;   in Loop: Header=BB6_13467 Depth=2
	v_dual_lshrrev_b32 v1, 3, v2 :: v_dual_bitop2_b32 v54, 7, v0 bitop3:0x40
	s_mov_b32 s29, exec_lo
	v_cmpx_gt_u32_e32 8, v2
; %bb.14489:                            ;   in Loop: Header=BB6_13467 Depth=2
	s_delay_alu instid0(VALU_DEP_2) | instskip(NEXT) | instid1(VALU_DEP_1)
	v_clz_i32_u32_e32 v1, v54
	v_min_u32_e32 v1, 32, v1
	s_delay_alu instid0(VALU_DEP_1) | instskip(NEXT) | instid1(VALU_DEP_1)
	v_subrev_nc_u32_e32 v2, 28, v1
	v_lshlrev_b64_e32 v[2:3], v2, v[54:55]
	s_delay_alu instid0(VALU_DEP_1)
	v_dual_sub_nc_u32 v1, 29, v1 :: v_dual_bitop2_b32 v54, 7, v2 bitop3:0x40
; %bb.14490:                            ;   in Loop: Header=BB6_13467 Depth=2
	s_or_b32 exec_lo, exec_lo, s29
	s_delay_alu instid0(VALU_DEP_1) | instskip(NEXT) | instid1(VALU_DEP_2)
	v_dual_lshlrev_b32 v0, 24, v0 :: v_dual_lshlrev_b32 v2, 20, v54
	v_lshl_add_u32 v1, v1, 23, 0x3c000000
	s_delay_alu instid0(VALU_DEP_2) | instskip(NEXT) | instid1(VALU_DEP_1)
	v_and_b32_e32 v0, 0x80000000, v0
	v_or3_b32 v1, v2, v0, v1
.LBB6_14491:                            ;   in Loop: Header=BB6_13467 Depth=2
	s_or_b32 exec_lo, exec_lo, s28
.LBB6_14492:                            ;   in Loop: Header=BB6_13467 Depth=2
	s_delay_alu instid0(SALU_CYCLE_1)
	s_or_b32 exec_lo, exec_lo, s27
.LBB6_14493:                            ;   in Loop: Header=BB6_13467 Depth=2
	s_delay_alu instid0(SALU_CYCLE_1) | instskip(NEXT) | instid1(VALU_DEP_1)
	s_or_b32 exec_lo, exec_lo, s10
	v_mul_f32_e32 v1, s26, v1
                                        ; implicit-def: $vgpr109
	s_mov_b32 s10, exec_lo
	s_delay_alu instid0(VALU_DEP_1) | instskip(SKIP_1) | instid1(VALU_DEP_2)
	v_and_b32_e32 v54, 0x7f800000, v1
	v_lshrrev_b32_e32 v0, 24, v1
	v_cmpx_ne_u64_e32 0x7f800000, v[54:55]
	s_xor_b32 s27, exec_lo, s10
	s_cbranch_execz .LBB6_14507
; %bb.14494:                            ;   in Loop: Header=BB6_13467 Depth=2
	v_and_b32_e32 v54, 0x7fffffff, v1
	v_and_b32_e32 v0, 0x80, v0
                                        ; implicit-def: $vgpr109
	s_mov_b32 s10, exec_lo
	s_delay_alu instid0(VALU_DEP_2)
	v_cmpx_gt_u64_e32 0x43e00001, v[54:55]
	s_xor_b32 s28, exec_lo, s10
	s_cbranch_execz .LBB6_14504
; %bb.14495:                            ;   in Loop: Header=BB6_13467 Depth=2
	v_mov_b32_e32 v109, 0
	s_mov_b32 s29, exec_lo
	v_cmpx_ne_u32_e32 0, v1
	s_cbranch_execz .LBB6_14503
; %bb.14496:                            ;   in Loop: Header=BB6_13467 Depth=2
	v_bfe_u32 v2, v1, 23, 8
	v_and_b32_e32 v1, 0x7fffff, v1
	s_mov_b32 s40, exec_lo
	s_delay_alu instid0(VALU_DEP_2) | instskip(NEXT) | instid1(VALU_DEP_2)
	v_cmp_gt_u32_e32 vcc_lo, 0x7a, v2
	v_or_b32_e32 v6, 0x800000, v1
	v_sub_nc_u32_e32 v3, 0x79, v2
	s_delay_alu instid0(VALU_DEP_1) | instskip(SKIP_1) | instid1(VALU_DEP_2)
	v_cndmask_b32_e32 v3, 0, v3, vcc_lo
	v_cmp_eq_u32_e32 vcc_lo, 0, v2
	v_cndmask_b32_e64 v3, v3, 0x78, vcc_lo
	s_delay_alu instid0(VALU_DEP_1) | instskip(SKIP_1) | instid1(VALU_DEP_2)
	v_dual_cndmask_b32 v54, v6, v1, vcc_lo :: v_dual_add_nc_u32 v4, 20, v3
	v_add_nc_u32_e32 v7, 19, v3
	v_lshrrev_b64 v[10:11], v3, v[54:55]
	s_delay_alu instid0(VALU_DEP_3) | instskip(NEXT) | instid1(VALU_DEP_3)
	v_lshlrev_b64_e64 v[4:5], v4, -1
	v_lshlrev_b64_e64 v[6:7], v7, 1
	s_delay_alu instid0(VALU_DEP_3) | instskip(NEXT) | instid1(VALU_DEP_3)
	v_mov_b64_e32 v[16:17], v[10:11]
	v_bfi_b32 v5, v5, 0, 0
	s_delay_alu instid0(VALU_DEP_4) | instskip(NEXT) | instid1(VALU_DEP_1)
	v_bfi_b32 v4, v4, 0, v54
	v_cmpx_eq_u64_e64 v[4:5], v[6:7]
; %bb.14497:                            ;   in Loop: Header=BB6_13467 Depth=2
	v_bfe_u32 v54, v10, 20, 1
	s_delay_alu instid0(VALU_DEP_1) | instskip(NEXT) | instid1(VALU_DEP_1)
	v_add_nc_u64_e32 v[4:5], v[10:11], v[54:55]
	v_add_nc_u64_e32 v[16:17], -1, v[4:5]
; %bb.14498:                            ;   in Loop: Header=BB6_13467 Depth=2
	s_or_b32 exec_lo, exec_lo, s40
	v_add_nc_u32_e32 v1, 0xffffff81, v2
	v_lshrrev_b32_e32 v2, 23, v10
	s_mov_b32 s10, exec_lo
	s_delay_alu instid0(VALU_DEP_2) | instskip(NEXT) | instid1(VALU_DEP_1)
	v_cndmask_b32_e64 v1, v1, 0xffffff82, vcc_lo
	v_add3_u32 v2, v3, v1, v2
	v_and_b32_e32 v1, 0xfffff, v16
	s_delay_alu instid0(VALU_DEP_2) | instskip(NEXT) | instid1(VALU_DEP_2)
	v_add_nc_u32_e32 v3, 6, v2
	v_add_nc_u32_e32 v54, v1, v10
                                        ; implicit-def: $vgpr10_vgpr11
                                        ; implicit-def: $vgpr1
	s_delay_alu instid0(VALU_DEP_2)
	v_cmpx_ne_u32_e32 0, v3
	s_xor_b32 s10, exec_lo, s10
; %bb.14499:                            ;   in Loop: Header=BB6_13467 Depth=2
	s_delay_alu instid0(VALU_DEP_2) | instskip(SKIP_2) | instid1(VALU_DEP_2)
	v_cmp_lt_u64_e32 vcc_lo, 0xffffff, v[54:55]
	v_add_nc_u32_e32 v1, 7, v2
	v_cndmask_b32_e64 v2, 0, 1, vcc_lo
	v_cndmask_b32_e32 v1, v3, v1, vcc_lo
	s_delay_alu instid0(VALU_DEP_2)
	v_lshrrev_b64 v[10:11], v2, v[54:55]
; %bb.14500:                            ;   in Loop: Header=BB6_13467 Depth=2
	s_and_not1_saveexec_b32 s10, s10
; %bb.14501:                            ;   in Loop: Header=BB6_13467 Depth=2
	v_mov_b64_e32 v[10:11], v[54:55]
	v_bfe_u32 v1, v54, 23, 1
; %bb.14502:                            ;   in Loop: Header=BB6_13467 Depth=2
	s_or_b32 exec_lo, exec_lo, s10
	s_delay_alu instid0(VALU_DEP_2) | instskip(NEXT) | instid1(VALU_DEP_2)
	v_lshrrev_b64 v[2:3], 20, v[10:11]
	v_cmp_gt_i32_e32 vcc_lo, 16, v1
	v_min_i32_e32 v4, 15, v1
	v_cmp_eq_u32_e64 s10, 0, v1
	s_delay_alu instid0(VALU_DEP_2) | instskip(SKIP_1) | instid1(VALU_DEP_2)
	v_dual_cndmask_b32 v3, 0, v3 :: v_dual_lshlrev_b32 v4, 3, v4
	v_cndmask_b32_e32 v2, 7, v2, vcc_lo
	v_and_b32_e32 v4, 0xf8, v4
	s_delay_alu instid0(VALU_DEP_2) | instskip(NEXT) | instid1(VALU_DEP_2)
	v_cmp_eq_u64_e32 vcc_lo, 0, v[2:3]
	v_and_or_b32 v1, v2, 7, v4
	s_and_b32 s10, s10, vcc_lo
	s_delay_alu instid0(VALU_DEP_1) | instid1(SALU_CYCLE_1)
	v_cndmask_b32_e64 v1, v1, 0, s10
	s_delay_alu instid0(VALU_DEP_1)
	v_or_b32_e32 v109, v1, v0
.LBB6_14503:                            ;   in Loop: Header=BB6_13467 Depth=2
	s_or_b32 exec_lo, exec_lo, s29
                                        ; implicit-def: $vgpr0
.LBB6_14504:                            ;   in Loop: Header=BB6_13467 Depth=2
	s_and_not1_saveexec_b32 s10, s28
; %bb.14505:                            ;   in Loop: Header=BB6_13467 Depth=2
	v_or_b32_e32 v109, 0x7e, v0
; %bb.14506:                            ;   in Loop: Header=BB6_13467 Depth=2
	s_or_b32 exec_lo, exec_lo, s10
                                        ; implicit-def: $vgpr0
.LBB6_14507:                            ;   in Loop: Header=BB6_13467 Depth=2
	s_and_not1_saveexec_b32 s10, s27
; %bb.14508:                            ;   in Loop: Header=BB6_13467 Depth=2
	v_or_b32_e32 v109, 0x7f, v0
; %bb.14509:                            ;   in Loop: Header=BB6_13467 Depth=2
	s_or_b32 exec_lo, exec_lo, s10
	v_and_b32_e32 v1, 0xff, v13
	v_dual_mov_b32 v54, v13 :: v_dual_mov_b32 v0, 0
	s_mov_b32 s10, exec_lo
	s_delay_alu instid0(VALU_DEP_2)
	v_cmpx_ne_u16_e32 0, v1
	s_cbranch_execz .LBB6_14515
; %bb.14510:                            ;   in Loop: Header=BB6_13467 Depth=2
	v_bfrev_b32_e32 v0, 1
	s_mov_b32 s27, exec_lo
	v_cmpx_ne_u16_e32 0x80, v1
	s_cbranch_execz .LBB6_14514
; %bb.14511:                            ;   in Loop: Header=BB6_13467 Depth=2
	v_and_b32_e32 v1, 0x7f, v13
	v_mov_b32_e32 v0, 0x7f800001
	s_mov_b32 s28, exec_lo
	s_delay_alu instid0(VALU_DEP_2)
	v_cmpx_ne_u32_e32 0x7f, v1
	s_cbranch_execz .LBB6_14513
; %bb.14512:                            ;   in Loop: Header=BB6_13467 Depth=2
	v_and_b32_e32 v0, 7, v13
	v_cmp_gt_u32_e32 vcc_lo, 8, v1
	s_delay_alu instid0(VALU_DEP_2) | instskip(NEXT) | instid1(VALU_DEP_1)
	v_clz_i32_u32_e32 v0, v0
	v_min_u32_e32 v0, 32, v0
	v_lshrrev_b32_e32 v2, 3, v1
	s_delay_alu instid0(VALU_DEP_2) | instskip(SKIP_1) | instid1(VALU_DEP_1)
	v_subrev_nc_u32_e32 v3, 28, v0
	v_sub_nc_u32_e32 v0, 29, v0
	v_dual_cndmask_b32 v2, v2, v0, vcc_lo :: v_dual_cndmask_b32 v0, 0, v3, vcc_lo
	s_delay_alu instid0(VALU_DEP_1) | instskip(NEXT) | instid1(VALU_DEP_2)
	v_lshl_add_u32 v2, v2, 23, 0x3c000000
	v_lshlrev_b64_e32 v[0:1], v0, v[54:55]
	v_lshlrev_b32_e32 v1, 24, v54
	s_delay_alu instid0(VALU_DEP_1) | instskip(NEXT) | instid1(VALU_DEP_3)
	v_and_b32_e32 v1, 0x80000000, v1
	v_lshlrev_b32_e32 v0, 20, v0
	s_delay_alu instid0(VALU_DEP_1) | instskip(NEXT) | instid1(VALU_DEP_1)
	v_and_b32_e32 v0, 0x700000, v0
	v_or3_b32 v0, v0, v1, v2
.LBB6_14513:                            ;   in Loop: Header=BB6_13467 Depth=2
	s_or_b32 exec_lo, exec_lo, s28
.LBB6_14514:                            ;   in Loop: Header=BB6_13467 Depth=2
	s_delay_alu instid0(SALU_CYCLE_1)
	s_or_b32 exec_lo, exec_lo, s27
.LBB6_14515:                            ;   in Loop: Header=BB6_13467 Depth=2
	s_delay_alu instid0(SALU_CYCLE_1) | instskip(NEXT) | instid1(VALU_DEP_1)
	s_or_b32 exec_lo, exec_lo, s10
	v_dual_mul_f32 v1, s26, v0 :: v_dual_mov_b32 v3, v55
                                        ; implicit-def: $vgpr110
	s_mov_b32 s10, exec_lo
	s_delay_alu instid0(VALU_DEP_1) | instskip(SKIP_1) | instid1(VALU_DEP_2)
	v_and_b32_e32 v2, 0x7f800000, v1
	v_lshrrev_b32_e32 v0, 24, v1
	v_cmpx_ne_u64_e32 0x7f800000, v[2:3]
	s_xor_b32 s27, exec_lo, s10
	s_cbranch_execz .LBB6_14529
; %bb.14516:                            ;   in Loop: Header=BB6_13467 Depth=2
	v_and_b32_e32 v2, 0x7fffffff, v1
	v_mov_b32_e32 v3, v55
	v_and_b32_e32 v0, 0x80, v0
                                        ; implicit-def: $vgpr110
	s_mov_b32 s10, exec_lo
	s_delay_alu instid0(VALU_DEP_2)
	v_cmpx_gt_u64_e32 0x43e00001, v[2:3]
	s_xor_b32 s28, exec_lo, s10
	s_cbranch_execz .LBB6_14526
; %bb.14517:                            ;   in Loop: Header=BB6_13467 Depth=2
	v_mov_b32_e32 v110, 0
	s_mov_b32 s29, exec_lo
	v_cmpx_ne_u32_e32 0, v1
	s_cbranch_execz .LBB6_14525
; %bb.14518:                            ;   in Loop: Header=BB6_13467 Depth=2
	v_bfe_u32 v2, v1, 23, 8
	v_and_b32_e32 v1, 0x7fffff, v1
	s_mov_b32 s40, exec_lo
	v_mov_b32_e32 v7, v55
	s_delay_alu instid0(VALU_DEP_3) | instskip(NEXT) | instid1(VALU_DEP_3)
	v_cmp_gt_u32_e32 vcc_lo, 0x7a, v2
	v_or_b32_e32 v6, 0x800000, v1
	v_sub_nc_u32_e32 v3, 0x79, v2
	s_delay_alu instid0(VALU_DEP_1) | instskip(SKIP_1) | instid1(VALU_DEP_2)
	v_cndmask_b32_e32 v3, 0, v3, vcc_lo
	v_cmp_eq_u32_e32 vcc_lo, 0, v2
	v_cndmask_b32_e64 v3, v3, 0x78, vcc_lo
	s_delay_alu instid0(VALU_DEP_1) | instskip(SKIP_1) | instid1(VALU_DEP_2)
	v_dual_cndmask_b32 v6, v6, v1, vcc_lo :: v_dual_add_nc_u32 v4, 20, v3
	v_add_nc_u32_e32 v8, 19, v3
	v_lshrrev_b64 v[10:11], v3, v[6:7]
	s_delay_alu instid0(VALU_DEP_3) | instskip(NEXT) | instid1(VALU_DEP_3)
	v_lshlrev_b64_e64 v[4:5], v4, -1
	v_lshlrev_b64_e64 v[8:9], v8, 1
	s_delay_alu instid0(VALU_DEP_3) | instskip(NEXT) | instid1(VALU_DEP_3)
	v_mov_b64_e32 v[16:17], v[10:11]
	v_bfi_b32 v5, v5, 0, 0
	s_delay_alu instid0(VALU_DEP_4) | instskip(NEXT) | instid1(VALU_DEP_1)
	v_bfi_b32 v4, v4, 0, v6
	v_cmpx_eq_u64_e64 v[4:5], v[8:9]
; %bb.14519:                            ;   in Loop: Header=BB6_13467 Depth=2
	v_bfe_u32 v4, v10, 20, 1
	v_mov_b32_e32 v5, v55
	s_delay_alu instid0(VALU_DEP_1) | instskip(NEXT) | instid1(VALU_DEP_1)
	v_add_nc_u64_e32 v[4:5], v[10:11], v[4:5]
	v_add_nc_u64_e32 v[16:17], -1, v[4:5]
; %bb.14520:                            ;   in Loop: Header=BB6_13467 Depth=2
	s_or_b32 exec_lo, exec_lo, s40
	v_add_nc_u32_e32 v1, 0xffffff81, v2
	v_lshrrev_b32_e32 v2, 23, v10
	s_mov_b32 s10, exec_lo
	v_mov_b32_e32 v11, v55
	s_delay_alu instid0(VALU_DEP_3) | instskip(NEXT) | instid1(VALU_DEP_1)
	v_cndmask_b32_e64 v1, v1, 0xffffff82, vcc_lo
	v_add3_u32 v2, v3, v1, v2
	v_and_b32_e32 v1, 0xfffff, v16
	s_delay_alu instid0(VALU_DEP_2) | instskip(NEXT) | instid1(VALU_DEP_2)
	v_add_nc_u32_e32 v3, 6, v2
	v_add_nc_u32_e32 v10, v1, v10
                                        ; implicit-def: $vgpr1
	s_delay_alu instid0(VALU_DEP_2)
	v_cmpx_ne_u32_e32 0, v3
	s_xor_b32 s10, exec_lo, s10
; %bb.14521:                            ;   in Loop: Header=BB6_13467 Depth=2
	s_delay_alu instid0(VALU_DEP_2) | instskip(SKIP_2) | instid1(VALU_DEP_2)
	v_cmp_lt_u64_e32 vcc_lo, 0xffffff, v[10:11]
	v_add_nc_u32_e32 v1, 7, v2
	v_cndmask_b32_e64 v2, 0, 1, vcc_lo
	v_cndmask_b32_e32 v1, v3, v1, vcc_lo
	s_delay_alu instid0(VALU_DEP_2)
	v_lshrrev_b64 v[10:11], v2, v[10:11]
; %bb.14522:                            ;   in Loop: Header=BB6_13467 Depth=2
	s_and_not1_saveexec_b32 s10, s10
; %bb.14523:                            ;   in Loop: Header=BB6_13467 Depth=2
	s_delay_alu instid0(VALU_DEP_1)
	v_bfe_u32 v1, v10, 23, 1
; %bb.14524:                            ;   in Loop: Header=BB6_13467 Depth=2
	s_or_b32 exec_lo, exec_lo, s10
	s_delay_alu instid0(VALU_DEP_2) | instskip(NEXT) | instid1(VALU_DEP_2)
	v_lshrrev_b64 v[2:3], 20, v[10:11]
	v_cmp_gt_i32_e32 vcc_lo, 16, v1
	v_min_i32_e32 v4, 15, v1
	v_cmp_eq_u32_e64 s10, 0, v1
	s_delay_alu instid0(VALU_DEP_2) | instskip(SKIP_1) | instid1(VALU_DEP_2)
	v_dual_cndmask_b32 v3, 0, v3 :: v_dual_lshlrev_b32 v4, 3, v4
	v_cndmask_b32_e32 v2, 7, v2, vcc_lo
	v_and_b32_e32 v4, 0xf8, v4
	s_delay_alu instid0(VALU_DEP_2) | instskip(NEXT) | instid1(VALU_DEP_2)
	v_cmp_eq_u64_e32 vcc_lo, 0, v[2:3]
	v_and_or_b32 v1, v2, 7, v4
	s_and_b32 s10, s10, vcc_lo
	s_delay_alu instid0(VALU_DEP_1) | instid1(SALU_CYCLE_1)
	v_cndmask_b32_e64 v1, v1, 0, s10
	s_delay_alu instid0(VALU_DEP_1)
	v_or_b32_e32 v110, v1, v0
.LBB6_14525:                            ;   in Loop: Header=BB6_13467 Depth=2
	s_or_b32 exec_lo, exec_lo, s29
                                        ; implicit-def: $vgpr0
.LBB6_14526:                            ;   in Loop: Header=BB6_13467 Depth=2
	s_and_not1_saveexec_b32 s10, s28
; %bb.14527:                            ;   in Loop: Header=BB6_13467 Depth=2
	v_or_b32_e32 v110, 0x7e, v0
; %bb.14528:                            ;   in Loop: Header=BB6_13467 Depth=2
	s_or_b32 exec_lo, exec_lo, s10
                                        ; implicit-def: $vgpr0
.LBB6_14529:                            ;   in Loop: Header=BB6_13467 Depth=2
	s_and_not1_saveexec_b32 s10, s27
; %bb.14530:                            ;   in Loop: Header=BB6_13467 Depth=2
	v_or_b32_e32 v110, 0x7f, v0
; %bb.14531:                            ;   in Loop: Header=BB6_13467 Depth=2
	s_or_b32 exec_lo, exec_lo, s10
	v_lshrrev_b16 v1, 8, v54
	v_mov_b32_e32 v0, 0
	s_mov_b32 s10, exec_lo
	s_delay_alu instid0(VALU_DEP_2)
	v_cmpx_ne_u16_e32 0, v1
	s_cbranch_execz .LBB6_14539
; %bb.14532:                            ;   in Loop: Header=BB6_13467 Depth=2
	v_bfrev_b32_e32 v0, 1
	s_mov_b32 s27, exec_lo
	v_cmpx_ne_u16_e32 0x80, v1
	s_cbranch_execz .LBB6_14538
; %bb.14533:                            ;   in Loop: Header=BB6_13467 Depth=2
	v_and_b32_e32 v2, 0xffff, v1
	v_mov_b32_e32 v0, 0x7f800001
	s_mov_b32 s28, exec_lo
	s_delay_alu instid0(VALU_DEP_2) | instskip(NEXT) | instid1(VALU_DEP_1)
	v_and_b32_e32 v1, 0x7f, v2
	v_cmpx_ne_u32_e32 0x7f, v1
	s_cbranch_execz .LBB6_14537
; %bb.14534:                            ;   in Loop: Header=BB6_13467 Depth=2
	v_dual_mov_b32 v11, v55 :: v_dual_bitop2_b32 v10, 7, v2 bitop3:0x40
	v_lshrrev_b32_e32 v0, 3, v1
	s_mov_b32 s29, exec_lo
	v_cmpx_gt_u32_e32 8, v1
; %bb.14535:                            ;   in Loop: Header=BB6_13467 Depth=2
	s_delay_alu instid0(VALU_DEP_3) | instskip(NEXT) | instid1(VALU_DEP_1)
	v_clz_i32_u32_e32 v0, v10
	v_min_u32_e32 v0, 32, v0
	s_delay_alu instid0(VALU_DEP_1) | instskip(NEXT) | instid1(VALU_DEP_1)
	v_subrev_nc_u32_e32 v1, 28, v0
	v_lshlrev_b64_e32 v[2:3], v1, v[10:11]
	s_delay_alu instid0(VALU_DEP_1)
	v_dual_sub_nc_u32 v0, 29, v0 :: v_dual_bitop2_b32 v10, 7, v2 bitop3:0x40
; %bb.14536:                            ;   in Loop: Header=BB6_13467 Depth=2
	s_or_b32 exec_lo, exec_lo, s29
	v_lshlrev_b32_e32 v1, 16, v54
	s_delay_alu instid0(VALU_DEP_2) | instskip(NEXT) | instid1(VALU_DEP_3)
	v_lshlrev_b32_e32 v2, 20, v10
	v_lshl_add_u32 v0, v0, 23, 0x3c000000
	s_delay_alu instid0(VALU_DEP_3) | instskip(NEXT) | instid1(VALU_DEP_1)
	v_and_b32_e32 v1, 0x80000000, v1
	v_or3_b32 v0, v2, v1, v0
.LBB6_14537:                            ;   in Loop: Header=BB6_13467 Depth=2
	s_or_b32 exec_lo, exec_lo, s28
.LBB6_14538:                            ;   in Loop: Header=BB6_13467 Depth=2
	s_delay_alu instid0(SALU_CYCLE_1)
	s_or_b32 exec_lo, exec_lo, s27
.LBB6_14539:                            ;   in Loop: Header=BB6_13467 Depth=2
	s_delay_alu instid0(SALU_CYCLE_1) | instskip(NEXT) | instid1(VALU_DEP_1)
	s_or_b32 exec_lo, exec_lo, s10
	v_mul_f32_e32 v1, s26, v0
                                        ; implicit-def: $vgpr111
	s_mov_b32 s10, exec_lo
	s_delay_alu instid0(VALU_DEP_1) | instskip(SKIP_1) | instid1(VALU_DEP_2)
	v_and_b32_e32 v54, 0x7f800000, v1
	v_lshrrev_b32_e32 v0, 24, v1
	v_cmpx_ne_u64_e32 0x7f800000, v[54:55]
	s_xor_b32 s27, exec_lo, s10
	s_cbranch_execz .LBB6_14553
; %bb.14540:                            ;   in Loop: Header=BB6_13467 Depth=2
	v_and_b32_e32 v54, 0x7fffffff, v1
	v_and_b32_e32 v0, 0x80, v0
                                        ; implicit-def: $vgpr111
	s_mov_b32 s10, exec_lo
	s_delay_alu instid0(VALU_DEP_2)
	v_cmpx_gt_u64_e32 0x43e00001, v[54:55]
	s_xor_b32 s28, exec_lo, s10
	s_cbranch_execz .LBB6_14550
; %bb.14541:                            ;   in Loop: Header=BB6_13467 Depth=2
	v_mov_b32_e32 v111, 0
	s_mov_b32 s29, exec_lo
	v_cmpx_ne_u32_e32 0, v1
	s_cbranch_execz .LBB6_14549
; %bb.14542:                            ;   in Loop: Header=BB6_13467 Depth=2
	v_bfe_u32 v2, v1, 23, 8
	v_and_b32_e32 v1, 0x7fffff, v1
	s_mov_b32 s40, exec_lo
	s_delay_alu instid0(VALU_DEP_2) | instskip(NEXT) | instid1(VALU_DEP_2)
	v_cmp_gt_u32_e32 vcc_lo, 0x7a, v2
	v_or_b32_e32 v6, 0x800000, v1
	v_sub_nc_u32_e32 v3, 0x79, v2
	s_delay_alu instid0(VALU_DEP_1) | instskip(SKIP_1) | instid1(VALU_DEP_2)
	v_cndmask_b32_e32 v3, 0, v3, vcc_lo
	v_cmp_eq_u32_e32 vcc_lo, 0, v2
	v_cndmask_b32_e64 v3, v3, 0x78, vcc_lo
	s_delay_alu instid0(VALU_DEP_1) | instskip(SKIP_1) | instid1(VALU_DEP_2)
	v_dual_cndmask_b32 v54, v6, v1, vcc_lo :: v_dual_add_nc_u32 v4, 20, v3
	v_add_nc_u32_e32 v7, 19, v3
	v_lshrrev_b64 v[10:11], v3, v[54:55]
	s_delay_alu instid0(VALU_DEP_3) | instskip(NEXT) | instid1(VALU_DEP_3)
	v_lshlrev_b64_e64 v[4:5], v4, -1
	v_lshlrev_b64_e64 v[6:7], v7, 1
	s_delay_alu instid0(VALU_DEP_3) | instskip(NEXT) | instid1(VALU_DEP_3)
	v_mov_b64_e32 v[16:17], v[10:11]
	v_bfi_b32 v5, v5, 0, 0
	s_delay_alu instid0(VALU_DEP_4) | instskip(NEXT) | instid1(VALU_DEP_1)
	v_bfi_b32 v4, v4, 0, v54
	v_cmpx_eq_u64_e64 v[4:5], v[6:7]
; %bb.14543:                            ;   in Loop: Header=BB6_13467 Depth=2
	v_bfe_u32 v54, v10, 20, 1
	s_delay_alu instid0(VALU_DEP_1) | instskip(NEXT) | instid1(VALU_DEP_1)
	v_add_nc_u64_e32 v[4:5], v[10:11], v[54:55]
	v_add_nc_u64_e32 v[16:17], -1, v[4:5]
; %bb.14544:                            ;   in Loop: Header=BB6_13467 Depth=2
	s_or_b32 exec_lo, exec_lo, s40
	v_add_nc_u32_e32 v1, 0xffffff81, v2
	v_lshrrev_b32_e32 v2, 23, v10
	s_mov_b32 s10, exec_lo
	s_delay_alu instid0(VALU_DEP_2) | instskip(NEXT) | instid1(VALU_DEP_1)
	v_cndmask_b32_e64 v1, v1, 0xffffff82, vcc_lo
	v_add3_u32 v2, v3, v1, v2
	v_and_b32_e32 v1, 0xfffff, v16
	s_delay_alu instid0(VALU_DEP_2) | instskip(NEXT) | instid1(VALU_DEP_2)
	v_add_nc_u32_e32 v3, 6, v2
	v_add_nc_u32_e32 v54, v1, v10
                                        ; implicit-def: $vgpr10_vgpr11
                                        ; implicit-def: $vgpr1
	s_delay_alu instid0(VALU_DEP_2)
	v_cmpx_ne_u32_e32 0, v3
	s_xor_b32 s10, exec_lo, s10
; %bb.14545:                            ;   in Loop: Header=BB6_13467 Depth=2
	s_delay_alu instid0(VALU_DEP_2) | instskip(SKIP_2) | instid1(VALU_DEP_2)
	v_cmp_lt_u64_e32 vcc_lo, 0xffffff, v[54:55]
	v_add_nc_u32_e32 v1, 7, v2
	v_cndmask_b32_e64 v2, 0, 1, vcc_lo
	v_cndmask_b32_e32 v1, v3, v1, vcc_lo
	s_delay_alu instid0(VALU_DEP_2)
	v_lshrrev_b64 v[10:11], v2, v[54:55]
; %bb.14546:                            ;   in Loop: Header=BB6_13467 Depth=2
	s_and_not1_saveexec_b32 s10, s10
; %bb.14547:                            ;   in Loop: Header=BB6_13467 Depth=2
	v_mov_b64_e32 v[10:11], v[54:55]
	v_bfe_u32 v1, v54, 23, 1
; %bb.14548:                            ;   in Loop: Header=BB6_13467 Depth=2
	s_or_b32 exec_lo, exec_lo, s10
	s_delay_alu instid0(VALU_DEP_2) | instskip(NEXT) | instid1(VALU_DEP_2)
	v_lshrrev_b64 v[2:3], 20, v[10:11]
	v_cmp_gt_i32_e32 vcc_lo, 16, v1
	v_min_i32_e32 v4, 15, v1
	v_cmp_eq_u32_e64 s10, 0, v1
	s_delay_alu instid0(VALU_DEP_2) | instskip(SKIP_1) | instid1(VALU_DEP_2)
	v_dual_cndmask_b32 v3, 0, v3 :: v_dual_lshlrev_b32 v4, 3, v4
	v_cndmask_b32_e32 v2, 7, v2, vcc_lo
	v_and_b32_e32 v4, 0xf8, v4
	s_delay_alu instid0(VALU_DEP_2) | instskip(NEXT) | instid1(VALU_DEP_2)
	v_cmp_eq_u64_e32 vcc_lo, 0, v[2:3]
	v_and_or_b32 v1, v2, 7, v4
	s_and_b32 s10, s10, vcc_lo
	s_delay_alu instid0(VALU_DEP_1) | instid1(SALU_CYCLE_1)
	v_cndmask_b32_e64 v1, v1, 0, s10
	s_delay_alu instid0(VALU_DEP_1)
	v_or_b32_e32 v111, v1, v0
.LBB6_14549:                            ;   in Loop: Header=BB6_13467 Depth=2
	s_or_b32 exec_lo, exec_lo, s29
                                        ; implicit-def: $vgpr0
.LBB6_14550:                            ;   in Loop: Header=BB6_13467 Depth=2
	s_and_not1_saveexec_b32 s10, s28
; %bb.14551:                            ;   in Loop: Header=BB6_13467 Depth=2
	v_or_b32_e32 v111, 0x7e, v0
; %bb.14552:                            ;   in Loop: Header=BB6_13467 Depth=2
	s_or_b32 exec_lo, exec_lo, s10
                                        ; implicit-def: $vgpr0
.LBB6_14553:                            ;   in Loop: Header=BB6_13467 Depth=2
	s_and_not1_saveexec_b32 s10, s27
; %bb.14554:                            ;   in Loop: Header=BB6_13467 Depth=2
	v_or_b32_e32 v111, 0x7f, v0
; %bb.14555:                            ;   in Loop: Header=BB6_13467 Depth=2
	s_or_b32 exec_lo, exec_lo, s10
	v_dual_mov_b32 v1, 0 :: v_dual_lshrrev_b32 v0, 16, v13
	s_mov_b32 s10, exec_lo
	s_delay_alu instid0(VALU_DEP_1) | instskip(NEXT) | instid1(VALU_DEP_1)
	v_and_b32_e32 v2, 0xff, v0
	v_cmpx_ne_u16_e32 0, v2
	s_cbranch_execz .LBB6_14563
; %bb.14556:                            ;   in Loop: Header=BB6_13467 Depth=2
	v_bfrev_b32_e32 v1, 1
	s_mov_b32 s27, exec_lo
	v_cmpx_ne_u16_e32 0x80, v2
	s_cbranch_execz .LBB6_14562
; %bb.14557:                            ;   in Loop: Header=BB6_13467 Depth=2
	v_bfe_u32 v2, v13, 16, 7
	v_mov_b32_e32 v1, 0x7f800001
	s_mov_b32 s28, exec_lo
	s_delay_alu instid0(VALU_DEP_2)
	v_cmpx_ne_u32_e32 0x7f, v2
	s_cbranch_execz .LBB6_14561
; %bb.14558:                            ;   in Loop: Header=BB6_13467 Depth=2
	v_dual_lshrrev_b32 v1, 3, v2 :: v_dual_bitop2_b32 v54, 7, v0 bitop3:0x40
	s_mov_b32 s29, exec_lo
	v_cmpx_gt_u32_e32 8, v2
; %bb.14559:                            ;   in Loop: Header=BB6_13467 Depth=2
	s_delay_alu instid0(VALU_DEP_2) | instskip(NEXT) | instid1(VALU_DEP_1)
	v_clz_i32_u32_e32 v1, v54
	v_min_u32_e32 v1, 32, v1
	s_delay_alu instid0(VALU_DEP_1) | instskip(NEXT) | instid1(VALU_DEP_1)
	v_subrev_nc_u32_e32 v2, 28, v1
	v_lshlrev_b64_e32 v[2:3], v2, v[54:55]
	s_delay_alu instid0(VALU_DEP_1)
	v_dual_sub_nc_u32 v1, 29, v1 :: v_dual_bitop2_b32 v54, 7, v2 bitop3:0x40
; %bb.14560:                            ;   in Loop: Header=BB6_13467 Depth=2
	s_or_b32 exec_lo, exec_lo, s29
	s_delay_alu instid0(VALU_DEP_1) | instskip(NEXT) | instid1(VALU_DEP_2)
	v_dual_lshlrev_b32 v0, 24, v0 :: v_dual_lshlrev_b32 v2, 20, v54
	v_lshl_add_u32 v1, v1, 23, 0x3c000000
	s_delay_alu instid0(VALU_DEP_2) | instskip(NEXT) | instid1(VALU_DEP_1)
	v_and_b32_e32 v0, 0x80000000, v0
	v_or3_b32 v1, v2, v0, v1
.LBB6_14561:                            ;   in Loop: Header=BB6_13467 Depth=2
	s_or_b32 exec_lo, exec_lo, s28
.LBB6_14562:                            ;   in Loop: Header=BB6_13467 Depth=2
	s_delay_alu instid0(SALU_CYCLE_1)
	s_or_b32 exec_lo, exec_lo, s27
.LBB6_14563:                            ;   in Loop: Header=BB6_13467 Depth=2
	s_delay_alu instid0(SALU_CYCLE_1) | instskip(NEXT) | instid1(VALU_DEP_1)
	s_or_b32 exec_lo, exec_lo, s10
	v_mul_f32_e32 v1, s26, v1
                                        ; implicit-def: $vgpr120
	s_mov_b32 s10, exec_lo
	s_delay_alu instid0(VALU_DEP_1) | instskip(SKIP_1) | instid1(VALU_DEP_2)
	v_and_b32_e32 v54, 0x7f800000, v1
	v_lshrrev_b32_e32 v0, 24, v1
	v_cmpx_ne_u64_e32 0x7f800000, v[54:55]
	s_xor_b32 s27, exec_lo, s10
	s_cbranch_execz .LBB6_14577
; %bb.14564:                            ;   in Loop: Header=BB6_13467 Depth=2
	v_and_b32_e32 v54, 0x7fffffff, v1
	v_and_b32_e32 v0, 0x80, v0
                                        ; implicit-def: $vgpr120
	s_mov_b32 s10, exec_lo
	s_delay_alu instid0(VALU_DEP_2)
	v_cmpx_gt_u64_e32 0x43e00001, v[54:55]
	s_xor_b32 s28, exec_lo, s10
	s_cbranch_execz .LBB6_14574
; %bb.14565:                            ;   in Loop: Header=BB6_13467 Depth=2
	v_mov_b32_e32 v120, 0
	s_mov_b32 s29, exec_lo
	v_cmpx_ne_u32_e32 0, v1
	s_cbranch_execz .LBB6_14573
; %bb.14566:                            ;   in Loop: Header=BB6_13467 Depth=2
	v_bfe_u32 v2, v1, 23, 8
	v_and_b32_e32 v1, 0x7fffff, v1
	s_mov_b32 s40, exec_lo
	s_delay_alu instid0(VALU_DEP_2) | instskip(NEXT) | instid1(VALU_DEP_2)
	v_cmp_gt_u32_e32 vcc_lo, 0x7a, v2
	v_or_b32_e32 v6, 0x800000, v1
	v_sub_nc_u32_e32 v3, 0x79, v2
	s_delay_alu instid0(VALU_DEP_1) | instskip(SKIP_1) | instid1(VALU_DEP_2)
	v_cndmask_b32_e32 v3, 0, v3, vcc_lo
	v_cmp_eq_u32_e32 vcc_lo, 0, v2
	v_cndmask_b32_e64 v3, v3, 0x78, vcc_lo
	s_delay_alu instid0(VALU_DEP_1) | instskip(SKIP_1) | instid1(VALU_DEP_2)
	v_dual_cndmask_b32 v54, v6, v1, vcc_lo :: v_dual_add_nc_u32 v4, 20, v3
	v_add_nc_u32_e32 v7, 19, v3
	v_lshrrev_b64 v[10:11], v3, v[54:55]
	s_delay_alu instid0(VALU_DEP_3) | instskip(NEXT) | instid1(VALU_DEP_3)
	v_lshlrev_b64_e64 v[4:5], v4, -1
	v_lshlrev_b64_e64 v[6:7], v7, 1
	s_delay_alu instid0(VALU_DEP_3) | instskip(NEXT) | instid1(VALU_DEP_3)
	v_mov_b64_e32 v[16:17], v[10:11]
	v_bfi_b32 v5, v5, 0, 0
	s_delay_alu instid0(VALU_DEP_4) | instskip(NEXT) | instid1(VALU_DEP_1)
	v_bfi_b32 v4, v4, 0, v54
	v_cmpx_eq_u64_e64 v[4:5], v[6:7]
; %bb.14567:                            ;   in Loop: Header=BB6_13467 Depth=2
	v_bfe_u32 v54, v10, 20, 1
	s_delay_alu instid0(VALU_DEP_1) | instskip(NEXT) | instid1(VALU_DEP_1)
	v_add_nc_u64_e32 v[4:5], v[10:11], v[54:55]
	v_add_nc_u64_e32 v[16:17], -1, v[4:5]
; %bb.14568:                            ;   in Loop: Header=BB6_13467 Depth=2
	s_or_b32 exec_lo, exec_lo, s40
	v_add_nc_u32_e32 v1, 0xffffff81, v2
	v_lshrrev_b32_e32 v2, 23, v10
	s_mov_b32 s10, exec_lo
	s_delay_alu instid0(VALU_DEP_2) | instskip(NEXT) | instid1(VALU_DEP_1)
	v_cndmask_b32_e64 v1, v1, 0xffffff82, vcc_lo
	v_add3_u32 v2, v3, v1, v2
	v_and_b32_e32 v1, 0xfffff, v16
	s_delay_alu instid0(VALU_DEP_2) | instskip(NEXT) | instid1(VALU_DEP_2)
	v_add_nc_u32_e32 v3, 6, v2
	v_add_nc_u32_e32 v54, v1, v10
                                        ; implicit-def: $vgpr10_vgpr11
                                        ; implicit-def: $vgpr1
	s_delay_alu instid0(VALU_DEP_2)
	v_cmpx_ne_u32_e32 0, v3
	s_xor_b32 s10, exec_lo, s10
; %bb.14569:                            ;   in Loop: Header=BB6_13467 Depth=2
	s_delay_alu instid0(VALU_DEP_2) | instskip(SKIP_2) | instid1(VALU_DEP_2)
	v_cmp_lt_u64_e32 vcc_lo, 0xffffff, v[54:55]
	v_add_nc_u32_e32 v1, 7, v2
	v_cndmask_b32_e64 v2, 0, 1, vcc_lo
	v_cndmask_b32_e32 v1, v3, v1, vcc_lo
	s_delay_alu instid0(VALU_DEP_2)
	v_lshrrev_b64 v[10:11], v2, v[54:55]
; %bb.14570:                            ;   in Loop: Header=BB6_13467 Depth=2
	s_and_not1_saveexec_b32 s10, s10
; %bb.14571:                            ;   in Loop: Header=BB6_13467 Depth=2
	v_mov_b64_e32 v[10:11], v[54:55]
	v_bfe_u32 v1, v54, 23, 1
; %bb.14572:                            ;   in Loop: Header=BB6_13467 Depth=2
	s_or_b32 exec_lo, exec_lo, s10
	s_delay_alu instid0(VALU_DEP_2) | instskip(NEXT) | instid1(VALU_DEP_2)
	v_lshrrev_b64 v[2:3], 20, v[10:11]
	v_cmp_gt_i32_e32 vcc_lo, 16, v1
	v_min_i32_e32 v4, 15, v1
	v_cmp_eq_u32_e64 s10, 0, v1
	s_delay_alu instid0(VALU_DEP_2) | instskip(SKIP_1) | instid1(VALU_DEP_2)
	v_dual_cndmask_b32 v3, 0, v3 :: v_dual_lshlrev_b32 v4, 3, v4
	v_cndmask_b32_e32 v2, 7, v2, vcc_lo
	v_and_b32_e32 v4, 0xf8, v4
	s_delay_alu instid0(VALU_DEP_2) | instskip(NEXT) | instid1(VALU_DEP_2)
	v_cmp_eq_u64_e32 vcc_lo, 0, v[2:3]
	v_and_or_b32 v1, v2, 7, v4
	s_and_b32 s10, s10, vcc_lo
	s_delay_alu instid0(VALU_DEP_1) | instid1(SALU_CYCLE_1)
	v_cndmask_b32_e64 v1, v1, 0, s10
	s_delay_alu instid0(VALU_DEP_1)
	v_or_b32_e32 v120, v1, v0
.LBB6_14573:                            ;   in Loop: Header=BB6_13467 Depth=2
	s_or_b32 exec_lo, exec_lo, s29
                                        ; implicit-def: $vgpr0
.LBB6_14574:                            ;   in Loop: Header=BB6_13467 Depth=2
	s_and_not1_saveexec_b32 s10, s28
; %bb.14575:                            ;   in Loop: Header=BB6_13467 Depth=2
	v_or_b32_e32 v120, 0x7e, v0
; %bb.14576:                            ;   in Loop: Header=BB6_13467 Depth=2
	s_or_b32 exec_lo, exec_lo, s10
                                        ; implicit-def: $vgpr0
.LBB6_14577:                            ;   in Loop: Header=BB6_13467 Depth=2
	s_and_not1_saveexec_b32 s10, s27
; %bb.14578:                            ;   in Loop: Header=BB6_13467 Depth=2
	v_or_b32_e32 v120, 0x7f, v0
; %bb.14579:                            ;   in Loop: Header=BB6_13467 Depth=2
	s_or_b32 exec_lo, exec_lo, s10
	v_mov_b32_e32 v1, 0
	s_mov_b32 s10, exec_lo
	v_cmpx_lt_u64_e64 s[12:13], v[12:13]
	s_cbranch_execz .LBB6_14587
; %bb.14580:                            ;   in Loop: Header=BB6_13467 Depth=2
	v_lshrrev_b32_e32 v0, 24, v13
	v_bfrev_b32_e32 v1, 1
	s_mov_b32 s27, exec_lo
	s_delay_alu instid0(VALU_DEP_2)
	v_cmpx_ne_u32_e32 0x80, v0
	s_cbranch_execz .LBB6_14586
; %bb.14581:                            ;   in Loop: Header=BB6_13467 Depth=2
	v_bfe_u32 v2, v13, 24, 7
	v_mov_b32_e32 v1, 0x7f800001
	s_mov_b32 s28, exec_lo
	s_delay_alu instid0(VALU_DEP_2)
	v_cmpx_ne_u32_e32 0x7f, v2
	s_cbranch_execz .LBB6_14585
; %bb.14582:                            ;   in Loop: Header=BB6_13467 Depth=2
	v_dual_lshrrev_b32 v1, 3, v2 :: v_dual_bitop2_b32 v54, 7, v0 bitop3:0x40
	s_mov_b32 s29, exec_lo
	v_cmpx_gt_u32_e32 8, v2
; %bb.14583:                            ;   in Loop: Header=BB6_13467 Depth=2
	s_delay_alu instid0(VALU_DEP_2) | instskip(NEXT) | instid1(VALU_DEP_1)
	v_clz_i32_u32_e32 v1, v54
	v_min_u32_e32 v1, 32, v1
	s_delay_alu instid0(VALU_DEP_1) | instskip(NEXT) | instid1(VALU_DEP_1)
	v_subrev_nc_u32_e32 v2, 28, v1
	v_lshlrev_b64_e32 v[2:3], v2, v[54:55]
	s_delay_alu instid0(VALU_DEP_1)
	v_dual_sub_nc_u32 v1, 29, v1 :: v_dual_bitop2_b32 v54, 7, v2 bitop3:0x40
; %bb.14584:                            ;   in Loop: Header=BB6_13467 Depth=2
	s_or_b32 exec_lo, exec_lo, s29
	s_delay_alu instid0(VALU_DEP_1) | instskip(NEXT) | instid1(VALU_DEP_2)
	v_dual_lshlrev_b32 v0, 24, v0 :: v_dual_lshlrev_b32 v2, 20, v54
	v_lshl_add_u32 v1, v1, 23, 0x3c000000
	s_delay_alu instid0(VALU_DEP_2) | instskip(NEXT) | instid1(VALU_DEP_1)
	v_and_b32_e32 v0, 0x80000000, v0
	v_or3_b32 v1, v2, v0, v1
.LBB6_14585:                            ;   in Loop: Header=BB6_13467 Depth=2
	s_or_b32 exec_lo, exec_lo, s28
.LBB6_14586:                            ;   in Loop: Header=BB6_13467 Depth=2
	s_delay_alu instid0(SALU_CYCLE_1)
	s_or_b32 exec_lo, exec_lo, s27
.LBB6_14587:                            ;   in Loop: Header=BB6_13467 Depth=2
	s_delay_alu instid0(SALU_CYCLE_1) | instskip(NEXT) | instid1(VALU_DEP_1)
	s_or_b32 exec_lo, exec_lo, s10
	v_mul_f32_e32 v1, s26, v1
                                        ; implicit-def: $vgpr121
	s_mov_b32 s10, exec_lo
	s_delay_alu instid0(VALU_DEP_1) | instskip(SKIP_1) | instid1(VALU_DEP_2)
	v_and_b32_e32 v54, 0x7f800000, v1
	v_lshrrev_b32_e32 v0, 24, v1
	v_cmpx_ne_u64_e32 0x7f800000, v[54:55]
	s_xor_b32 s27, exec_lo, s10
	s_cbranch_execz .LBB6_14601
; %bb.14588:                            ;   in Loop: Header=BB6_13467 Depth=2
	v_and_b32_e32 v54, 0x7fffffff, v1
	v_and_b32_e32 v0, 0x80, v0
                                        ; implicit-def: $vgpr121
	s_mov_b32 s10, exec_lo
	s_delay_alu instid0(VALU_DEP_2)
	v_cmpx_gt_u64_e32 0x43e00001, v[54:55]
	s_xor_b32 s28, exec_lo, s10
	s_cbranch_execz .LBB6_14598
; %bb.14589:                            ;   in Loop: Header=BB6_13467 Depth=2
	v_mov_b32_e32 v121, 0
	s_mov_b32 s29, exec_lo
	v_cmpx_ne_u32_e32 0, v1
	s_cbranch_execz .LBB6_14597
; %bb.14590:                            ;   in Loop: Header=BB6_13467 Depth=2
	v_bfe_u32 v2, v1, 23, 8
	v_and_b32_e32 v1, 0x7fffff, v1
	s_mov_b32 s40, exec_lo
	s_delay_alu instid0(VALU_DEP_2) | instskip(NEXT) | instid1(VALU_DEP_2)
	v_cmp_gt_u32_e32 vcc_lo, 0x7a, v2
	v_or_b32_e32 v6, 0x800000, v1
	v_sub_nc_u32_e32 v3, 0x79, v2
	s_delay_alu instid0(VALU_DEP_1) | instskip(SKIP_1) | instid1(VALU_DEP_2)
	v_cndmask_b32_e32 v3, 0, v3, vcc_lo
	v_cmp_eq_u32_e32 vcc_lo, 0, v2
	v_cndmask_b32_e64 v3, v3, 0x78, vcc_lo
	s_delay_alu instid0(VALU_DEP_1) | instskip(SKIP_1) | instid1(VALU_DEP_2)
	v_dual_cndmask_b32 v54, v6, v1, vcc_lo :: v_dual_add_nc_u32 v4, 20, v3
	v_add_nc_u32_e32 v7, 19, v3
	v_lshrrev_b64 v[10:11], v3, v[54:55]
	s_delay_alu instid0(VALU_DEP_3) | instskip(NEXT) | instid1(VALU_DEP_3)
	v_lshlrev_b64_e64 v[4:5], v4, -1
	v_lshlrev_b64_e64 v[6:7], v7, 1
	s_delay_alu instid0(VALU_DEP_3) | instskip(NEXT) | instid1(VALU_DEP_3)
	v_mov_b64_e32 v[12:13], v[10:11]
	v_bfi_b32 v5, v5, 0, 0
	s_delay_alu instid0(VALU_DEP_4) | instskip(NEXT) | instid1(VALU_DEP_1)
	v_bfi_b32 v4, v4, 0, v54
	v_cmpx_eq_u64_e64 v[4:5], v[6:7]
; %bb.14591:                            ;   in Loop: Header=BB6_13467 Depth=2
	v_bfe_u32 v54, v10, 20, 1
	s_delay_alu instid0(VALU_DEP_1) | instskip(NEXT) | instid1(VALU_DEP_1)
	v_add_nc_u64_e32 v[4:5], v[10:11], v[54:55]
	v_add_nc_u64_e32 v[12:13], -1, v[4:5]
; %bb.14592:                            ;   in Loop: Header=BB6_13467 Depth=2
	s_or_b32 exec_lo, exec_lo, s40
	v_add_nc_u32_e32 v1, 0xffffff81, v2
	v_lshrrev_b32_e32 v2, 23, v10
	s_mov_b32 s10, exec_lo
	s_delay_alu instid0(VALU_DEP_2) | instskip(NEXT) | instid1(VALU_DEP_1)
	v_cndmask_b32_e64 v1, v1, 0xffffff82, vcc_lo
	v_add3_u32 v2, v3, v1, v2
	v_and_b32_e32 v1, 0xfffff, v12
	s_delay_alu instid0(VALU_DEP_2) | instskip(NEXT) | instid1(VALU_DEP_2)
	v_add_nc_u32_e32 v3, 6, v2
	v_add_nc_u32_e32 v54, v1, v10
                                        ; implicit-def: $vgpr10_vgpr11
                                        ; implicit-def: $vgpr1
	s_delay_alu instid0(VALU_DEP_2)
	v_cmpx_ne_u32_e32 0, v3
	s_xor_b32 s10, exec_lo, s10
; %bb.14593:                            ;   in Loop: Header=BB6_13467 Depth=2
	s_delay_alu instid0(VALU_DEP_2) | instskip(SKIP_2) | instid1(VALU_DEP_2)
	v_cmp_lt_u64_e32 vcc_lo, 0xffffff, v[54:55]
	v_add_nc_u32_e32 v1, 7, v2
	v_cndmask_b32_e64 v2, 0, 1, vcc_lo
	v_cndmask_b32_e32 v1, v3, v1, vcc_lo
	s_delay_alu instid0(VALU_DEP_2)
	v_lshrrev_b64 v[10:11], v2, v[54:55]
; %bb.14594:                            ;   in Loop: Header=BB6_13467 Depth=2
	s_and_not1_saveexec_b32 s10, s10
; %bb.14595:                            ;   in Loop: Header=BB6_13467 Depth=2
	v_mov_b64_e32 v[10:11], v[54:55]
	v_bfe_u32 v1, v54, 23, 1
; %bb.14596:                            ;   in Loop: Header=BB6_13467 Depth=2
	s_or_b32 exec_lo, exec_lo, s10
	s_delay_alu instid0(VALU_DEP_2) | instskip(NEXT) | instid1(VALU_DEP_2)
	v_lshrrev_b64 v[2:3], 20, v[10:11]
	v_cmp_gt_i32_e32 vcc_lo, 16, v1
	v_min_i32_e32 v4, 15, v1
	v_cmp_eq_u32_e64 s10, 0, v1
	s_delay_alu instid0(VALU_DEP_2) | instskip(SKIP_1) | instid1(VALU_DEP_2)
	v_dual_cndmask_b32 v3, 0, v3 :: v_dual_lshlrev_b32 v4, 3, v4
	v_cndmask_b32_e32 v2, 7, v2, vcc_lo
	v_and_b32_e32 v4, 0xf8, v4
	s_delay_alu instid0(VALU_DEP_2) | instskip(NEXT) | instid1(VALU_DEP_2)
	v_cmp_eq_u64_e32 vcc_lo, 0, v[2:3]
	v_and_or_b32 v1, v2, 7, v4
	s_and_b32 s10, s10, vcc_lo
	s_delay_alu instid0(VALU_DEP_1) | instid1(SALU_CYCLE_1)
	v_cndmask_b32_e64 v1, v1, 0, s10
	s_delay_alu instid0(VALU_DEP_1)
	v_or_b32_e32 v121, v1, v0
.LBB6_14597:                            ;   in Loop: Header=BB6_13467 Depth=2
	s_or_b32 exec_lo, exec_lo, s29
                                        ; implicit-def: $vgpr0
.LBB6_14598:                            ;   in Loop: Header=BB6_13467 Depth=2
	s_and_not1_saveexec_b32 s10, s28
; %bb.14599:                            ;   in Loop: Header=BB6_13467 Depth=2
	v_or_b32_e32 v121, 0x7e, v0
; %bb.14600:                            ;   in Loop: Header=BB6_13467 Depth=2
	s_or_b32 exec_lo, exec_lo, s10
                                        ; implicit-def: $vgpr0
.LBB6_14601:                            ;   in Loop: Header=BB6_13467 Depth=2
	s_and_not1_saveexec_b32 s10, s27
; %bb.14602:                            ;   in Loop: Header=BB6_13467 Depth=2
	v_or_b32_e32 v121, 0x7f, v0
; %bb.14603:                            ;   in Loop: Header=BB6_13467 Depth=2
	s_or_b32 exec_lo, exec_lo, s10
	global_load_b128 v[10:13], v[14:15], off offset:1536 th:TH_LOAD_NT
	v_mov_b32_e32 v0, 0
	s_mov_b32 s10, exec_lo
	s_wait_loadcnt 0x0
	v_and_b32_e32 v1, 0xff, v10
	s_wait_xcnt 0x0
	s_delay_alu instid0(VALU_DEP_1)
	v_cmpx_ne_u16_e32 0, v1
	s_cbranch_execz .LBB6_14609
; %bb.14604:                            ;   in Loop: Header=BB6_13467 Depth=2
	v_bfrev_b32_e32 v0, 1
	s_mov_b32 s27, exec_lo
	v_cmpx_ne_u16_e32 0x80, v1
	s_cbranch_execz .LBB6_14608
; %bb.14605:                            ;   in Loop: Header=BB6_13467 Depth=2
	v_and_b32_e32 v1, 0x7f, v10
	v_mov_b32_e32 v0, 0x7f800001
	s_mov_b32 s28, exec_lo
	s_delay_alu instid0(VALU_DEP_2)
	v_cmpx_ne_u32_e32 0x7f, v1
	s_cbranch_execz .LBB6_14607
; %bb.14606:                            ;   in Loop: Header=BB6_13467 Depth=2
	v_dual_lshrrev_b32 v2, 3, v1 :: v_dual_bitop2_b32 v0, 7, v10 bitop3:0x40
	v_cmp_gt_u32_e32 vcc_lo, 8, v1
	s_delay_alu instid0(VALU_DEP_2) | instskip(NEXT) | instid1(VALU_DEP_1)
	v_clz_i32_u32_e32 v0, v0
	v_min_u32_e32 v0, 32, v0
	s_delay_alu instid0(VALU_DEP_1) | instskip(SKIP_1) | instid1(VALU_DEP_1)
	v_subrev_nc_u32_e32 v3, 28, v0
	v_sub_nc_u32_e32 v0, 29, v0
	v_dual_cndmask_b32 v2, v2, v0, vcc_lo :: v_dual_cndmask_b32 v0, 0, v3, vcc_lo
	s_delay_alu instid0(VALU_DEP_1) | instskip(NEXT) | instid1(VALU_DEP_2)
	v_lshl_add_u32 v2, v2, 23, 0x3c000000
	v_lshlrev_b64_e32 v[0:1], v0, v[10:11]
	v_lshlrev_b32_e32 v1, 24, v10
	s_delay_alu instid0(VALU_DEP_1) | instskip(NEXT) | instid1(VALU_DEP_3)
	v_and_b32_e32 v1, 0x80000000, v1
	v_lshlrev_b32_e32 v0, 20, v0
	s_delay_alu instid0(VALU_DEP_1) | instskip(NEXT) | instid1(VALU_DEP_1)
	v_and_b32_e32 v0, 0x700000, v0
	v_or3_b32 v0, v0, v1, v2
.LBB6_14607:                            ;   in Loop: Header=BB6_13467 Depth=2
	s_or_b32 exec_lo, exec_lo, s28
.LBB6_14608:                            ;   in Loop: Header=BB6_13467 Depth=2
	s_delay_alu instid0(SALU_CYCLE_1)
	s_or_b32 exec_lo, exec_lo, s27
.LBB6_14609:                            ;   in Loop: Header=BB6_13467 Depth=2
	s_delay_alu instid0(SALU_CYCLE_1) | instskip(NEXT) | instid1(VALU_DEP_1)
	s_or_b32 exec_lo, exec_lo, s10
	v_mul_f32_e32 v1, s26, v0
                                        ; implicit-def: $vgpr122
	s_mov_b32 s10, exec_lo
	s_delay_alu instid0(VALU_DEP_1) | instskip(SKIP_1) | instid1(VALU_DEP_2)
	v_and_b32_e32 v54, 0x7f800000, v1
	v_lshrrev_b32_e32 v0, 24, v1
	v_cmpx_ne_u64_e32 0x7f800000, v[54:55]
	s_xor_b32 s27, exec_lo, s10
	s_cbranch_execz .LBB6_14623
; %bb.14610:                            ;   in Loop: Header=BB6_13467 Depth=2
	v_and_b32_e32 v54, 0x7fffffff, v1
	v_and_b32_e32 v0, 0x80, v0
                                        ; implicit-def: $vgpr122
	s_mov_b32 s10, exec_lo
	s_delay_alu instid0(VALU_DEP_2)
	v_cmpx_gt_u64_e32 0x43e00001, v[54:55]
	s_xor_b32 s28, exec_lo, s10
	s_cbranch_execz .LBB6_14620
; %bb.14611:                            ;   in Loop: Header=BB6_13467 Depth=2
	v_mov_b32_e32 v122, 0
	s_mov_b32 s29, exec_lo
	v_cmpx_ne_u32_e32 0, v1
	s_cbranch_execz .LBB6_14619
; %bb.14612:                            ;   in Loop: Header=BB6_13467 Depth=2
	v_bfe_u32 v2, v1, 23, 8
	v_and_b32_e32 v1, 0x7fffff, v1
	s_mov_b32 s40, exec_lo
	s_delay_alu instid0(VALU_DEP_2) | instskip(NEXT) | instid1(VALU_DEP_2)
	v_cmp_gt_u32_e32 vcc_lo, 0x7a, v2
	v_or_b32_e32 v6, 0x800000, v1
	v_sub_nc_u32_e32 v3, 0x79, v2
	s_delay_alu instid0(VALU_DEP_1) | instskip(SKIP_1) | instid1(VALU_DEP_2)
	v_cndmask_b32_e32 v3, 0, v3, vcc_lo
	v_cmp_eq_u32_e32 vcc_lo, 0, v2
	v_cndmask_b32_e64 v3, v3, 0x78, vcc_lo
	s_delay_alu instid0(VALU_DEP_1) | instskip(SKIP_1) | instid1(VALU_DEP_2)
	v_dual_cndmask_b32 v54, v6, v1, vcc_lo :: v_dual_add_nc_u32 v4, 20, v3
	v_add_nc_u32_e32 v7, 19, v3
	v_lshrrev_b64 v[16:17], v3, v[54:55]
	s_delay_alu instid0(VALU_DEP_3) | instskip(NEXT) | instid1(VALU_DEP_3)
	v_lshlrev_b64_e64 v[4:5], v4, -1
	v_lshlrev_b64_e64 v[6:7], v7, 1
	s_delay_alu instid0(VALU_DEP_3) | instskip(NEXT) | instid1(VALU_DEP_3)
	v_mov_b64_e32 v[18:19], v[16:17]
	v_bfi_b32 v5, v5, 0, 0
	s_delay_alu instid0(VALU_DEP_4) | instskip(NEXT) | instid1(VALU_DEP_1)
	v_bfi_b32 v4, v4, 0, v54
	v_cmpx_eq_u64_e64 v[4:5], v[6:7]
; %bb.14613:                            ;   in Loop: Header=BB6_13467 Depth=2
	v_bfe_u32 v54, v16, 20, 1
	s_delay_alu instid0(VALU_DEP_1) | instskip(NEXT) | instid1(VALU_DEP_1)
	v_add_nc_u64_e32 v[4:5], v[16:17], v[54:55]
	v_add_nc_u64_e32 v[18:19], -1, v[4:5]
; %bb.14614:                            ;   in Loop: Header=BB6_13467 Depth=2
	s_or_b32 exec_lo, exec_lo, s40
	v_add_nc_u32_e32 v1, 0xffffff81, v2
	v_lshrrev_b32_e32 v2, 23, v16
	s_mov_b32 s10, exec_lo
	s_delay_alu instid0(VALU_DEP_2) | instskip(NEXT) | instid1(VALU_DEP_1)
	v_cndmask_b32_e64 v1, v1, 0xffffff82, vcc_lo
	v_add3_u32 v2, v3, v1, v2
	v_and_b32_e32 v1, 0xfffff, v18
	s_delay_alu instid0(VALU_DEP_1) | instskip(NEXT) | instid1(VALU_DEP_1)
	v_dual_add_nc_u32 v3, 6, v2 :: v_dual_add_nc_u32 v54, v1, v16
                                        ; implicit-def: $vgpr16_vgpr17
                                        ; implicit-def: $vgpr1
	v_cmpx_ne_u32_e32 0, v3
	s_xor_b32 s10, exec_lo, s10
; %bb.14615:                            ;   in Loop: Header=BB6_13467 Depth=2
	s_delay_alu instid0(VALU_DEP_2) | instskip(SKIP_2) | instid1(VALU_DEP_2)
	v_cmp_lt_u64_e32 vcc_lo, 0xffffff, v[54:55]
	v_add_nc_u32_e32 v1, 7, v2
	v_cndmask_b32_e64 v2, 0, 1, vcc_lo
	v_cndmask_b32_e32 v1, v3, v1, vcc_lo
	s_delay_alu instid0(VALU_DEP_2)
	v_lshrrev_b64 v[16:17], v2, v[54:55]
; %bb.14616:                            ;   in Loop: Header=BB6_13467 Depth=2
	s_and_not1_saveexec_b32 s10, s10
; %bb.14617:                            ;   in Loop: Header=BB6_13467 Depth=2
	v_mov_b64_e32 v[16:17], v[54:55]
	v_bfe_u32 v1, v54, 23, 1
; %bb.14618:                            ;   in Loop: Header=BB6_13467 Depth=2
	s_or_b32 exec_lo, exec_lo, s10
	s_delay_alu instid0(VALU_DEP_2) | instskip(NEXT) | instid1(VALU_DEP_2)
	v_lshrrev_b64 v[2:3], 20, v[16:17]
	v_cmp_gt_i32_e32 vcc_lo, 16, v1
	v_min_i32_e32 v4, 15, v1
	v_cmp_eq_u32_e64 s10, 0, v1
	s_delay_alu instid0(VALU_DEP_2) | instskip(SKIP_1) | instid1(VALU_DEP_2)
	v_dual_cndmask_b32 v3, 0, v3 :: v_dual_lshlrev_b32 v4, 3, v4
	v_cndmask_b32_e32 v2, 7, v2, vcc_lo
	v_and_b32_e32 v4, 0xf8, v4
	s_delay_alu instid0(VALU_DEP_2) | instskip(NEXT) | instid1(VALU_DEP_2)
	v_cmp_eq_u64_e32 vcc_lo, 0, v[2:3]
	v_and_or_b32 v1, v2, 7, v4
	s_and_b32 s10, s10, vcc_lo
	s_delay_alu instid0(VALU_DEP_1) | instid1(SALU_CYCLE_1)
	v_cndmask_b32_e64 v1, v1, 0, s10
	s_delay_alu instid0(VALU_DEP_1)
	v_or_b32_e32 v122, v1, v0
.LBB6_14619:                            ;   in Loop: Header=BB6_13467 Depth=2
	s_or_b32 exec_lo, exec_lo, s29
                                        ; implicit-def: $vgpr0
.LBB6_14620:                            ;   in Loop: Header=BB6_13467 Depth=2
	s_and_not1_saveexec_b32 s10, s28
; %bb.14621:                            ;   in Loop: Header=BB6_13467 Depth=2
	v_or_b32_e32 v122, 0x7e, v0
; %bb.14622:                            ;   in Loop: Header=BB6_13467 Depth=2
	s_or_b32 exec_lo, exec_lo, s10
                                        ; implicit-def: $vgpr0
.LBB6_14623:                            ;   in Loop: Header=BB6_13467 Depth=2
	s_and_not1_saveexec_b32 s10, s27
; %bb.14624:                            ;   in Loop: Header=BB6_13467 Depth=2
	v_or_b32_e32 v122, 0x7f, v0
; %bb.14625:                            ;   in Loop: Header=BB6_13467 Depth=2
	s_or_b32 exec_lo, exec_lo, s10
	v_lshrrev_b16 v1, 8, v10
	v_mov_b32_e32 v0, 0
	s_mov_b32 s10, exec_lo
	s_delay_alu instid0(VALU_DEP_2)
	v_cmpx_ne_u16_e32 0, v1
	s_cbranch_execz .LBB6_14633
; %bb.14626:                            ;   in Loop: Header=BB6_13467 Depth=2
	v_bfrev_b32_e32 v0, 1
	s_mov_b32 s27, exec_lo
	v_cmpx_ne_u16_e32 0x80, v1
	s_cbranch_execz .LBB6_14632
; %bb.14627:                            ;   in Loop: Header=BB6_13467 Depth=2
	v_and_b32_e32 v2, 0xffff, v1
	v_mov_b32_e32 v0, 0x7f800001
	s_mov_b32 s28, exec_lo
	s_delay_alu instid0(VALU_DEP_2) | instskip(NEXT) | instid1(VALU_DEP_1)
	v_and_b32_e32 v1, 0x7f, v2
	v_cmpx_ne_u32_e32 0x7f, v1
	s_cbranch_execz .LBB6_14631
; %bb.14628:                            ;   in Loop: Header=BB6_13467 Depth=2
	v_dual_lshrrev_b32 v0, 3, v1 :: v_dual_bitop2_b32 v54, 7, v2 bitop3:0x40
	s_mov_b32 s29, exec_lo
	v_cmpx_gt_u32_e32 8, v1
; %bb.14629:                            ;   in Loop: Header=BB6_13467 Depth=2
	s_delay_alu instid0(VALU_DEP_2) | instskip(NEXT) | instid1(VALU_DEP_1)
	v_clz_i32_u32_e32 v0, v54
	v_min_u32_e32 v0, 32, v0
	s_delay_alu instid0(VALU_DEP_1) | instskip(NEXT) | instid1(VALU_DEP_1)
	v_subrev_nc_u32_e32 v1, 28, v0
	v_lshlrev_b64_e32 v[2:3], v1, v[54:55]
	s_delay_alu instid0(VALU_DEP_1)
	v_dual_sub_nc_u32 v0, 29, v0 :: v_dual_bitop2_b32 v54, 7, v2 bitop3:0x40
; %bb.14630:                            ;   in Loop: Header=BB6_13467 Depth=2
	s_or_b32 exec_lo, exec_lo, s29
	v_lshlrev_b32_e32 v1, 16, v10
	s_delay_alu instid0(VALU_DEP_2) | instskip(NEXT) | instid1(VALU_DEP_3)
	v_lshlrev_b32_e32 v2, 20, v54
	v_lshl_add_u32 v0, v0, 23, 0x3c000000
	s_delay_alu instid0(VALU_DEP_3) | instskip(NEXT) | instid1(VALU_DEP_1)
	v_and_b32_e32 v1, 0x80000000, v1
	v_or3_b32 v0, v2, v1, v0
.LBB6_14631:                            ;   in Loop: Header=BB6_13467 Depth=2
	s_or_b32 exec_lo, exec_lo, s28
.LBB6_14632:                            ;   in Loop: Header=BB6_13467 Depth=2
	s_delay_alu instid0(SALU_CYCLE_1)
	s_or_b32 exec_lo, exec_lo, s27
.LBB6_14633:                            ;   in Loop: Header=BB6_13467 Depth=2
	s_delay_alu instid0(SALU_CYCLE_1) | instskip(NEXT) | instid1(VALU_DEP_1)
	s_or_b32 exec_lo, exec_lo, s10
	v_mul_f32_e32 v1, s26, v0
                                        ; implicit-def: $vgpr123
	s_mov_b32 s10, exec_lo
	s_delay_alu instid0(VALU_DEP_1) | instskip(SKIP_1) | instid1(VALU_DEP_2)
	v_and_b32_e32 v54, 0x7f800000, v1
	v_lshrrev_b32_e32 v0, 24, v1
	v_cmpx_ne_u64_e32 0x7f800000, v[54:55]
	s_xor_b32 s27, exec_lo, s10
	s_cbranch_execz .LBB6_14647
; %bb.14634:                            ;   in Loop: Header=BB6_13467 Depth=2
	v_and_b32_e32 v54, 0x7fffffff, v1
	v_and_b32_e32 v0, 0x80, v0
                                        ; implicit-def: $vgpr123
	s_mov_b32 s10, exec_lo
	s_delay_alu instid0(VALU_DEP_2)
	v_cmpx_gt_u64_e32 0x43e00001, v[54:55]
	s_xor_b32 s28, exec_lo, s10
	s_cbranch_execz .LBB6_14644
; %bb.14635:                            ;   in Loop: Header=BB6_13467 Depth=2
	v_mov_b32_e32 v123, 0
	s_mov_b32 s29, exec_lo
	v_cmpx_ne_u32_e32 0, v1
	s_cbranch_execz .LBB6_14643
; %bb.14636:                            ;   in Loop: Header=BB6_13467 Depth=2
	v_bfe_u32 v2, v1, 23, 8
	v_and_b32_e32 v1, 0x7fffff, v1
	s_mov_b32 s40, exec_lo
	s_delay_alu instid0(VALU_DEP_2) | instskip(NEXT) | instid1(VALU_DEP_2)
	v_cmp_gt_u32_e32 vcc_lo, 0x7a, v2
	v_or_b32_e32 v6, 0x800000, v1
	v_sub_nc_u32_e32 v3, 0x79, v2
	s_delay_alu instid0(VALU_DEP_1) | instskip(SKIP_1) | instid1(VALU_DEP_2)
	v_cndmask_b32_e32 v3, 0, v3, vcc_lo
	v_cmp_eq_u32_e32 vcc_lo, 0, v2
	v_cndmask_b32_e64 v3, v3, 0x78, vcc_lo
	s_delay_alu instid0(VALU_DEP_1) | instskip(SKIP_1) | instid1(VALU_DEP_2)
	v_dual_cndmask_b32 v54, v6, v1, vcc_lo :: v_dual_add_nc_u32 v4, 20, v3
	v_add_nc_u32_e32 v7, 19, v3
	v_lshrrev_b64 v[16:17], v3, v[54:55]
	s_delay_alu instid0(VALU_DEP_3) | instskip(NEXT) | instid1(VALU_DEP_3)
	v_lshlrev_b64_e64 v[4:5], v4, -1
	v_lshlrev_b64_e64 v[6:7], v7, 1
	s_delay_alu instid0(VALU_DEP_3) | instskip(NEXT) | instid1(VALU_DEP_3)
	v_mov_b64_e32 v[18:19], v[16:17]
	v_bfi_b32 v5, v5, 0, 0
	s_delay_alu instid0(VALU_DEP_4) | instskip(NEXT) | instid1(VALU_DEP_1)
	v_bfi_b32 v4, v4, 0, v54
	v_cmpx_eq_u64_e64 v[4:5], v[6:7]
; %bb.14637:                            ;   in Loop: Header=BB6_13467 Depth=2
	v_bfe_u32 v54, v16, 20, 1
	s_delay_alu instid0(VALU_DEP_1) | instskip(NEXT) | instid1(VALU_DEP_1)
	v_add_nc_u64_e32 v[4:5], v[16:17], v[54:55]
	v_add_nc_u64_e32 v[18:19], -1, v[4:5]
; %bb.14638:                            ;   in Loop: Header=BB6_13467 Depth=2
	s_or_b32 exec_lo, exec_lo, s40
	v_add_nc_u32_e32 v1, 0xffffff81, v2
	v_lshrrev_b32_e32 v2, 23, v16
	s_mov_b32 s10, exec_lo
	s_delay_alu instid0(VALU_DEP_2) | instskip(NEXT) | instid1(VALU_DEP_1)
	v_cndmask_b32_e64 v1, v1, 0xffffff82, vcc_lo
	v_add3_u32 v2, v3, v1, v2
	v_and_b32_e32 v1, 0xfffff, v18
	s_delay_alu instid0(VALU_DEP_1) | instskip(NEXT) | instid1(VALU_DEP_1)
	v_dual_add_nc_u32 v3, 6, v2 :: v_dual_add_nc_u32 v54, v1, v16
                                        ; implicit-def: $vgpr16_vgpr17
                                        ; implicit-def: $vgpr1
	v_cmpx_ne_u32_e32 0, v3
	s_xor_b32 s10, exec_lo, s10
; %bb.14639:                            ;   in Loop: Header=BB6_13467 Depth=2
	s_delay_alu instid0(VALU_DEP_2) | instskip(SKIP_2) | instid1(VALU_DEP_2)
	v_cmp_lt_u64_e32 vcc_lo, 0xffffff, v[54:55]
	v_add_nc_u32_e32 v1, 7, v2
	v_cndmask_b32_e64 v2, 0, 1, vcc_lo
	v_cndmask_b32_e32 v1, v3, v1, vcc_lo
	s_delay_alu instid0(VALU_DEP_2)
	v_lshrrev_b64 v[16:17], v2, v[54:55]
; %bb.14640:                            ;   in Loop: Header=BB6_13467 Depth=2
	s_and_not1_saveexec_b32 s10, s10
; %bb.14641:                            ;   in Loop: Header=BB6_13467 Depth=2
	v_mov_b64_e32 v[16:17], v[54:55]
	v_bfe_u32 v1, v54, 23, 1
; %bb.14642:                            ;   in Loop: Header=BB6_13467 Depth=2
	s_or_b32 exec_lo, exec_lo, s10
	s_delay_alu instid0(VALU_DEP_2) | instskip(NEXT) | instid1(VALU_DEP_2)
	v_lshrrev_b64 v[2:3], 20, v[16:17]
	v_cmp_gt_i32_e32 vcc_lo, 16, v1
	v_min_i32_e32 v4, 15, v1
	v_cmp_eq_u32_e64 s10, 0, v1
	s_delay_alu instid0(VALU_DEP_2) | instskip(SKIP_1) | instid1(VALU_DEP_2)
	v_dual_cndmask_b32 v3, 0, v3 :: v_dual_lshlrev_b32 v4, 3, v4
	v_cndmask_b32_e32 v2, 7, v2, vcc_lo
	v_and_b32_e32 v4, 0xf8, v4
	s_delay_alu instid0(VALU_DEP_2) | instskip(NEXT) | instid1(VALU_DEP_2)
	v_cmp_eq_u64_e32 vcc_lo, 0, v[2:3]
	v_and_or_b32 v1, v2, 7, v4
	s_and_b32 s10, s10, vcc_lo
	s_delay_alu instid0(VALU_DEP_1) | instid1(SALU_CYCLE_1)
	v_cndmask_b32_e64 v1, v1, 0, s10
	s_delay_alu instid0(VALU_DEP_1)
	v_or_b32_e32 v123, v1, v0
.LBB6_14643:                            ;   in Loop: Header=BB6_13467 Depth=2
	s_or_b32 exec_lo, exec_lo, s29
                                        ; implicit-def: $vgpr0
.LBB6_14644:                            ;   in Loop: Header=BB6_13467 Depth=2
	s_and_not1_saveexec_b32 s10, s28
; %bb.14645:                            ;   in Loop: Header=BB6_13467 Depth=2
	v_or_b32_e32 v123, 0x7e, v0
; %bb.14646:                            ;   in Loop: Header=BB6_13467 Depth=2
	s_or_b32 exec_lo, exec_lo, s10
                                        ; implicit-def: $vgpr0
.LBB6_14647:                            ;   in Loop: Header=BB6_13467 Depth=2
	s_and_not1_saveexec_b32 s10, s27
; %bb.14648:                            ;   in Loop: Header=BB6_13467 Depth=2
	v_or_b32_e32 v123, 0x7f, v0
; %bb.14649:                            ;   in Loop: Header=BB6_13467 Depth=2
	s_or_b32 exec_lo, exec_lo, s10
	v_dual_mov_b32 v1, 0 :: v_dual_lshrrev_b32 v0, 16, v10
	s_mov_b32 s10, exec_lo
	s_delay_alu instid0(VALU_DEP_1) | instskip(NEXT) | instid1(VALU_DEP_1)
	v_and_b32_e32 v2, 0xff, v0
	v_cmpx_ne_u16_e32 0, v2
	s_cbranch_execz .LBB6_14657
; %bb.14650:                            ;   in Loop: Header=BB6_13467 Depth=2
	v_bfrev_b32_e32 v1, 1
	s_mov_b32 s27, exec_lo
	v_cmpx_ne_u16_e32 0x80, v2
	s_cbranch_execz .LBB6_14656
; %bb.14651:                            ;   in Loop: Header=BB6_13467 Depth=2
	v_bfe_u32 v2, v10, 16, 7
	v_mov_b32_e32 v1, 0x7f800001
	s_mov_b32 s28, exec_lo
	s_delay_alu instid0(VALU_DEP_2)
	v_cmpx_ne_u32_e32 0x7f, v2
	s_cbranch_execz .LBB6_14655
; %bb.14652:                            ;   in Loop: Header=BB6_13467 Depth=2
	v_dual_lshrrev_b32 v1, 3, v2 :: v_dual_bitop2_b32 v54, 7, v0 bitop3:0x40
	s_mov_b32 s29, exec_lo
	v_cmpx_gt_u32_e32 8, v2
; %bb.14653:                            ;   in Loop: Header=BB6_13467 Depth=2
	s_delay_alu instid0(VALU_DEP_2) | instskip(NEXT) | instid1(VALU_DEP_1)
	v_clz_i32_u32_e32 v1, v54
	v_min_u32_e32 v1, 32, v1
	s_delay_alu instid0(VALU_DEP_1) | instskip(NEXT) | instid1(VALU_DEP_1)
	v_subrev_nc_u32_e32 v2, 28, v1
	v_lshlrev_b64_e32 v[2:3], v2, v[54:55]
	s_delay_alu instid0(VALU_DEP_1)
	v_dual_sub_nc_u32 v1, 29, v1 :: v_dual_bitop2_b32 v54, 7, v2 bitop3:0x40
; %bb.14654:                            ;   in Loop: Header=BB6_13467 Depth=2
	s_or_b32 exec_lo, exec_lo, s29
	s_delay_alu instid0(VALU_DEP_1) | instskip(NEXT) | instid1(VALU_DEP_2)
	v_dual_lshlrev_b32 v0, 24, v0 :: v_dual_lshlrev_b32 v2, 20, v54
	v_lshl_add_u32 v1, v1, 23, 0x3c000000
	s_delay_alu instid0(VALU_DEP_2) | instskip(NEXT) | instid1(VALU_DEP_1)
	v_and_b32_e32 v0, 0x80000000, v0
	v_or3_b32 v1, v2, v0, v1
.LBB6_14655:                            ;   in Loop: Header=BB6_13467 Depth=2
	s_or_b32 exec_lo, exec_lo, s28
.LBB6_14656:                            ;   in Loop: Header=BB6_13467 Depth=2
	s_delay_alu instid0(SALU_CYCLE_1)
	s_or_b32 exec_lo, exec_lo, s27
.LBB6_14657:                            ;   in Loop: Header=BB6_13467 Depth=2
	s_delay_alu instid0(SALU_CYCLE_1) | instskip(NEXT) | instid1(VALU_DEP_1)
	s_or_b32 exec_lo, exec_lo, s10
	v_mul_f32_e32 v1, s26, v1
                                        ; implicit-def: $vgpr124
	s_mov_b32 s10, exec_lo
	s_delay_alu instid0(VALU_DEP_1) | instskip(SKIP_1) | instid1(VALU_DEP_2)
	v_and_b32_e32 v54, 0x7f800000, v1
	v_lshrrev_b32_e32 v0, 24, v1
	v_cmpx_ne_u64_e32 0x7f800000, v[54:55]
	s_xor_b32 s27, exec_lo, s10
	s_cbranch_execz .LBB6_14671
; %bb.14658:                            ;   in Loop: Header=BB6_13467 Depth=2
	v_and_b32_e32 v54, 0x7fffffff, v1
	v_and_b32_e32 v0, 0x80, v0
                                        ; implicit-def: $vgpr124
	s_mov_b32 s10, exec_lo
	s_delay_alu instid0(VALU_DEP_2)
	v_cmpx_gt_u64_e32 0x43e00001, v[54:55]
	s_xor_b32 s28, exec_lo, s10
	s_cbranch_execz .LBB6_14668
; %bb.14659:                            ;   in Loop: Header=BB6_13467 Depth=2
	v_mov_b32_e32 v124, 0
	s_mov_b32 s29, exec_lo
	v_cmpx_ne_u32_e32 0, v1
	s_cbranch_execz .LBB6_14667
; %bb.14660:                            ;   in Loop: Header=BB6_13467 Depth=2
	v_and_b32_e32 v3, 0x7fffff, v1
	v_bfe_u32 v1, v1, 23, 8
	s_mov_b32 s40, exec_lo
	s_delay_alu instid0(VALU_DEP_2) | instskip(NEXT) | instid1(VALU_DEP_2)
	v_or_b32_e32 v4, 0x800000, v3
	v_cmp_gt_u32_e64 s10, 0x7a, v1
	v_sub_nc_u32_e32 v2, 0x79, v1
	v_cmp_eq_u32_e32 vcc_lo, 0, v1
	s_delay_alu instid0(VALU_DEP_2) | instskip(NEXT) | instid1(VALU_DEP_1)
	v_dual_cndmask_b32 v2, 0, v2, s10 :: v_dual_cndmask_b32 v54, v4, v3, vcc_lo
	v_cndmask_b32_e64 v2, v2, 0x78, vcc_lo
	s_delay_alu instid0(VALU_DEP_1) | instskip(NEXT) | instid1(VALU_DEP_3)
	v_add_nc_u32_e32 v3, 20, v2
	v_lshrrev_b64 v[16:17], v2, v[54:55]
	s_delay_alu instid0(VALU_DEP_2) | instskip(SKIP_1) | instid1(VALU_DEP_3)
	v_lshlrev_b64_e64 v[4:5], v3, -1
	v_add_nc_u32_e32 v3, 19, v2
	v_mov_b64_e32 v[18:19], v[16:17]
	s_delay_alu instid0(VALU_DEP_2) | instskip(NEXT) | instid1(VALU_DEP_4)
	v_lshlrev_b64_e64 v[6:7], v3, 1
	v_bfi_b32 v5, v5, 0, 0
	v_bfi_b32 v4, v4, 0, v54
	s_delay_alu instid0(VALU_DEP_1)
	v_cmpx_eq_u64_e64 v[4:5], v[6:7]
; %bb.14661:                            ;   in Loop: Header=BB6_13467 Depth=2
	v_bfe_u32 v54, v16, 20, 1
	s_delay_alu instid0(VALU_DEP_1) | instskip(NEXT) | instid1(VALU_DEP_1)
	v_add_nc_u64_e32 v[4:5], v[16:17], v[54:55]
	v_add_nc_u64_e32 v[18:19], -1, v[4:5]
; %bb.14662:                            ;   in Loop: Header=BB6_13467 Depth=2
	s_or_b32 exec_lo, exec_lo, s40
	v_add_nc_u32_e32 v1, 0xffffff81, v1
	v_lshrrev_b32_e32 v3, 23, v16
	s_mov_b32 s10, exec_lo
	s_delay_alu instid0(VALU_DEP_2) | instskip(NEXT) | instid1(VALU_DEP_1)
	v_cndmask_b32_e64 v1, v1, 0xffffff82, vcc_lo
	v_add3_u32 v2, v2, v1, v3
	v_and_b32_e32 v1, 0xfffff, v18
	s_delay_alu instid0(VALU_DEP_1) | instskip(NEXT) | instid1(VALU_DEP_1)
	v_dual_add_nc_u32 v3, 6, v2 :: v_dual_add_nc_u32 v54, v1, v16
                                        ; implicit-def: $vgpr16_vgpr17
                                        ; implicit-def: $vgpr1
	v_cmpx_ne_u32_e32 0, v3
	s_xor_b32 s10, exec_lo, s10
; %bb.14663:                            ;   in Loop: Header=BB6_13467 Depth=2
	s_delay_alu instid0(VALU_DEP_2) | instskip(SKIP_2) | instid1(VALU_DEP_2)
	v_cmp_lt_u64_e32 vcc_lo, 0xffffff, v[54:55]
	v_add_nc_u32_e32 v1, 7, v2
	v_cndmask_b32_e64 v2, 0, 1, vcc_lo
	v_cndmask_b32_e32 v1, v3, v1, vcc_lo
	s_delay_alu instid0(VALU_DEP_2)
	v_lshrrev_b64 v[16:17], v2, v[54:55]
; %bb.14664:                            ;   in Loop: Header=BB6_13467 Depth=2
	s_and_not1_saveexec_b32 s10, s10
; %bb.14665:                            ;   in Loop: Header=BB6_13467 Depth=2
	v_mov_b64_e32 v[16:17], v[54:55]
	v_bfe_u32 v1, v54, 23, 1
; %bb.14666:                            ;   in Loop: Header=BB6_13467 Depth=2
	s_or_b32 exec_lo, exec_lo, s10
	s_delay_alu instid0(VALU_DEP_2) | instskip(NEXT) | instid1(VALU_DEP_2)
	v_lshrrev_b64 v[2:3], 20, v[16:17]
	v_cmp_gt_i32_e32 vcc_lo, 16, v1
	v_min_i32_e32 v4, 15, v1
	v_cmp_eq_u32_e64 s10, 0, v1
	s_delay_alu instid0(VALU_DEP_2) | instskip(SKIP_1) | instid1(VALU_DEP_2)
	v_dual_cndmask_b32 v3, 0, v3 :: v_dual_lshlrev_b32 v4, 3, v4
	v_cndmask_b32_e32 v2, 7, v2, vcc_lo
	v_and_b32_e32 v4, 0xf8, v4
	s_delay_alu instid0(VALU_DEP_2) | instskip(NEXT) | instid1(VALU_DEP_2)
	v_cmp_eq_u64_e32 vcc_lo, 0, v[2:3]
	v_and_or_b32 v1, v2, 7, v4
	s_and_b32 s10, s10, vcc_lo
	s_delay_alu instid0(VALU_DEP_1) | instid1(SALU_CYCLE_1)
	v_cndmask_b32_e64 v1, v1, 0, s10
	s_delay_alu instid0(VALU_DEP_1)
	v_or_b32_e32 v124, v1, v0
.LBB6_14667:                            ;   in Loop: Header=BB6_13467 Depth=2
	s_or_b32 exec_lo, exec_lo, s29
                                        ; implicit-def: $vgpr0
.LBB6_14668:                            ;   in Loop: Header=BB6_13467 Depth=2
	s_and_not1_saveexec_b32 s10, s28
; %bb.14669:                            ;   in Loop: Header=BB6_13467 Depth=2
	v_or_b32_e32 v124, 0x7e, v0
; %bb.14670:                            ;   in Loop: Header=BB6_13467 Depth=2
	s_or_b32 exec_lo, exec_lo, s10
                                        ; implicit-def: $vgpr0
.LBB6_14671:                            ;   in Loop: Header=BB6_13467 Depth=2
	s_and_not1_saveexec_b32 s10, s27
; %bb.14672:                            ;   in Loop: Header=BB6_13467 Depth=2
	v_or_b32_e32 v124, 0x7f, v0
; %bb.14673:                            ;   in Loop: Header=BB6_13467 Depth=2
	s_or_b32 exec_lo, exec_lo, s10
	v_mov_b32_e32 v1, 0
	s_mov_b32 s10, exec_lo
	v_cmpx_lt_u32_e32 0xffffff, v10
	s_cbranch_execz .LBB6_14681
; %bb.14674:                            ;   in Loop: Header=BB6_13467 Depth=2
	v_lshrrev_b32_e32 v0, 24, v10
	v_bfrev_b32_e32 v1, 1
	s_mov_b32 s27, exec_lo
	s_delay_alu instid0(VALU_DEP_2)
	v_cmpx_ne_u32_e32 0x80, v0
	s_cbranch_execz .LBB6_14680
; %bb.14675:                            ;   in Loop: Header=BB6_13467 Depth=2
	v_bfe_u32 v2, v10, 24, 7
	v_mov_b32_e32 v1, 0x7f800001
	s_mov_b32 s28, exec_lo
	s_delay_alu instid0(VALU_DEP_2)
	v_cmpx_ne_u32_e32 0x7f, v2
	s_cbranch_execz .LBB6_14679
; %bb.14676:                            ;   in Loop: Header=BB6_13467 Depth=2
	v_dual_lshrrev_b32 v1, 3, v2 :: v_dual_bitop2_b32 v54, 7, v0 bitop3:0x40
	s_mov_b32 s29, exec_lo
	v_cmpx_gt_u32_e32 8, v2
; %bb.14677:                            ;   in Loop: Header=BB6_13467 Depth=2
	s_delay_alu instid0(VALU_DEP_2) | instskip(NEXT) | instid1(VALU_DEP_1)
	v_clz_i32_u32_e32 v1, v54
	v_min_u32_e32 v1, 32, v1
	s_delay_alu instid0(VALU_DEP_1) | instskip(NEXT) | instid1(VALU_DEP_1)
	v_subrev_nc_u32_e32 v2, 28, v1
	v_lshlrev_b64_e32 v[2:3], v2, v[54:55]
	s_delay_alu instid0(VALU_DEP_1)
	v_dual_sub_nc_u32 v1, 29, v1 :: v_dual_bitop2_b32 v54, 7, v2 bitop3:0x40
; %bb.14678:                            ;   in Loop: Header=BB6_13467 Depth=2
	s_or_b32 exec_lo, exec_lo, s29
	s_delay_alu instid0(VALU_DEP_1) | instskip(NEXT) | instid1(VALU_DEP_2)
	v_dual_lshlrev_b32 v0, 24, v0 :: v_dual_lshlrev_b32 v2, 20, v54
	v_lshl_add_u32 v1, v1, 23, 0x3c000000
	s_delay_alu instid0(VALU_DEP_2) | instskip(NEXT) | instid1(VALU_DEP_1)
	v_and_b32_e32 v0, 0x80000000, v0
	v_or3_b32 v1, v2, v0, v1
.LBB6_14679:                            ;   in Loop: Header=BB6_13467 Depth=2
	s_or_b32 exec_lo, exec_lo, s28
.LBB6_14680:                            ;   in Loop: Header=BB6_13467 Depth=2
	s_delay_alu instid0(SALU_CYCLE_1)
	s_or_b32 exec_lo, exec_lo, s27
.LBB6_14681:                            ;   in Loop: Header=BB6_13467 Depth=2
	s_delay_alu instid0(SALU_CYCLE_1) | instskip(NEXT) | instid1(VALU_DEP_1)
	s_or_b32 exec_lo, exec_lo, s10
	v_mul_f32_e32 v1, s26, v1
                                        ; implicit-def: $vgpr125
	s_mov_b32 s10, exec_lo
	s_delay_alu instid0(VALU_DEP_1) | instskip(SKIP_1) | instid1(VALU_DEP_2)
	v_and_b32_e32 v54, 0x7f800000, v1
	v_lshrrev_b32_e32 v0, 24, v1
	v_cmpx_ne_u64_e32 0x7f800000, v[54:55]
	s_xor_b32 s27, exec_lo, s10
	s_cbranch_execz .LBB6_14695
; %bb.14682:                            ;   in Loop: Header=BB6_13467 Depth=2
	v_and_b32_e32 v54, 0x7fffffff, v1
	v_and_b32_e32 v0, 0x80, v0
                                        ; implicit-def: $vgpr125
	s_mov_b32 s10, exec_lo
	s_delay_alu instid0(VALU_DEP_2)
	v_cmpx_gt_u64_e32 0x43e00001, v[54:55]
	s_xor_b32 s28, exec_lo, s10
	s_cbranch_execz .LBB6_14692
; %bb.14683:                            ;   in Loop: Header=BB6_13467 Depth=2
	v_mov_b32_e32 v125, 0
	s_mov_b32 s29, exec_lo
	v_cmpx_ne_u32_e32 0, v1
	s_cbranch_execz .LBB6_14691
; %bb.14684:                            ;   in Loop: Header=BB6_13467 Depth=2
	v_and_b32_e32 v3, 0x7fffff, v1
	v_bfe_u32 v1, v1, 23, 8
	s_mov_b32 s40, exec_lo
	s_delay_alu instid0(VALU_DEP_2) | instskip(NEXT) | instid1(VALU_DEP_2)
	v_or_b32_e32 v4, 0x800000, v3
	v_cmp_gt_u32_e64 s10, 0x7a, v1
	v_sub_nc_u32_e32 v2, 0x79, v1
	v_cmp_eq_u32_e32 vcc_lo, 0, v1
	s_delay_alu instid0(VALU_DEP_2) | instskip(NEXT) | instid1(VALU_DEP_1)
	v_dual_cndmask_b32 v2, 0, v2, s10 :: v_dual_cndmask_b32 v54, v4, v3, vcc_lo
	v_cndmask_b32_e64 v2, v2, 0x78, vcc_lo
	s_delay_alu instid0(VALU_DEP_1) | instskip(NEXT) | instid1(VALU_DEP_3)
	v_add_nc_u32_e32 v3, 20, v2
	v_lshrrev_b64 v[16:17], v2, v[54:55]
	s_delay_alu instid0(VALU_DEP_2) | instskip(SKIP_1) | instid1(VALU_DEP_3)
	v_lshlrev_b64_e64 v[4:5], v3, -1
	v_add_nc_u32_e32 v3, 19, v2
	v_mov_b64_e32 v[18:19], v[16:17]
	s_delay_alu instid0(VALU_DEP_2) | instskip(NEXT) | instid1(VALU_DEP_4)
	v_lshlrev_b64_e64 v[6:7], v3, 1
	v_bfi_b32 v5, v5, 0, 0
	v_bfi_b32 v4, v4, 0, v54
	s_delay_alu instid0(VALU_DEP_1)
	v_cmpx_eq_u64_e64 v[4:5], v[6:7]
; %bb.14685:                            ;   in Loop: Header=BB6_13467 Depth=2
	v_bfe_u32 v54, v16, 20, 1
	s_delay_alu instid0(VALU_DEP_1) | instskip(NEXT) | instid1(VALU_DEP_1)
	v_add_nc_u64_e32 v[4:5], v[16:17], v[54:55]
	v_add_nc_u64_e32 v[18:19], -1, v[4:5]
; %bb.14686:                            ;   in Loop: Header=BB6_13467 Depth=2
	s_or_b32 exec_lo, exec_lo, s40
	v_add_nc_u32_e32 v1, 0xffffff81, v1
	v_lshrrev_b32_e32 v3, 23, v16
	s_mov_b32 s10, exec_lo
	s_delay_alu instid0(VALU_DEP_2) | instskip(NEXT) | instid1(VALU_DEP_1)
	v_cndmask_b32_e64 v1, v1, 0xffffff82, vcc_lo
	v_add3_u32 v2, v2, v1, v3
	v_and_b32_e32 v1, 0xfffff, v18
	s_delay_alu instid0(VALU_DEP_1) | instskip(NEXT) | instid1(VALU_DEP_1)
	v_dual_add_nc_u32 v3, 6, v2 :: v_dual_add_nc_u32 v54, v1, v16
                                        ; implicit-def: $vgpr16_vgpr17
                                        ; implicit-def: $vgpr1
	v_cmpx_ne_u32_e32 0, v3
	s_xor_b32 s10, exec_lo, s10
; %bb.14687:                            ;   in Loop: Header=BB6_13467 Depth=2
	s_delay_alu instid0(VALU_DEP_2) | instskip(SKIP_2) | instid1(VALU_DEP_2)
	v_cmp_lt_u64_e32 vcc_lo, 0xffffff, v[54:55]
	v_add_nc_u32_e32 v1, 7, v2
	v_cndmask_b32_e64 v2, 0, 1, vcc_lo
	v_cndmask_b32_e32 v1, v3, v1, vcc_lo
	s_delay_alu instid0(VALU_DEP_2)
	v_lshrrev_b64 v[16:17], v2, v[54:55]
; %bb.14688:                            ;   in Loop: Header=BB6_13467 Depth=2
	s_and_not1_saveexec_b32 s10, s10
; %bb.14689:                            ;   in Loop: Header=BB6_13467 Depth=2
	v_mov_b64_e32 v[16:17], v[54:55]
	v_bfe_u32 v1, v54, 23, 1
; %bb.14690:                            ;   in Loop: Header=BB6_13467 Depth=2
	s_or_b32 exec_lo, exec_lo, s10
	s_delay_alu instid0(VALU_DEP_2) | instskip(NEXT) | instid1(VALU_DEP_2)
	v_lshrrev_b64 v[2:3], 20, v[16:17]
	v_cmp_gt_i32_e32 vcc_lo, 16, v1
	v_min_i32_e32 v4, 15, v1
	v_cmp_eq_u32_e64 s10, 0, v1
	s_delay_alu instid0(VALU_DEP_2) | instskip(SKIP_1) | instid1(VALU_DEP_2)
	v_dual_cndmask_b32 v3, 0, v3 :: v_dual_lshlrev_b32 v4, 3, v4
	v_cndmask_b32_e32 v2, 7, v2, vcc_lo
	v_and_b32_e32 v4, 0xf8, v4
	s_delay_alu instid0(VALU_DEP_2) | instskip(NEXT) | instid1(VALU_DEP_2)
	v_cmp_eq_u64_e32 vcc_lo, 0, v[2:3]
	v_and_or_b32 v1, v2, 7, v4
	s_and_b32 s10, s10, vcc_lo
	s_delay_alu instid0(VALU_DEP_1) | instid1(SALU_CYCLE_1)
	v_cndmask_b32_e64 v1, v1, 0, s10
	s_delay_alu instid0(VALU_DEP_1)
	v_or_b32_e32 v125, v1, v0
.LBB6_14691:                            ;   in Loop: Header=BB6_13467 Depth=2
	s_or_b32 exec_lo, exec_lo, s29
                                        ; implicit-def: $vgpr0
.LBB6_14692:                            ;   in Loop: Header=BB6_13467 Depth=2
	s_and_not1_saveexec_b32 s10, s28
; %bb.14693:                            ;   in Loop: Header=BB6_13467 Depth=2
	v_or_b32_e32 v125, 0x7e, v0
; %bb.14694:                            ;   in Loop: Header=BB6_13467 Depth=2
	s_or_b32 exec_lo, exec_lo, s10
                                        ; implicit-def: $vgpr0
.LBB6_14695:                            ;   in Loop: Header=BB6_13467 Depth=2
	s_and_not1_saveexec_b32 s10, s27
; %bb.14696:                            ;   in Loop: Header=BB6_13467 Depth=2
	v_or_b32_e32 v125, 0x7f, v0
; %bb.14697:                            ;   in Loop: Header=BB6_13467 Depth=2
	s_or_b32 exec_lo, exec_lo, s10
	v_and_b32_e32 v1, 0xff, v11
	v_dual_mov_b32 v54, v11 :: v_dual_mov_b32 v0, 0
	s_mov_b32 s10, exec_lo
	s_delay_alu instid0(VALU_DEP_2)
	v_cmpx_ne_u16_e32 0, v1
	s_cbranch_execz .LBB6_14703
; %bb.14698:                            ;   in Loop: Header=BB6_13467 Depth=2
	v_bfrev_b32_e32 v0, 1
	s_mov_b32 s27, exec_lo
	v_cmpx_ne_u16_e32 0x80, v1
	s_cbranch_execz .LBB6_14702
; %bb.14699:                            ;   in Loop: Header=BB6_13467 Depth=2
	v_and_b32_e32 v1, 0x7f, v11
	v_mov_b32_e32 v0, 0x7f800001
	s_mov_b32 s28, exec_lo
	s_delay_alu instid0(VALU_DEP_2)
	v_cmpx_ne_u32_e32 0x7f, v1
	s_cbranch_execz .LBB6_14701
; %bb.14700:                            ;   in Loop: Header=BB6_13467 Depth=2
	v_dual_lshrrev_b32 v2, 3, v1 :: v_dual_bitop2_b32 v0, 7, v11 bitop3:0x40
	v_cmp_gt_u32_e32 vcc_lo, 8, v1
	s_delay_alu instid0(VALU_DEP_2) | instskip(NEXT) | instid1(VALU_DEP_1)
	v_clz_i32_u32_e32 v0, v0
	v_min_u32_e32 v0, 32, v0
	s_delay_alu instid0(VALU_DEP_1) | instskip(SKIP_1) | instid1(VALU_DEP_1)
	v_subrev_nc_u32_e32 v3, 28, v0
	v_sub_nc_u32_e32 v0, 29, v0
	v_dual_cndmask_b32 v2, v2, v0, vcc_lo :: v_dual_cndmask_b32 v0, 0, v3, vcc_lo
	s_delay_alu instid0(VALU_DEP_1) | instskip(NEXT) | instid1(VALU_DEP_2)
	v_lshl_add_u32 v2, v2, 23, 0x3c000000
	v_lshlrev_b64_e32 v[0:1], v0, v[54:55]
	v_lshlrev_b32_e32 v1, 24, v54
	s_delay_alu instid0(VALU_DEP_1) | instskip(NEXT) | instid1(VALU_DEP_3)
	v_and_b32_e32 v1, 0x80000000, v1
	v_lshlrev_b32_e32 v0, 20, v0
	s_delay_alu instid0(VALU_DEP_1) | instskip(NEXT) | instid1(VALU_DEP_1)
	v_and_b32_e32 v0, 0x700000, v0
	v_or3_b32 v0, v0, v1, v2
.LBB6_14701:                            ;   in Loop: Header=BB6_13467 Depth=2
	s_or_b32 exec_lo, exec_lo, s28
.LBB6_14702:                            ;   in Loop: Header=BB6_13467 Depth=2
	s_delay_alu instid0(SALU_CYCLE_1)
	s_or_b32 exec_lo, exec_lo, s27
.LBB6_14703:                            ;   in Loop: Header=BB6_13467 Depth=2
	s_delay_alu instid0(SALU_CYCLE_1) | instskip(NEXT) | instid1(VALU_DEP_1)
	s_or_b32 exec_lo, exec_lo, s10
	v_dual_mul_f32 v1, s26, v0 :: v_dual_mov_b32 v3, v55
                                        ; implicit-def: $vgpr126
	s_mov_b32 s10, exec_lo
	s_delay_alu instid0(VALU_DEP_1) | instskip(SKIP_1) | instid1(VALU_DEP_2)
	v_and_b32_e32 v2, 0x7f800000, v1
	v_lshrrev_b32_e32 v0, 24, v1
	v_cmpx_ne_u64_e32 0x7f800000, v[2:3]
	s_xor_b32 s27, exec_lo, s10
	s_cbranch_execz .LBB6_14717
; %bb.14704:                            ;   in Loop: Header=BB6_13467 Depth=2
	v_and_b32_e32 v2, 0x7fffffff, v1
	v_mov_b32_e32 v3, v55
	v_and_b32_e32 v0, 0x80, v0
                                        ; implicit-def: $vgpr126
	s_mov_b32 s10, exec_lo
	s_delay_alu instid0(VALU_DEP_2)
	v_cmpx_gt_u64_e32 0x43e00001, v[2:3]
	s_xor_b32 s28, exec_lo, s10
	s_cbranch_execz .LBB6_14714
; %bb.14705:                            ;   in Loop: Header=BB6_13467 Depth=2
	v_mov_b32_e32 v126, 0
	s_mov_b32 s29, exec_lo
	v_cmpx_ne_u32_e32 0, v1
	s_cbranch_execz .LBB6_14713
; %bb.14706:                            ;   in Loop: Header=BB6_13467 Depth=2
	v_and_b32_e32 v3, 0x7fffff, v1
	v_bfe_u32 v1, v1, 23, 8
	s_mov_b32 s40, exec_lo
	v_mov_b32_e32 v5, v55
	s_delay_alu instid0(VALU_DEP_3) | instskip(NEXT) | instid1(VALU_DEP_3)
	v_or_b32_e32 v4, 0x800000, v3
	v_cmp_gt_u32_e64 s10, 0x7a, v1
	v_sub_nc_u32_e32 v2, 0x79, v1
	v_cmp_eq_u32_e32 vcc_lo, 0, v1
	s_delay_alu instid0(VALU_DEP_2) | instskip(NEXT) | instid1(VALU_DEP_1)
	v_dual_cndmask_b32 v2, 0, v2, s10 :: v_dual_cndmask_b32 v4, v4, v3, vcc_lo
	v_cndmask_b32_e64 v2, v2, 0x78, vcc_lo
	s_delay_alu instid0(VALU_DEP_1) | instskip(NEXT) | instid1(VALU_DEP_3)
	v_add_nc_u32_e32 v3, 20, v2
	v_lshrrev_b64 v[16:17], v2, v[4:5]
	s_delay_alu instid0(VALU_DEP_2) | instskip(SKIP_1) | instid1(VALU_DEP_3)
	v_lshlrev_b64_e64 v[6:7], v3, -1
	v_add_nc_u32_e32 v3, 19, v2
	v_mov_b64_e32 v[18:19], v[16:17]
	s_delay_alu instid0(VALU_DEP_2) | instskip(NEXT) | instid1(VALU_DEP_4)
	v_lshlrev_b64_e64 v[8:9], v3, 1
	v_bfi_b32 v7, v7, 0, 0
	v_bfi_b32 v6, v6, 0, v4
	s_delay_alu instid0(VALU_DEP_1)
	v_cmpx_eq_u64_e64 v[6:7], v[8:9]
; %bb.14707:                            ;   in Loop: Header=BB6_13467 Depth=2
	v_bfe_u32 v4, v16, 20, 1
	v_mov_b32_e32 v5, v55
	s_delay_alu instid0(VALU_DEP_1) | instskip(NEXT) | instid1(VALU_DEP_1)
	v_add_nc_u64_e32 v[4:5], v[16:17], v[4:5]
	v_add_nc_u64_e32 v[18:19], -1, v[4:5]
; %bb.14708:                            ;   in Loop: Header=BB6_13467 Depth=2
	s_or_b32 exec_lo, exec_lo, s40
	v_add_nc_u32_e32 v1, 0xffffff81, v1
	v_lshrrev_b32_e32 v3, 23, v16
	s_mov_b32 s10, exec_lo
	v_mov_b32_e32 v17, v55
	s_delay_alu instid0(VALU_DEP_3) | instskip(NEXT) | instid1(VALU_DEP_1)
	v_cndmask_b32_e64 v1, v1, 0xffffff82, vcc_lo
	v_add3_u32 v2, v2, v1, v3
	v_and_b32_e32 v1, 0xfffff, v18
	s_delay_alu instid0(VALU_DEP_1) | instskip(NEXT) | instid1(VALU_DEP_1)
	v_dual_add_nc_u32 v3, 6, v2 :: v_dual_add_nc_u32 v16, v1, v16
                                        ; implicit-def: $vgpr1
	v_cmpx_ne_u32_e32 0, v3
	s_xor_b32 s10, exec_lo, s10
; %bb.14709:                            ;   in Loop: Header=BB6_13467 Depth=2
	s_delay_alu instid0(VALU_DEP_2) | instskip(SKIP_2) | instid1(VALU_DEP_2)
	v_cmp_lt_u64_e32 vcc_lo, 0xffffff, v[16:17]
	v_add_nc_u32_e32 v1, 7, v2
	v_cndmask_b32_e64 v2, 0, 1, vcc_lo
	v_cndmask_b32_e32 v1, v3, v1, vcc_lo
	s_delay_alu instid0(VALU_DEP_2)
	v_lshrrev_b64 v[16:17], v2, v[16:17]
; %bb.14710:                            ;   in Loop: Header=BB6_13467 Depth=2
	s_and_not1_saveexec_b32 s10, s10
; %bb.14711:                            ;   in Loop: Header=BB6_13467 Depth=2
	s_delay_alu instid0(VALU_DEP_1)
	v_bfe_u32 v1, v16, 23, 1
; %bb.14712:                            ;   in Loop: Header=BB6_13467 Depth=2
	s_or_b32 exec_lo, exec_lo, s10
	s_delay_alu instid0(VALU_DEP_2) | instskip(NEXT) | instid1(VALU_DEP_2)
	v_lshrrev_b64 v[2:3], 20, v[16:17]
	v_cmp_gt_i32_e32 vcc_lo, 16, v1
	v_min_i32_e32 v4, 15, v1
	v_cmp_eq_u32_e64 s10, 0, v1
	s_delay_alu instid0(VALU_DEP_2) | instskip(SKIP_1) | instid1(VALU_DEP_2)
	v_dual_cndmask_b32 v3, 0, v3 :: v_dual_lshlrev_b32 v4, 3, v4
	v_cndmask_b32_e32 v2, 7, v2, vcc_lo
	v_and_b32_e32 v4, 0xf8, v4
	s_delay_alu instid0(VALU_DEP_2) | instskip(NEXT) | instid1(VALU_DEP_2)
	v_cmp_eq_u64_e32 vcc_lo, 0, v[2:3]
	v_and_or_b32 v1, v2, 7, v4
	s_and_b32 s10, s10, vcc_lo
	s_delay_alu instid0(VALU_DEP_1) | instid1(SALU_CYCLE_1)
	v_cndmask_b32_e64 v1, v1, 0, s10
	s_delay_alu instid0(VALU_DEP_1)
	v_or_b32_e32 v126, v1, v0
.LBB6_14713:                            ;   in Loop: Header=BB6_13467 Depth=2
	s_or_b32 exec_lo, exec_lo, s29
                                        ; implicit-def: $vgpr0
.LBB6_14714:                            ;   in Loop: Header=BB6_13467 Depth=2
	s_and_not1_saveexec_b32 s10, s28
; %bb.14715:                            ;   in Loop: Header=BB6_13467 Depth=2
	v_or_b32_e32 v126, 0x7e, v0
; %bb.14716:                            ;   in Loop: Header=BB6_13467 Depth=2
	s_or_b32 exec_lo, exec_lo, s10
                                        ; implicit-def: $vgpr0
.LBB6_14717:                            ;   in Loop: Header=BB6_13467 Depth=2
	s_and_not1_saveexec_b32 s10, s27
; %bb.14718:                            ;   in Loop: Header=BB6_13467 Depth=2
	v_or_b32_e32 v126, 0x7f, v0
; %bb.14719:                            ;   in Loop: Header=BB6_13467 Depth=2
	s_or_b32 exec_lo, exec_lo, s10
	v_lshrrev_b16 v1, 8, v54
	v_mov_b32_e32 v0, 0
	s_mov_b32 s10, exec_lo
	s_delay_alu instid0(VALU_DEP_2)
	v_cmpx_ne_u16_e32 0, v1
	s_cbranch_execz .LBB6_14727
; %bb.14720:                            ;   in Loop: Header=BB6_13467 Depth=2
	v_bfrev_b32_e32 v0, 1
	s_mov_b32 s27, exec_lo
	v_cmpx_ne_u16_e32 0x80, v1
	s_cbranch_execz .LBB6_14726
; %bb.14721:                            ;   in Loop: Header=BB6_13467 Depth=2
	v_and_b32_e32 v2, 0xffff, v1
	v_mov_b32_e32 v0, 0x7f800001
	s_mov_b32 s28, exec_lo
	s_delay_alu instid0(VALU_DEP_2) | instskip(NEXT) | instid1(VALU_DEP_1)
	v_and_b32_e32 v1, 0x7f, v2
	v_cmpx_ne_u32_e32 0x7f, v1
	s_cbranch_execz .LBB6_14725
; %bb.14722:                            ;   in Loop: Header=BB6_13467 Depth=2
	v_dual_mov_b32 v17, v55 :: v_dual_bitop2_b32 v16, 7, v2 bitop3:0x40
	v_lshrrev_b32_e32 v0, 3, v1
	s_mov_b32 s29, exec_lo
	v_cmpx_gt_u32_e32 8, v1
; %bb.14723:                            ;   in Loop: Header=BB6_13467 Depth=2
	s_delay_alu instid0(VALU_DEP_3) | instskip(NEXT) | instid1(VALU_DEP_1)
	v_clz_i32_u32_e32 v0, v16
	v_min_u32_e32 v0, 32, v0
	s_delay_alu instid0(VALU_DEP_1) | instskip(NEXT) | instid1(VALU_DEP_1)
	v_subrev_nc_u32_e32 v1, 28, v0
	v_lshlrev_b64_e32 v[2:3], v1, v[16:17]
	s_delay_alu instid0(VALU_DEP_1)
	v_dual_sub_nc_u32 v0, 29, v0 :: v_dual_bitop2_b32 v16, 7, v2 bitop3:0x40
; %bb.14724:                            ;   in Loop: Header=BB6_13467 Depth=2
	s_or_b32 exec_lo, exec_lo, s29
	s_delay_alu instid0(VALU_DEP_1) | instskip(NEXT) | instid1(VALU_DEP_2)
	v_dual_lshlrev_b32 v1, 16, v54 :: v_dual_lshlrev_b32 v2, 20, v16
	v_lshl_add_u32 v0, v0, 23, 0x3c000000
	s_delay_alu instid0(VALU_DEP_2) | instskip(NEXT) | instid1(VALU_DEP_1)
	v_and_b32_e32 v1, 0x80000000, v1
	v_or3_b32 v0, v2, v1, v0
.LBB6_14725:                            ;   in Loop: Header=BB6_13467 Depth=2
	s_or_b32 exec_lo, exec_lo, s28
.LBB6_14726:                            ;   in Loop: Header=BB6_13467 Depth=2
	s_delay_alu instid0(SALU_CYCLE_1)
	s_or_b32 exec_lo, exec_lo, s27
.LBB6_14727:                            ;   in Loop: Header=BB6_13467 Depth=2
	s_delay_alu instid0(SALU_CYCLE_1) | instskip(NEXT) | instid1(VALU_DEP_1)
	s_or_b32 exec_lo, exec_lo, s10
	v_mul_f32_e32 v1, s26, v0
                                        ; implicit-def: $vgpr2
	s_mov_b32 s10, exec_lo
	s_delay_alu instid0(VALU_DEP_1) | instskip(SKIP_1) | instid1(VALU_DEP_2)
	v_and_b32_e32 v54, 0x7f800000, v1
	v_lshrrev_b32_e32 v0, 24, v1
	v_cmpx_ne_u64_e32 0x7f800000, v[54:55]
	s_xor_b32 s27, exec_lo, s10
	s_cbranch_execz .LBB6_14741
; %bb.14728:                            ;   in Loop: Header=BB6_13467 Depth=2
	v_and_b32_e32 v54, 0x7fffffff, v1
	v_and_b32_e32 v0, 0x80, v0
                                        ; implicit-def: $vgpr2
	s_mov_b32 s10, exec_lo
	s_delay_alu instid0(VALU_DEP_2)
	v_cmpx_gt_u64_e32 0x43e00001, v[54:55]
	s_xor_b32 s28, exec_lo, s10
	s_cbranch_execz .LBB6_14738
; %bb.14729:                            ;   in Loop: Header=BB6_13467 Depth=2
	v_mov_b32_e32 v2, 0
	s_mov_b32 s29, exec_lo
	v_cmpx_ne_u32_e32 0, v1
	s_cbranch_execz .LBB6_14737
; %bb.14730:                            ;   in Loop: Header=BB6_13467 Depth=2
	v_and_b32_e32 v3, 0x7fffff, v1
	v_bfe_u32 v1, v1, 23, 8
	s_mov_b32 s40, exec_lo
	s_delay_alu instid0(VALU_DEP_2) | instskip(NEXT) | instid1(VALU_DEP_2)
	v_or_b32_e32 v4, 0x800000, v3
	v_cmp_gt_u32_e64 s10, 0x7a, v1
	v_sub_nc_u32_e32 v2, 0x79, v1
	v_cmp_eq_u32_e32 vcc_lo, 0, v1
	s_delay_alu instid0(VALU_DEP_2) | instskip(NEXT) | instid1(VALU_DEP_1)
	v_dual_cndmask_b32 v2, 0, v2, s10 :: v_dual_cndmask_b32 v54, v4, v3, vcc_lo
	v_cndmask_b32_e64 v2, v2, 0x78, vcc_lo
	s_delay_alu instid0(VALU_DEP_1) | instskip(NEXT) | instid1(VALU_DEP_3)
	v_add_nc_u32_e32 v3, 20, v2
	v_lshrrev_b64 v[16:17], v2, v[54:55]
	s_delay_alu instid0(VALU_DEP_2) | instskip(SKIP_1) | instid1(VALU_DEP_3)
	v_lshlrev_b64_e64 v[4:5], v3, -1
	v_add_nc_u32_e32 v3, 19, v2
	v_mov_b64_e32 v[18:19], v[16:17]
	s_delay_alu instid0(VALU_DEP_2) | instskip(NEXT) | instid1(VALU_DEP_4)
	v_lshlrev_b64_e64 v[6:7], v3, 1
	v_bfi_b32 v5, v5, 0, 0
	v_bfi_b32 v4, v4, 0, v54
	s_delay_alu instid0(VALU_DEP_1)
	v_cmpx_eq_u64_e64 v[4:5], v[6:7]
; %bb.14731:                            ;   in Loop: Header=BB6_13467 Depth=2
	v_bfe_u32 v54, v16, 20, 1
	s_delay_alu instid0(VALU_DEP_1) | instskip(NEXT) | instid1(VALU_DEP_1)
	v_add_nc_u64_e32 v[4:5], v[16:17], v[54:55]
	v_add_nc_u64_e32 v[18:19], -1, v[4:5]
; %bb.14732:                            ;   in Loop: Header=BB6_13467 Depth=2
	s_or_b32 exec_lo, exec_lo, s40
	v_add_nc_u32_e32 v1, 0xffffff81, v1
	v_lshrrev_b32_e32 v3, 23, v16
	s_mov_b32 s10, exec_lo
	s_delay_alu instid0(VALU_DEP_2) | instskip(NEXT) | instid1(VALU_DEP_1)
	v_cndmask_b32_e64 v1, v1, 0xffffff82, vcc_lo
	v_add3_u32 v2, v2, v1, v3
	v_and_b32_e32 v1, 0xfffff, v18
	s_delay_alu instid0(VALU_DEP_1) | instskip(NEXT) | instid1(VALU_DEP_1)
	v_dual_add_nc_u32 v3, 6, v2 :: v_dual_add_nc_u32 v54, v1, v16
                                        ; implicit-def: $vgpr16_vgpr17
                                        ; implicit-def: $vgpr1
	v_cmpx_ne_u32_e32 0, v3
	s_xor_b32 s10, exec_lo, s10
; %bb.14733:                            ;   in Loop: Header=BB6_13467 Depth=2
	s_delay_alu instid0(VALU_DEP_2) | instskip(SKIP_2) | instid1(VALU_DEP_2)
	v_cmp_lt_u64_e32 vcc_lo, 0xffffff, v[54:55]
	v_add_nc_u32_e32 v1, 7, v2
	v_cndmask_b32_e64 v2, 0, 1, vcc_lo
	v_cndmask_b32_e32 v1, v3, v1, vcc_lo
	s_delay_alu instid0(VALU_DEP_2)
	v_lshrrev_b64 v[16:17], v2, v[54:55]
; %bb.14734:                            ;   in Loop: Header=BB6_13467 Depth=2
	s_and_not1_saveexec_b32 s10, s10
; %bb.14735:                            ;   in Loop: Header=BB6_13467 Depth=2
	v_mov_b64_e32 v[16:17], v[54:55]
	v_bfe_u32 v1, v54, 23, 1
; %bb.14736:                            ;   in Loop: Header=BB6_13467 Depth=2
	s_or_b32 exec_lo, exec_lo, s10
	s_delay_alu instid0(VALU_DEP_2) | instskip(NEXT) | instid1(VALU_DEP_2)
	v_lshrrev_b64 v[2:3], 20, v[16:17]
	v_cmp_gt_i32_e32 vcc_lo, 16, v1
	v_min_i32_e32 v4, 15, v1
	v_cmp_eq_u32_e64 s10, 0, v1
	s_delay_alu instid0(VALU_DEP_2) | instskip(SKIP_1) | instid1(VALU_DEP_2)
	v_dual_cndmask_b32 v3, 0, v3 :: v_dual_lshlrev_b32 v4, 3, v4
	v_cndmask_b32_e32 v2, 7, v2, vcc_lo
	v_and_b32_e32 v4, 0xf8, v4
	s_delay_alu instid0(VALU_DEP_2) | instskip(NEXT) | instid1(VALU_DEP_2)
	v_cmp_eq_u64_e32 vcc_lo, 0, v[2:3]
	v_and_or_b32 v1, v2, 7, v4
	s_and_b32 s10, s10, vcc_lo
	s_delay_alu instid0(VALU_DEP_1) | instid1(SALU_CYCLE_1)
	v_cndmask_b32_e64 v1, v1, 0, s10
	s_delay_alu instid0(VALU_DEP_1)
	v_or_b32_e32 v2, v1, v0
.LBB6_14737:                            ;   in Loop: Header=BB6_13467 Depth=2
	s_or_b32 exec_lo, exec_lo, s29
                                        ; implicit-def: $vgpr0
.LBB6_14738:                            ;   in Loop: Header=BB6_13467 Depth=2
	s_and_not1_saveexec_b32 s10, s28
; %bb.14739:                            ;   in Loop: Header=BB6_13467 Depth=2
	v_or_b32_e32 v2, 0x7e, v0
; %bb.14740:                            ;   in Loop: Header=BB6_13467 Depth=2
	s_or_b32 exec_lo, exec_lo, s10
                                        ; implicit-def: $vgpr0
.LBB6_14741:                            ;   in Loop: Header=BB6_13467 Depth=2
	s_and_not1_saveexec_b32 s10, s27
; %bb.14742:                            ;   in Loop: Header=BB6_13467 Depth=2
	v_or_b32_e32 v2, 0x7f, v0
; %bb.14743:                            ;   in Loop: Header=BB6_13467 Depth=2
	s_or_b32 exec_lo, exec_lo, s10
	v_dual_mov_b32 v1, 0 :: v_dual_lshrrev_b32 v0, 16, v11
	s_mov_b32 s10, exec_lo
	s_delay_alu instid0(VALU_DEP_1) | instskip(NEXT) | instid1(VALU_DEP_1)
	v_and_b32_e32 v3, 0xff, v0
	v_cmpx_ne_u16_e32 0, v3
	s_cbranch_execz .LBB6_14751
; %bb.14744:                            ;   in Loop: Header=BB6_13467 Depth=2
	v_bfrev_b32_e32 v1, 1
	s_mov_b32 s27, exec_lo
	v_cmpx_ne_u16_e32 0x80, v3
	s_cbranch_execz .LBB6_14750
; %bb.14745:                            ;   in Loop: Header=BB6_13467 Depth=2
	v_bfe_u32 v3, v11, 16, 7
	v_mov_b32_e32 v1, 0x7f800001
	s_mov_b32 s28, exec_lo
	s_delay_alu instid0(VALU_DEP_2)
	v_cmpx_ne_u32_e32 0x7f, v3
	s_cbranch_execz .LBB6_14749
; %bb.14746:                            ;   in Loop: Header=BB6_13467 Depth=2
	v_dual_lshrrev_b32 v1, 3, v3 :: v_dual_bitop2_b32 v54, 7, v0 bitop3:0x40
	s_mov_b32 s29, exec_lo
	v_cmpx_gt_u32_e32 8, v3
; %bb.14747:                            ;   in Loop: Header=BB6_13467 Depth=2
	s_delay_alu instid0(VALU_DEP_2) | instskip(NEXT) | instid1(VALU_DEP_1)
	v_clz_i32_u32_e32 v1, v54
	v_min_u32_e32 v1, 32, v1
	s_delay_alu instid0(VALU_DEP_1) | instskip(NEXT) | instid1(VALU_DEP_1)
	v_subrev_nc_u32_e32 v3, 28, v1
	v_lshlrev_b64_e32 v[4:5], v3, v[54:55]
	s_delay_alu instid0(VALU_DEP_1)
	v_dual_sub_nc_u32 v1, 29, v1 :: v_dual_bitop2_b32 v54, 7, v4 bitop3:0x40
; %bb.14748:                            ;   in Loop: Header=BB6_13467 Depth=2
	s_or_b32 exec_lo, exec_lo, s29
	s_delay_alu instid0(VALU_DEP_1) | instskip(NEXT) | instid1(VALU_DEP_2)
	v_dual_lshlrev_b32 v0, 24, v0 :: v_dual_lshlrev_b32 v3, 20, v54
	v_lshl_add_u32 v1, v1, 23, 0x3c000000
	s_delay_alu instid0(VALU_DEP_2) | instskip(NEXT) | instid1(VALU_DEP_1)
	v_and_b32_e32 v0, 0x80000000, v0
	v_or3_b32 v1, v3, v0, v1
.LBB6_14749:                            ;   in Loop: Header=BB6_13467 Depth=2
	s_or_b32 exec_lo, exec_lo, s28
.LBB6_14750:                            ;   in Loop: Header=BB6_13467 Depth=2
	s_delay_alu instid0(SALU_CYCLE_1)
	s_or_b32 exec_lo, exec_lo, s27
.LBB6_14751:                            ;   in Loop: Header=BB6_13467 Depth=2
	s_delay_alu instid0(SALU_CYCLE_1) | instskip(NEXT) | instid1(VALU_DEP_1)
	s_or_b32 exec_lo, exec_lo, s10
	v_mul_f32_e32 v1, s26, v1
                                        ; implicit-def: $vgpr3
	s_mov_b32 s10, exec_lo
	s_delay_alu instid0(VALU_DEP_1) | instskip(SKIP_1) | instid1(VALU_DEP_2)
	v_and_b32_e32 v54, 0x7f800000, v1
	v_lshrrev_b32_e32 v0, 24, v1
	v_cmpx_ne_u64_e32 0x7f800000, v[54:55]
	s_xor_b32 s27, exec_lo, s10
	s_cbranch_execz .LBB6_14765
; %bb.14752:                            ;   in Loop: Header=BB6_13467 Depth=2
	v_and_b32_e32 v54, 0x7fffffff, v1
	v_and_b32_e32 v0, 0x80, v0
                                        ; implicit-def: $vgpr3
	s_mov_b32 s10, exec_lo
	s_delay_alu instid0(VALU_DEP_2)
	v_cmpx_gt_u64_e32 0x43e00001, v[54:55]
	s_xor_b32 s28, exec_lo, s10
	s_cbranch_execz .LBB6_14762
; %bb.14753:                            ;   in Loop: Header=BB6_13467 Depth=2
	v_mov_b32_e32 v3, 0
	s_mov_b32 s29, exec_lo
	v_cmpx_ne_u32_e32 0, v1
	s_cbranch_execz .LBB6_14761
; %bb.14754:                            ;   in Loop: Header=BB6_13467 Depth=2
	v_and_b32_e32 v4, 0x7fffff, v1
	v_bfe_u32 v1, v1, 23, 8
	s_mov_b32 s40, exec_lo
	s_delay_alu instid0(VALU_DEP_2) | instskip(NEXT) | instid1(VALU_DEP_2)
	v_or_b32_e32 v5, 0x800000, v4
	v_cmp_eq_u32_e32 vcc_lo, 0, v1
	v_cmp_gt_u32_e64 s10, 0x7a, v1
	s_delay_alu instid0(VALU_DEP_3) | instskip(NEXT) | instid1(VALU_DEP_1)
	v_dual_cndmask_b32 v54, v5, v4 :: v_dual_sub_nc_u32 v3, 0x79, v1
	v_cndmask_b32_e64 v3, 0, v3, s10
	s_delay_alu instid0(VALU_DEP_1) | instskip(NEXT) | instid1(VALU_DEP_1)
	v_cndmask_b32_e64 v3, v3, 0x78, vcc_lo
	v_dual_add_nc_u32 v4, 20, v3 :: v_dual_add_nc_u32 v6, 19, v3
	s_delay_alu instid0(VALU_DEP_4) | instskip(NEXT) | instid1(VALU_DEP_2)
	v_lshrrev_b64 v[16:17], v3, v[54:55]
	v_lshlrev_b64_e64 v[4:5], v4, -1
	s_delay_alu instid0(VALU_DEP_3) | instskip(NEXT) | instid1(VALU_DEP_3)
	v_lshlrev_b64_e64 v[6:7], v6, 1
	v_mov_b64_e32 v[18:19], v[16:17]
	s_delay_alu instid0(VALU_DEP_3) | instskip(NEXT) | instid1(VALU_DEP_4)
	v_bfi_b32 v5, v5, 0, 0
	v_bfi_b32 v4, v4, 0, v54
	s_delay_alu instid0(VALU_DEP_1)
	v_cmpx_eq_u64_e64 v[4:5], v[6:7]
; %bb.14755:                            ;   in Loop: Header=BB6_13467 Depth=2
	v_bfe_u32 v54, v16, 20, 1
	s_delay_alu instid0(VALU_DEP_1) | instskip(NEXT) | instid1(VALU_DEP_1)
	v_add_nc_u64_e32 v[4:5], v[16:17], v[54:55]
	v_add_nc_u64_e32 v[18:19], -1, v[4:5]
; %bb.14756:                            ;   in Loop: Header=BB6_13467 Depth=2
	s_or_b32 exec_lo, exec_lo, s40
	v_add_nc_u32_e32 v1, 0xffffff81, v1
	v_lshrrev_b32_e32 v4, 23, v16
	s_mov_b32 s10, exec_lo
	s_delay_alu instid0(VALU_DEP_2) | instskip(NEXT) | instid1(VALU_DEP_1)
	v_cndmask_b32_e64 v1, v1, 0xffffff82, vcc_lo
	v_add3_u32 v4, v3, v1, v4
	v_and_b32_e32 v1, 0xfffff, v18
	s_delay_alu instid0(VALU_DEP_2) | instskip(NEXT) | instid1(VALU_DEP_2)
	v_add_nc_u32_e32 v3, 6, v4
	v_add_nc_u32_e32 v54, v1, v16
                                        ; implicit-def: $vgpr16_vgpr17
                                        ; implicit-def: $vgpr1
	s_delay_alu instid0(VALU_DEP_2)
	v_cmpx_ne_u32_e32 0, v3
	s_xor_b32 s10, exec_lo, s10
; %bb.14757:                            ;   in Loop: Header=BB6_13467 Depth=2
	s_delay_alu instid0(VALU_DEP_2) | instskip(SKIP_1) | instid1(VALU_DEP_1)
	v_cmp_lt_u64_e32 vcc_lo, 0xffffff, v[54:55]
	v_add_nc_u32_e32 v1, 7, v4
	v_cndmask_b32_e32 v1, v3, v1, vcc_lo
	v_cndmask_b32_e64 v3, 0, 1, vcc_lo
	s_delay_alu instid0(VALU_DEP_1)
	v_lshrrev_b64 v[16:17], v3, v[54:55]
; %bb.14758:                            ;   in Loop: Header=BB6_13467 Depth=2
	s_and_not1_saveexec_b32 s10, s10
; %bb.14759:                            ;   in Loop: Header=BB6_13467 Depth=2
	v_mov_b64_e32 v[16:17], v[54:55]
	v_bfe_u32 v1, v54, 23, 1
; %bb.14760:                            ;   in Loop: Header=BB6_13467 Depth=2
	s_or_b32 exec_lo, exec_lo, s10
	s_delay_alu instid0(VALU_DEP_2) | instskip(NEXT) | instid1(VALU_DEP_2)
	v_lshrrev_b64 v[4:5], 20, v[16:17]
	v_cmp_gt_i32_e32 vcc_lo, 16, v1
	v_min_i32_e32 v3, 15, v1
	v_cmp_eq_u32_e64 s10, 0, v1
	s_delay_alu instid0(VALU_DEP_2) | instskip(SKIP_1) | instid1(VALU_DEP_2)
	v_dual_cndmask_b32 v4, 7, v4 :: v_dual_lshlrev_b32 v3, 3, v3
	v_cndmask_b32_e32 v5, 0, v5, vcc_lo
	v_and_b32_e32 v3, 0xf8, v3
	s_delay_alu instid0(VALU_DEP_2) | instskip(NEXT) | instid1(VALU_DEP_2)
	v_cmp_eq_u64_e32 vcc_lo, 0, v[4:5]
	v_and_or_b32 v1, v4, 7, v3
	s_and_b32 s10, s10, vcc_lo
	s_delay_alu instid0(VALU_DEP_1) | instid1(SALU_CYCLE_1)
	v_cndmask_b32_e64 v1, v1, 0, s10
	s_delay_alu instid0(VALU_DEP_1)
	v_or_b32_e32 v3, v1, v0
.LBB6_14761:                            ;   in Loop: Header=BB6_13467 Depth=2
	s_or_b32 exec_lo, exec_lo, s29
                                        ; implicit-def: $vgpr0
.LBB6_14762:                            ;   in Loop: Header=BB6_13467 Depth=2
	s_and_not1_saveexec_b32 s10, s28
; %bb.14763:                            ;   in Loop: Header=BB6_13467 Depth=2
	v_or_b32_e32 v3, 0x7e, v0
; %bb.14764:                            ;   in Loop: Header=BB6_13467 Depth=2
	s_or_b32 exec_lo, exec_lo, s10
                                        ; implicit-def: $vgpr0
.LBB6_14765:                            ;   in Loop: Header=BB6_13467 Depth=2
	s_and_not1_saveexec_b32 s10, s27
; %bb.14766:                            ;   in Loop: Header=BB6_13467 Depth=2
	v_or_b32_e32 v3, 0x7f, v0
; %bb.14767:                            ;   in Loop: Header=BB6_13467 Depth=2
	s_or_b32 exec_lo, exec_lo, s10
	v_mov_b32_e32 v1, 0
	s_mov_b32 s10, exec_lo
	v_cmpx_lt_u64_e64 s[12:13], v[10:11]
	s_cbranch_execz .LBB6_14775
; %bb.14768:                            ;   in Loop: Header=BB6_13467 Depth=2
	v_lshrrev_b32_e32 v0, 24, v11
	v_bfrev_b32_e32 v1, 1
	s_mov_b32 s27, exec_lo
	s_delay_alu instid0(VALU_DEP_2)
	v_cmpx_ne_u32_e32 0x80, v0
	s_cbranch_execz .LBB6_14774
; %bb.14769:                            ;   in Loop: Header=BB6_13467 Depth=2
	v_bfe_u32 v4, v11, 24, 7
	v_mov_b32_e32 v1, 0x7f800001
	s_mov_b32 s28, exec_lo
	s_delay_alu instid0(VALU_DEP_2)
	v_cmpx_ne_u32_e32 0x7f, v4
	s_cbranch_execz .LBB6_14773
; %bb.14770:                            ;   in Loop: Header=BB6_13467 Depth=2
	v_and_b32_e32 v54, 7, v0
	v_lshrrev_b32_e32 v1, 3, v4
	s_mov_b32 s29, exec_lo
	v_cmpx_gt_u32_e32 8, v4
; %bb.14771:                            ;   in Loop: Header=BB6_13467 Depth=2
	s_delay_alu instid0(VALU_DEP_3) | instskip(NEXT) | instid1(VALU_DEP_1)
	v_clz_i32_u32_e32 v1, v54
	v_min_u32_e32 v1, 32, v1
	s_delay_alu instid0(VALU_DEP_1) | instskip(NEXT) | instid1(VALU_DEP_1)
	v_subrev_nc_u32_e32 v4, 28, v1
	v_lshlrev_b64_e32 v[4:5], v4, v[54:55]
	s_delay_alu instid0(VALU_DEP_1)
	v_dual_sub_nc_u32 v1, 29, v1 :: v_dual_bitop2_b32 v54, 7, v4 bitop3:0x40
; %bb.14772:                            ;   in Loop: Header=BB6_13467 Depth=2
	s_or_b32 exec_lo, exec_lo, s29
	s_delay_alu instid0(VALU_DEP_1) | instskip(NEXT) | instid1(VALU_DEP_2)
	v_dual_lshlrev_b32 v0, 24, v0 :: v_dual_lshlrev_b32 v4, 20, v54
	v_lshl_add_u32 v1, v1, 23, 0x3c000000
	s_delay_alu instid0(VALU_DEP_2) | instskip(NEXT) | instid1(VALU_DEP_1)
	v_and_b32_e32 v0, 0x80000000, v0
	v_or3_b32 v1, v4, v0, v1
.LBB6_14773:                            ;   in Loop: Header=BB6_13467 Depth=2
	s_or_b32 exec_lo, exec_lo, s28
.LBB6_14774:                            ;   in Loop: Header=BB6_13467 Depth=2
	s_delay_alu instid0(SALU_CYCLE_1)
	s_or_b32 exec_lo, exec_lo, s27
.LBB6_14775:                            ;   in Loop: Header=BB6_13467 Depth=2
	s_delay_alu instid0(SALU_CYCLE_1) | instskip(NEXT) | instid1(VALU_DEP_1)
	s_or_b32 exec_lo, exec_lo, s10
	v_mul_f32_e32 v1, s26, v1
                                        ; implicit-def: $vgpr40
	s_mov_b32 s10, exec_lo
	s_delay_alu instid0(VALU_DEP_1) | instskip(SKIP_1) | instid1(VALU_DEP_2)
	v_and_b32_e32 v54, 0x7f800000, v1
	v_lshrrev_b32_e32 v0, 24, v1
	v_cmpx_ne_u64_e32 0x7f800000, v[54:55]
	s_xor_b32 s27, exec_lo, s10
	s_cbranch_execz .LBB6_14789
; %bb.14776:                            ;   in Loop: Header=BB6_13467 Depth=2
	v_and_b32_e32 v54, 0x7fffffff, v1
	v_and_b32_e32 v0, 0x80, v0
                                        ; implicit-def: $vgpr40
	s_mov_b32 s10, exec_lo
	s_delay_alu instid0(VALU_DEP_2)
	v_cmpx_gt_u64_e32 0x43e00001, v[54:55]
	s_xor_b32 s28, exec_lo, s10
	s_cbranch_execz .LBB6_14786
; %bb.14777:                            ;   in Loop: Header=BB6_13467 Depth=2
	v_mov_b32_e32 v40, 0
	s_mov_b32 s29, exec_lo
	v_cmpx_ne_u32_e32 0, v1
	s_cbranch_execz .LBB6_14785
; %bb.14778:                            ;   in Loop: Header=BB6_13467 Depth=2
	v_and_b32_e32 v5, 0x7fffff, v1
	v_bfe_u32 v1, v1, 23, 8
	s_mov_b32 s40, exec_lo
	s_delay_alu instid0(VALU_DEP_2) | instskip(NEXT) | instid1(VALU_DEP_2)
	v_or_b32_e32 v6, 0x800000, v5
	v_cmp_gt_u32_e64 s10, 0x7a, v1
	v_sub_nc_u32_e32 v4, 0x79, v1
	v_cmp_eq_u32_e32 vcc_lo, 0, v1
	s_delay_alu instid0(VALU_DEP_2) | instskip(NEXT) | instid1(VALU_DEP_1)
	v_dual_cndmask_b32 v4, 0, v4, s10 :: v_dual_cndmask_b32 v54, v6, v5, vcc_lo
	v_cndmask_b32_e64 v4, v4, 0x78, vcc_lo
	s_delay_alu instid0(VALU_DEP_1) | instskip(NEXT) | instid1(VALU_DEP_3)
	v_add_nc_u32_e32 v5, 20, v4
	v_lshrrev_b64 v[10:11], v4, v[54:55]
	s_delay_alu instid0(VALU_DEP_2) | instskip(SKIP_1) | instid1(VALU_DEP_3)
	v_lshlrev_b64_e64 v[6:7], v5, -1
	v_add_nc_u32_e32 v5, 19, v4
	v_mov_b64_e32 v[16:17], v[10:11]
	s_delay_alu instid0(VALU_DEP_2) | instskip(NEXT) | instid1(VALU_DEP_4)
	v_lshlrev_b64_e64 v[8:9], v5, 1
	v_bfi_b32 v7, v7, 0, 0
	v_bfi_b32 v6, v6, 0, v54
	s_delay_alu instid0(VALU_DEP_1)
	v_cmpx_eq_u64_e64 v[6:7], v[8:9]
; %bb.14779:                            ;   in Loop: Header=BB6_13467 Depth=2
	v_bfe_u32 v54, v10, 20, 1
	s_delay_alu instid0(VALU_DEP_1) | instskip(NEXT) | instid1(VALU_DEP_1)
	v_add_nc_u64_e32 v[6:7], v[10:11], v[54:55]
	v_add_nc_u64_e32 v[16:17], -1, v[6:7]
; %bb.14780:                            ;   in Loop: Header=BB6_13467 Depth=2
	s_or_b32 exec_lo, exec_lo, s40
	v_add_nc_u32_e32 v1, 0xffffff81, v1
	v_lshrrev_b32_e32 v5, 23, v10
	s_mov_b32 s10, exec_lo
	s_delay_alu instid0(VALU_DEP_2) | instskip(NEXT) | instid1(VALU_DEP_1)
	v_cndmask_b32_e64 v1, v1, 0xffffff82, vcc_lo
	v_add3_u32 v4, v4, v1, v5
	v_and_b32_e32 v1, 0xfffff, v16
	s_delay_alu instid0(VALU_DEP_1) | instskip(NEXT) | instid1(VALU_DEP_1)
	v_dual_add_nc_u32 v5, 6, v4 :: v_dual_add_nc_u32 v54, v1, v10
                                        ; implicit-def: $vgpr10_vgpr11
                                        ; implicit-def: $vgpr1
	v_cmpx_ne_u32_e32 0, v5
	s_xor_b32 s10, exec_lo, s10
; %bb.14781:                            ;   in Loop: Header=BB6_13467 Depth=2
	s_delay_alu instid0(VALU_DEP_2) | instskip(SKIP_2) | instid1(VALU_DEP_2)
	v_cmp_lt_u64_e32 vcc_lo, 0xffffff, v[54:55]
	v_add_nc_u32_e32 v1, 7, v4
	v_cndmask_b32_e64 v4, 0, 1, vcc_lo
	v_cndmask_b32_e32 v1, v5, v1, vcc_lo
	s_delay_alu instid0(VALU_DEP_2)
	v_lshrrev_b64 v[10:11], v4, v[54:55]
; %bb.14782:                            ;   in Loop: Header=BB6_13467 Depth=2
	s_and_not1_saveexec_b32 s10, s10
; %bb.14783:                            ;   in Loop: Header=BB6_13467 Depth=2
	v_mov_b64_e32 v[10:11], v[54:55]
	v_bfe_u32 v1, v54, 23, 1
; %bb.14784:                            ;   in Loop: Header=BB6_13467 Depth=2
	s_or_b32 exec_lo, exec_lo, s10
	s_delay_alu instid0(VALU_DEP_2) | instskip(NEXT) | instid1(VALU_DEP_2)
	v_lshrrev_b64 v[4:5], 20, v[10:11]
	v_cmp_gt_i32_e32 vcc_lo, 16, v1
	v_min_i32_e32 v6, 15, v1
	v_cmp_eq_u32_e64 s10, 0, v1
	s_delay_alu instid0(VALU_DEP_2) | instskip(SKIP_1) | instid1(VALU_DEP_2)
	v_dual_cndmask_b32 v4, 7, v4, vcc_lo :: v_dual_lshlrev_b32 v6, 3, v6
	v_cndmask_b32_e32 v5, 0, v5, vcc_lo
	v_and_b32_e32 v6, 0xf8, v6
	s_delay_alu instid0(VALU_DEP_2) | instskip(NEXT) | instid1(VALU_DEP_2)
	v_cmp_eq_u64_e32 vcc_lo, 0, v[4:5]
	v_and_or_b32 v1, v4, 7, v6
	s_and_b32 s10, s10, vcc_lo
	s_delay_alu instid0(VALU_DEP_1) | instid1(SALU_CYCLE_1)
	v_cndmask_b32_e64 v1, v1, 0, s10
	s_delay_alu instid0(VALU_DEP_1)
	v_or_b32_e32 v40, v1, v0
.LBB6_14785:                            ;   in Loop: Header=BB6_13467 Depth=2
	s_or_b32 exec_lo, exec_lo, s29
                                        ; implicit-def: $vgpr0
.LBB6_14786:                            ;   in Loop: Header=BB6_13467 Depth=2
	s_and_not1_saveexec_b32 s10, s28
; %bb.14787:                            ;   in Loop: Header=BB6_13467 Depth=2
	v_or_b32_e32 v40, 0x7e, v0
; %bb.14788:                            ;   in Loop: Header=BB6_13467 Depth=2
	s_or_b32 exec_lo, exec_lo, s10
                                        ; implicit-def: $vgpr0
.LBB6_14789:                            ;   in Loop: Header=BB6_13467 Depth=2
	s_and_not1_saveexec_b32 s10, s27
; %bb.14790:                            ;   in Loop: Header=BB6_13467 Depth=2
	v_or_b32_e32 v40, 0x7f, v0
; %bb.14791:                            ;   in Loop: Header=BB6_13467 Depth=2
	s_or_b32 exec_lo, exec_lo, s10
	v_and_b32_e32 v1, 0xff, v12
	v_mov_b32_e32 v0, 0
	s_mov_b32 s10, exec_lo
	s_delay_alu instid0(VALU_DEP_2)
	v_cmpx_ne_u16_e32 0, v1
	s_cbranch_execz .LBB6_14797
; %bb.14792:                            ;   in Loop: Header=BB6_13467 Depth=2
	v_bfrev_b32_e32 v0, 1
	s_mov_b32 s27, exec_lo
	v_cmpx_ne_u16_e32 0x80, v1
	s_cbranch_execz .LBB6_14796
; %bb.14793:                            ;   in Loop: Header=BB6_13467 Depth=2
	v_and_b32_e32 v1, 0x7f, v12
	v_mov_b32_e32 v0, 0x7f800001
	s_mov_b32 s28, exec_lo
	s_delay_alu instid0(VALU_DEP_2)
	v_cmpx_ne_u32_e32 0x7f, v1
	s_cbranch_execz .LBB6_14795
; %bb.14794:                            ;   in Loop: Header=BB6_13467 Depth=2
	v_dual_lshrrev_b32 v4, 3, v1 :: v_dual_bitop2_b32 v0, 7, v12 bitop3:0x40
	v_cmp_gt_u32_e32 vcc_lo, 8, v1
	s_delay_alu instid0(VALU_DEP_2) | instskip(NEXT) | instid1(VALU_DEP_1)
	v_clz_i32_u32_e32 v0, v0
	v_min_u32_e32 v0, 32, v0
	s_delay_alu instid0(VALU_DEP_1) | instskip(SKIP_1) | instid1(VALU_DEP_1)
	v_subrev_nc_u32_e32 v5, 28, v0
	v_sub_nc_u32_e32 v0, 29, v0
	v_dual_cndmask_b32 v4, v4, v0, vcc_lo :: v_dual_cndmask_b32 v0, 0, v5, vcc_lo
	s_delay_alu instid0(VALU_DEP_1) | instskip(NEXT) | instid1(VALU_DEP_2)
	v_lshl_add_u32 v4, v4, 23, 0x3c000000
	v_lshlrev_b64_e32 v[0:1], v0, v[12:13]
	v_lshlrev_b32_e32 v1, 24, v12
	s_delay_alu instid0(VALU_DEP_1) | instskip(NEXT) | instid1(VALU_DEP_3)
	v_and_b32_e32 v1, 0x80000000, v1
	v_lshlrev_b32_e32 v0, 20, v0
	s_delay_alu instid0(VALU_DEP_1) | instskip(NEXT) | instid1(VALU_DEP_1)
	v_and_b32_e32 v0, 0x700000, v0
	v_or3_b32 v0, v0, v1, v4
.LBB6_14795:                            ;   in Loop: Header=BB6_13467 Depth=2
	s_or_b32 exec_lo, exec_lo, s28
.LBB6_14796:                            ;   in Loop: Header=BB6_13467 Depth=2
	s_delay_alu instid0(SALU_CYCLE_1)
	s_or_b32 exec_lo, exec_lo, s27
.LBB6_14797:                            ;   in Loop: Header=BB6_13467 Depth=2
	s_delay_alu instid0(SALU_CYCLE_1) | instskip(NEXT) | instid1(VALU_DEP_1)
	s_or_b32 exec_lo, exec_lo, s10
	v_mul_f32_e32 v1, s26, v0
                                        ; implicit-def: $vgpr115
	s_mov_b32 s10, exec_lo
	s_delay_alu instid0(VALU_DEP_1) | instskip(SKIP_1) | instid1(VALU_DEP_2)
	v_and_b32_e32 v54, 0x7f800000, v1
	v_lshrrev_b32_e32 v0, 24, v1
	v_cmpx_ne_u64_e32 0x7f800000, v[54:55]
	s_xor_b32 s27, exec_lo, s10
	s_cbranch_execz .LBB6_14811
; %bb.14798:                            ;   in Loop: Header=BB6_13467 Depth=2
	v_and_b32_e32 v54, 0x7fffffff, v1
	v_and_b32_e32 v0, 0x80, v0
                                        ; implicit-def: $vgpr115
	s_mov_b32 s10, exec_lo
	s_delay_alu instid0(VALU_DEP_2)
	v_cmpx_gt_u64_e32 0x43e00001, v[54:55]
	s_xor_b32 s28, exec_lo, s10
	s_cbranch_execz .LBB6_14808
; %bb.14799:                            ;   in Loop: Header=BB6_13467 Depth=2
	v_mov_b32_e32 v115, 0
	s_mov_b32 s29, exec_lo
	v_cmpx_ne_u32_e32 0, v1
	s_cbranch_execz .LBB6_14807
; %bb.14800:                            ;   in Loop: Header=BB6_13467 Depth=2
	v_and_b32_e32 v5, 0x7fffff, v1
	v_bfe_u32 v1, v1, 23, 8
	s_mov_b32 s40, exec_lo
	s_delay_alu instid0(VALU_DEP_2) | instskip(NEXT) | instid1(VALU_DEP_2)
	v_or_b32_e32 v6, 0x800000, v5
	v_cmp_gt_u32_e64 s10, 0x7a, v1
	v_sub_nc_u32_e32 v4, 0x79, v1
	v_cmp_eq_u32_e32 vcc_lo, 0, v1
	s_delay_alu instid0(VALU_DEP_2) | instskip(NEXT) | instid1(VALU_DEP_1)
	v_dual_cndmask_b32 v4, 0, v4, s10 :: v_dual_cndmask_b32 v54, v6, v5, vcc_lo
	v_cndmask_b32_e64 v4, v4, 0x78, vcc_lo
	s_delay_alu instid0(VALU_DEP_1) | instskip(NEXT) | instid1(VALU_DEP_3)
	v_add_nc_u32_e32 v5, 20, v4
	v_lshrrev_b64 v[10:11], v4, v[54:55]
	s_delay_alu instid0(VALU_DEP_2) | instskip(SKIP_1) | instid1(VALU_DEP_3)
	v_lshlrev_b64_e64 v[6:7], v5, -1
	v_add_nc_u32_e32 v5, 19, v4
	v_mov_b64_e32 v[16:17], v[10:11]
	s_delay_alu instid0(VALU_DEP_2) | instskip(NEXT) | instid1(VALU_DEP_4)
	v_lshlrev_b64_e64 v[8:9], v5, 1
	v_bfi_b32 v7, v7, 0, 0
	v_bfi_b32 v6, v6, 0, v54
	s_delay_alu instid0(VALU_DEP_1)
	v_cmpx_eq_u64_e64 v[6:7], v[8:9]
; %bb.14801:                            ;   in Loop: Header=BB6_13467 Depth=2
	v_bfe_u32 v54, v10, 20, 1
	s_delay_alu instid0(VALU_DEP_1) | instskip(NEXT) | instid1(VALU_DEP_1)
	v_add_nc_u64_e32 v[6:7], v[10:11], v[54:55]
	v_add_nc_u64_e32 v[16:17], -1, v[6:7]
; %bb.14802:                            ;   in Loop: Header=BB6_13467 Depth=2
	s_or_b32 exec_lo, exec_lo, s40
	v_add_nc_u32_e32 v1, 0xffffff81, v1
	v_lshrrev_b32_e32 v5, 23, v10
	s_mov_b32 s10, exec_lo
	s_delay_alu instid0(VALU_DEP_2) | instskip(NEXT) | instid1(VALU_DEP_1)
	v_cndmask_b32_e64 v1, v1, 0xffffff82, vcc_lo
	v_add3_u32 v5, v4, v1, v5
	v_and_b32_e32 v1, 0xfffff, v16
	s_delay_alu instid0(VALU_DEP_1) | instskip(NEXT) | instid1(VALU_DEP_1)
	v_dual_add_nc_u32 v4, 6, v5 :: v_dual_add_nc_u32 v54, v1, v10
                                        ; implicit-def: $vgpr10_vgpr11
                                        ; implicit-def: $vgpr1
	v_cmpx_ne_u32_e32 0, v4
	s_xor_b32 s10, exec_lo, s10
; %bb.14803:                            ;   in Loop: Header=BB6_13467 Depth=2
	s_delay_alu instid0(VALU_DEP_2) | instskip(SKIP_1) | instid1(VALU_DEP_1)
	v_cmp_lt_u64_e32 vcc_lo, 0xffffff, v[54:55]
	v_add_nc_u32_e32 v1, 7, v5
	v_cndmask_b32_e32 v1, v4, v1, vcc_lo
	v_cndmask_b32_e64 v4, 0, 1, vcc_lo
	s_delay_alu instid0(VALU_DEP_1)
	v_lshrrev_b64 v[10:11], v4, v[54:55]
; %bb.14804:                            ;   in Loop: Header=BB6_13467 Depth=2
	s_and_not1_saveexec_b32 s10, s10
; %bb.14805:                            ;   in Loop: Header=BB6_13467 Depth=2
	v_mov_b64_e32 v[10:11], v[54:55]
	v_bfe_u32 v1, v54, 23, 1
; %bb.14806:                            ;   in Loop: Header=BB6_13467 Depth=2
	s_or_b32 exec_lo, exec_lo, s10
	s_delay_alu instid0(VALU_DEP_2) | instskip(NEXT) | instid1(VALU_DEP_2)
	v_lshrrev_b64 v[4:5], 20, v[10:11]
	v_cmp_gt_i32_e32 vcc_lo, 16, v1
	v_min_i32_e32 v6, 15, v1
	v_cmp_eq_u32_e64 s10, 0, v1
	s_delay_alu instid0(VALU_DEP_2) | instskip(SKIP_1) | instid1(VALU_DEP_2)
	v_dual_cndmask_b32 v4, 7, v4, vcc_lo :: v_dual_lshlrev_b32 v6, 3, v6
	v_cndmask_b32_e32 v5, 0, v5, vcc_lo
	v_and_b32_e32 v6, 0xf8, v6
	s_delay_alu instid0(VALU_DEP_2) | instskip(NEXT) | instid1(VALU_DEP_2)
	v_cmp_eq_u64_e32 vcc_lo, 0, v[4:5]
	v_and_or_b32 v1, v4, 7, v6
	s_and_b32 s10, s10, vcc_lo
	s_delay_alu instid0(VALU_DEP_1) | instid1(SALU_CYCLE_1)
	v_cndmask_b32_e64 v1, v1, 0, s10
	s_delay_alu instid0(VALU_DEP_1)
	v_or_b32_e32 v115, v1, v0
.LBB6_14807:                            ;   in Loop: Header=BB6_13467 Depth=2
	s_or_b32 exec_lo, exec_lo, s29
                                        ; implicit-def: $vgpr0
.LBB6_14808:                            ;   in Loop: Header=BB6_13467 Depth=2
	s_and_not1_saveexec_b32 s10, s28
; %bb.14809:                            ;   in Loop: Header=BB6_13467 Depth=2
	v_or_b32_e32 v115, 0x7e, v0
; %bb.14810:                            ;   in Loop: Header=BB6_13467 Depth=2
	s_or_b32 exec_lo, exec_lo, s10
                                        ; implicit-def: $vgpr0
.LBB6_14811:                            ;   in Loop: Header=BB6_13467 Depth=2
	s_and_not1_saveexec_b32 s10, s27
; %bb.14812:                            ;   in Loop: Header=BB6_13467 Depth=2
	v_or_b32_e32 v115, 0x7f, v0
; %bb.14813:                            ;   in Loop: Header=BB6_13467 Depth=2
	s_or_b32 exec_lo, exec_lo, s10
	v_lshrrev_b16 v1, 8, v12
	v_mov_b32_e32 v0, 0
	s_mov_b32 s10, exec_lo
	s_delay_alu instid0(VALU_DEP_2)
	v_cmpx_ne_u16_e32 0, v1
	s_cbranch_execz .LBB6_14821
; %bb.14814:                            ;   in Loop: Header=BB6_13467 Depth=2
	v_bfrev_b32_e32 v0, 1
	s_mov_b32 s27, exec_lo
	v_cmpx_ne_u16_e32 0x80, v1
	s_cbranch_execz .LBB6_14820
; %bb.14815:                            ;   in Loop: Header=BB6_13467 Depth=2
	v_and_b32_e32 v4, 0xffff, v1
	v_mov_b32_e32 v0, 0x7f800001
	s_mov_b32 s28, exec_lo
	s_delay_alu instid0(VALU_DEP_2) | instskip(NEXT) | instid1(VALU_DEP_1)
	v_and_b32_e32 v1, 0x7f, v4
	v_cmpx_ne_u32_e32 0x7f, v1
	s_cbranch_execz .LBB6_14819
; %bb.14816:                            ;   in Loop: Header=BB6_13467 Depth=2
	v_dual_lshrrev_b32 v0, 3, v1 :: v_dual_bitop2_b32 v54, 7, v4 bitop3:0x40
	s_mov_b32 s29, exec_lo
	v_cmpx_gt_u32_e32 8, v1
; %bb.14817:                            ;   in Loop: Header=BB6_13467 Depth=2
	s_delay_alu instid0(VALU_DEP_2) | instskip(NEXT) | instid1(VALU_DEP_1)
	v_clz_i32_u32_e32 v0, v54
	v_min_u32_e32 v0, 32, v0
	s_delay_alu instid0(VALU_DEP_1) | instskip(SKIP_1) | instid1(VALU_DEP_2)
	v_subrev_nc_u32_e32 v1, 28, v0
	v_sub_nc_u32_e32 v0, 29, v0
	v_lshlrev_b64_e32 v[4:5], v1, v[54:55]
	s_delay_alu instid0(VALU_DEP_1)
	v_and_b32_e32 v54, 7, v4
; %bb.14818:                            ;   in Loop: Header=BB6_13467 Depth=2
	s_or_b32 exec_lo, exec_lo, s29
	s_delay_alu instid0(VALU_DEP_1) | instskip(SKIP_1) | instid1(VALU_DEP_2)
	v_dual_lshlrev_b32 v1, 16, v12 :: v_dual_lshlrev_b32 v4, 20, v54
	v_lshl_add_u32 v0, v0, 23, 0x3c000000
	v_and_b32_e32 v1, 0x80000000, v1
	s_delay_alu instid0(VALU_DEP_1)
	v_or3_b32 v0, v4, v1, v0
.LBB6_14819:                            ;   in Loop: Header=BB6_13467 Depth=2
	s_or_b32 exec_lo, exec_lo, s28
.LBB6_14820:                            ;   in Loop: Header=BB6_13467 Depth=2
	s_delay_alu instid0(SALU_CYCLE_1)
	s_or_b32 exec_lo, exec_lo, s27
.LBB6_14821:                            ;   in Loop: Header=BB6_13467 Depth=2
	s_delay_alu instid0(SALU_CYCLE_1) | instskip(NEXT) | instid1(VALU_DEP_1)
	s_or_b32 exec_lo, exec_lo, s10
	v_mul_f32_e32 v1, s26, v0
                                        ; implicit-def: $vgpr114
	s_mov_b32 s10, exec_lo
	s_delay_alu instid0(VALU_DEP_1) | instskip(SKIP_1) | instid1(VALU_DEP_2)
	v_and_b32_e32 v54, 0x7f800000, v1
	v_lshrrev_b32_e32 v0, 24, v1
	v_cmpx_ne_u64_e32 0x7f800000, v[54:55]
	s_xor_b32 s27, exec_lo, s10
	s_cbranch_execz .LBB6_14835
; %bb.14822:                            ;   in Loop: Header=BB6_13467 Depth=2
	v_and_b32_e32 v54, 0x7fffffff, v1
	v_and_b32_e32 v0, 0x80, v0
                                        ; implicit-def: $vgpr114
	s_mov_b32 s10, exec_lo
	s_delay_alu instid0(VALU_DEP_2)
	v_cmpx_gt_u64_e32 0x43e00001, v[54:55]
	s_xor_b32 s28, exec_lo, s10
	s_cbranch_execz .LBB6_14832
; %bb.14823:                            ;   in Loop: Header=BB6_13467 Depth=2
	v_mov_b32_e32 v114, 0
	s_mov_b32 s29, exec_lo
	v_cmpx_ne_u32_e32 0, v1
	s_cbranch_execz .LBB6_14831
; %bb.14824:                            ;   in Loop: Header=BB6_13467 Depth=2
	v_and_b32_e32 v5, 0x7fffff, v1
	v_bfe_u32 v1, v1, 23, 8
	s_mov_b32 s40, exec_lo
	s_delay_alu instid0(VALU_DEP_2) | instskip(NEXT) | instid1(VALU_DEP_2)
	v_or_b32_e32 v6, 0x800000, v5
	v_cmp_gt_u32_e64 s10, 0x7a, v1
	v_sub_nc_u32_e32 v4, 0x79, v1
	v_cmp_eq_u32_e32 vcc_lo, 0, v1
	s_delay_alu instid0(VALU_DEP_2) | instskip(NEXT) | instid1(VALU_DEP_1)
	v_dual_cndmask_b32 v4, 0, v4, s10 :: v_dual_cndmask_b32 v54, v6, v5, vcc_lo
	v_cndmask_b32_e64 v4, v4, 0x78, vcc_lo
	s_delay_alu instid0(VALU_DEP_1) | instskip(NEXT) | instid1(VALU_DEP_3)
	v_add_nc_u32_e32 v5, 20, v4
	v_lshrrev_b64 v[10:11], v4, v[54:55]
	s_delay_alu instid0(VALU_DEP_2) | instskip(SKIP_1) | instid1(VALU_DEP_3)
	v_lshlrev_b64_e64 v[6:7], v5, -1
	v_add_nc_u32_e32 v5, 19, v4
	v_mov_b64_e32 v[16:17], v[10:11]
	s_delay_alu instid0(VALU_DEP_2) | instskip(NEXT) | instid1(VALU_DEP_4)
	v_lshlrev_b64_e64 v[8:9], v5, 1
	v_bfi_b32 v7, v7, 0, 0
	v_bfi_b32 v6, v6, 0, v54
	s_delay_alu instid0(VALU_DEP_1)
	v_cmpx_eq_u64_e64 v[6:7], v[8:9]
; %bb.14825:                            ;   in Loop: Header=BB6_13467 Depth=2
	v_bfe_u32 v54, v10, 20, 1
	s_delay_alu instid0(VALU_DEP_1) | instskip(NEXT) | instid1(VALU_DEP_1)
	v_add_nc_u64_e32 v[6:7], v[10:11], v[54:55]
	v_add_nc_u64_e32 v[16:17], -1, v[6:7]
; %bb.14826:                            ;   in Loop: Header=BB6_13467 Depth=2
	s_or_b32 exec_lo, exec_lo, s40
	v_add_nc_u32_e32 v1, 0xffffff81, v1
	v_lshrrev_b32_e32 v5, 23, v10
	s_mov_b32 s10, exec_lo
	s_delay_alu instid0(VALU_DEP_2) | instskip(NEXT) | instid1(VALU_DEP_1)
	v_cndmask_b32_e64 v1, v1, 0xffffff82, vcc_lo
	v_add3_u32 v5, v4, v1, v5
	v_and_b32_e32 v1, 0xfffff, v16
	s_delay_alu instid0(VALU_DEP_1) | instskip(NEXT) | instid1(VALU_DEP_1)
	v_dual_add_nc_u32 v4, 6, v5 :: v_dual_add_nc_u32 v54, v1, v10
                                        ; implicit-def: $vgpr10_vgpr11
                                        ; implicit-def: $vgpr1
	v_cmpx_ne_u32_e32 0, v4
	s_xor_b32 s10, exec_lo, s10
; %bb.14827:                            ;   in Loop: Header=BB6_13467 Depth=2
	s_delay_alu instid0(VALU_DEP_2) | instskip(SKIP_1) | instid1(VALU_DEP_1)
	v_cmp_lt_u64_e32 vcc_lo, 0xffffff, v[54:55]
	v_add_nc_u32_e32 v1, 7, v5
	v_cndmask_b32_e32 v1, v4, v1, vcc_lo
	v_cndmask_b32_e64 v4, 0, 1, vcc_lo
	s_delay_alu instid0(VALU_DEP_1)
	v_lshrrev_b64 v[10:11], v4, v[54:55]
; %bb.14828:                            ;   in Loop: Header=BB6_13467 Depth=2
	s_and_not1_saveexec_b32 s10, s10
; %bb.14829:                            ;   in Loop: Header=BB6_13467 Depth=2
	v_mov_b64_e32 v[10:11], v[54:55]
	v_bfe_u32 v1, v54, 23, 1
; %bb.14830:                            ;   in Loop: Header=BB6_13467 Depth=2
	s_or_b32 exec_lo, exec_lo, s10
	s_delay_alu instid0(VALU_DEP_2) | instskip(NEXT) | instid1(VALU_DEP_2)
	v_lshrrev_b64 v[4:5], 20, v[10:11]
	v_cmp_gt_i32_e32 vcc_lo, 16, v1
	v_min_i32_e32 v6, 15, v1
	v_cmp_eq_u32_e64 s10, 0, v1
	s_delay_alu instid0(VALU_DEP_2) | instskip(SKIP_1) | instid1(VALU_DEP_2)
	v_dual_cndmask_b32 v4, 7, v4, vcc_lo :: v_dual_lshlrev_b32 v6, 3, v6
	v_cndmask_b32_e32 v5, 0, v5, vcc_lo
	v_and_b32_e32 v6, 0xf8, v6
	s_delay_alu instid0(VALU_DEP_2) | instskip(NEXT) | instid1(VALU_DEP_2)
	v_cmp_eq_u64_e32 vcc_lo, 0, v[4:5]
	v_and_or_b32 v1, v4, 7, v6
	s_and_b32 s10, s10, vcc_lo
	s_delay_alu instid0(VALU_DEP_1) | instid1(SALU_CYCLE_1)
	v_cndmask_b32_e64 v1, v1, 0, s10
	s_delay_alu instid0(VALU_DEP_1)
	v_or_b32_e32 v114, v1, v0
.LBB6_14831:                            ;   in Loop: Header=BB6_13467 Depth=2
	s_or_b32 exec_lo, exec_lo, s29
                                        ; implicit-def: $vgpr0
.LBB6_14832:                            ;   in Loop: Header=BB6_13467 Depth=2
	s_and_not1_saveexec_b32 s10, s28
; %bb.14833:                            ;   in Loop: Header=BB6_13467 Depth=2
	v_or_b32_e32 v114, 0x7e, v0
; %bb.14834:                            ;   in Loop: Header=BB6_13467 Depth=2
	s_or_b32 exec_lo, exec_lo, s10
                                        ; implicit-def: $vgpr0
.LBB6_14835:                            ;   in Loop: Header=BB6_13467 Depth=2
	s_and_not1_saveexec_b32 s10, s27
; %bb.14836:                            ;   in Loop: Header=BB6_13467 Depth=2
	v_or_b32_e32 v114, 0x7f, v0
; %bb.14837:                            ;   in Loop: Header=BB6_13467 Depth=2
	s_or_b32 exec_lo, exec_lo, s10
	v_dual_mov_b32 v1, 0 :: v_dual_lshrrev_b32 v0, 16, v12
	s_mov_b32 s10, exec_lo
	s_delay_alu instid0(VALU_DEP_1) | instskip(NEXT) | instid1(VALU_DEP_1)
	v_and_b32_e32 v4, 0xff, v0
	v_cmpx_ne_u16_e32 0, v4
	s_cbranch_execz .LBB6_14845
; %bb.14838:                            ;   in Loop: Header=BB6_13467 Depth=2
	v_bfrev_b32_e32 v1, 1
	s_mov_b32 s27, exec_lo
	v_cmpx_ne_u16_e32 0x80, v4
	s_cbranch_execz .LBB6_14844
; %bb.14839:                            ;   in Loop: Header=BB6_13467 Depth=2
	v_bfe_u32 v4, v12, 16, 7
	v_mov_b32_e32 v1, 0x7f800001
	s_mov_b32 s28, exec_lo
	s_delay_alu instid0(VALU_DEP_2)
	v_cmpx_ne_u32_e32 0x7f, v4
	s_cbranch_execz .LBB6_14843
; %bb.14840:                            ;   in Loop: Header=BB6_13467 Depth=2
	v_and_b32_e32 v54, 7, v0
	v_lshrrev_b32_e32 v1, 3, v4
	s_mov_b32 s29, exec_lo
	v_cmpx_gt_u32_e32 8, v4
; %bb.14841:                            ;   in Loop: Header=BB6_13467 Depth=2
	s_delay_alu instid0(VALU_DEP_3) | instskip(NEXT) | instid1(VALU_DEP_1)
	v_clz_i32_u32_e32 v1, v54
	v_min_u32_e32 v1, 32, v1
	s_delay_alu instid0(VALU_DEP_1) | instskip(NEXT) | instid1(VALU_DEP_1)
	v_subrev_nc_u32_e32 v4, 28, v1
	v_lshlrev_b64_e32 v[4:5], v4, v[54:55]
	s_delay_alu instid0(VALU_DEP_1)
	v_dual_sub_nc_u32 v1, 29, v1 :: v_dual_bitop2_b32 v54, 7, v4 bitop3:0x40
; %bb.14842:                            ;   in Loop: Header=BB6_13467 Depth=2
	s_or_b32 exec_lo, exec_lo, s29
	s_delay_alu instid0(VALU_DEP_1) | instskip(NEXT) | instid1(VALU_DEP_2)
	v_dual_lshlrev_b32 v0, 24, v0 :: v_dual_lshlrev_b32 v4, 20, v54
	v_lshl_add_u32 v1, v1, 23, 0x3c000000
	s_delay_alu instid0(VALU_DEP_2) | instskip(NEXT) | instid1(VALU_DEP_1)
	v_and_b32_e32 v0, 0x80000000, v0
	v_or3_b32 v1, v4, v0, v1
.LBB6_14843:                            ;   in Loop: Header=BB6_13467 Depth=2
	s_or_b32 exec_lo, exec_lo, s28
.LBB6_14844:                            ;   in Loop: Header=BB6_13467 Depth=2
	s_delay_alu instid0(SALU_CYCLE_1)
	s_or_b32 exec_lo, exec_lo, s27
.LBB6_14845:                            ;   in Loop: Header=BB6_13467 Depth=2
	s_delay_alu instid0(SALU_CYCLE_1) | instskip(NEXT) | instid1(VALU_DEP_1)
	s_or_b32 exec_lo, exec_lo, s10
	v_mul_f32_e32 v1, s26, v1
                                        ; implicit-def: $vgpr28
	s_mov_b32 s10, exec_lo
	s_delay_alu instid0(VALU_DEP_1) | instskip(SKIP_1) | instid1(VALU_DEP_2)
	v_and_b32_e32 v54, 0x7f800000, v1
	v_lshrrev_b32_e32 v0, 24, v1
	v_cmpx_ne_u64_e32 0x7f800000, v[54:55]
	s_xor_b32 s27, exec_lo, s10
	s_cbranch_execz .LBB6_14859
; %bb.14846:                            ;   in Loop: Header=BB6_13467 Depth=2
	v_and_b32_e32 v54, 0x7fffffff, v1
	v_and_b32_e32 v0, 0x80, v0
                                        ; implicit-def: $vgpr28
	s_mov_b32 s10, exec_lo
	s_delay_alu instid0(VALU_DEP_2)
	v_cmpx_gt_u64_e32 0x43e00001, v[54:55]
	s_xor_b32 s28, exec_lo, s10
	s_cbranch_execz .LBB6_14856
; %bb.14847:                            ;   in Loop: Header=BB6_13467 Depth=2
	v_mov_b32_e32 v28, 0
	s_mov_b32 s29, exec_lo
	v_cmpx_ne_u32_e32 0, v1
	s_cbranch_execz .LBB6_14855
; %bb.14848:                            ;   in Loop: Header=BB6_13467 Depth=2
	v_and_b32_e32 v5, 0x7fffff, v1
	v_bfe_u32 v1, v1, 23, 8
	s_mov_b32 s40, exec_lo
	s_delay_alu instid0(VALU_DEP_2) | instskip(NEXT) | instid1(VALU_DEP_2)
	v_or_b32_e32 v6, 0x800000, v5
	v_cmp_gt_u32_e64 s10, 0x7a, v1
	v_sub_nc_u32_e32 v4, 0x79, v1
	v_cmp_eq_u32_e32 vcc_lo, 0, v1
	s_delay_alu instid0(VALU_DEP_2) | instskip(NEXT) | instid1(VALU_DEP_1)
	v_dual_cndmask_b32 v4, 0, v4, s10 :: v_dual_cndmask_b32 v54, v6, v5, vcc_lo
	v_cndmask_b32_e64 v4, v4, 0x78, vcc_lo
	s_delay_alu instid0(VALU_DEP_1) | instskip(NEXT) | instid1(VALU_DEP_3)
	v_add_nc_u32_e32 v5, 20, v4
	v_lshrrev_b64 v[10:11], v4, v[54:55]
	s_delay_alu instid0(VALU_DEP_2) | instskip(SKIP_1) | instid1(VALU_DEP_3)
	v_lshlrev_b64_e64 v[6:7], v5, -1
	v_add_nc_u32_e32 v5, 19, v4
	v_mov_b64_e32 v[16:17], v[10:11]
	s_delay_alu instid0(VALU_DEP_2) | instskip(NEXT) | instid1(VALU_DEP_4)
	v_lshlrev_b64_e64 v[8:9], v5, 1
	v_bfi_b32 v7, v7, 0, 0
	v_bfi_b32 v6, v6, 0, v54
	s_delay_alu instid0(VALU_DEP_1)
	v_cmpx_eq_u64_e64 v[6:7], v[8:9]
; %bb.14849:                            ;   in Loop: Header=BB6_13467 Depth=2
	v_bfe_u32 v54, v10, 20, 1
	s_delay_alu instid0(VALU_DEP_1) | instskip(NEXT) | instid1(VALU_DEP_1)
	v_add_nc_u64_e32 v[6:7], v[10:11], v[54:55]
	v_add_nc_u64_e32 v[16:17], -1, v[6:7]
; %bb.14850:                            ;   in Loop: Header=BB6_13467 Depth=2
	s_or_b32 exec_lo, exec_lo, s40
	v_add_nc_u32_e32 v1, 0xffffff81, v1
	v_lshrrev_b32_e32 v5, 23, v10
	s_mov_b32 s10, exec_lo
	s_delay_alu instid0(VALU_DEP_2) | instskip(NEXT) | instid1(VALU_DEP_1)
	v_cndmask_b32_e64 v1, v1, 0xffffff82, vcc_lo
	v_add3_u32 v5, v4, v1, v5
	v_and_b32_e32 v1, 0xfffff, v16
	s_delay_alu instid0(VALU_DEP_1) | instskip(NEXT) | instid1(VALU_DEP_1)
	v_dual_add_nc_u32 v4, 6, v5 :: v_dual_add_nc_u32 v54, v1, v10
                                        ; implicit-def: $vgpr10_vgpr11
                                        ; implicit-def: $vgpr1
	v_cmpx_ne_u32_e32 0, v4
	s_xor_b32 s10, exec_lo, s10
; %bb.14851:                            ;   in Loop: Header=BB6_13467 Depth=2
	s_delay_alu instid0(VALU_DEP_2) | instskip(SKIP_1) | instid1(VALU_DEP_1)
	v_cmp_lt_u64_e32 vcc_lo, 0xffffff, v[54:55]
	v_add_nc_u32_e32 v1, 7, v5
	v_cndmask_b32_e32 v1, v4, v1, vcc_lo
	v_cndmask_b32_e64 v4, 0, 1, vcc_lo
	s_delay_alu instid0(VALU_DEP_1)
	v_lshrrev_b64 v[10:11], v4, v[54:55]
; %bb.14852:                            ;   in Loop: Header=BB6_13467 Depth=2
	s_and_not1_saveexec_b32 s10, s10
; %bb.14853:                            ;   in Loop: Header=BB6_13467 Depth=2
	v_mov_b64_e32 v[10:11], v[54:55]
	v_bfe_u32 v1, v54, 23, 1
; %bb.14854:                            ;   in Loop: Header=BB6_13467 Depth=2
	s_or_b32 exec_lo, exec_lo, s10
	s_delay_alu instid0(VALU_DEP_2) | instskip(NEXT) | instid1(VALU_DEP_2)
	v_lshrrev_b64 v[4:5], 20, v[10:11]
	v_cmp_gt_i32_e32 vcc_lo, 16, v1
	v_min_i32_e32 v6, 15, v1
	v_cmp_eq_u32_e64 s10, 0, v1
	s_delay_alu instid0(VALU_DEP_2) | instskip(SKIP_1) | instid1(VALU_DEP_2)
	v_dual_cndmask_b32 v4, 7, v4, vcc_lo :: v_dual_lshlrev_b32 v6, 3, v6
	v_cndmask_b32_e32 v5, 0, v5, vcc_lo
	v_and_b32_e32 v6, 0xf8, v6
	s_delay_alu instid0(VALU_DEP_2) | instskip(NEXT) | instid1(VALU_DEP_2)
	v_cmp_eq_u64_e32 vcc_lo, 0, v[4:5]
	v_and_or_b32 v1, v4, 7, v6
	s_and_b32 s10, s10, vcc_lo
	s_delay_alu instid0(VALU_DEP_1) | instid1(SALU_CYCLE_1)
	v_cndmask_b32_e64 v1, v1, 0, s10
	s_delay_alu instid0(VALU_DEP_1)
	v_or_b32_e32 v28, v1, v0
.LBB6_14855:                            ;   in Loop: Header=BB6_13467 Depth=2
	s_or_b32 exec_lo, exec_lo, s29
                                        ; implicit-def: $vgpr0
.LBB6_14856:                            ;   in Loop: Header=BB6_13467 Depth=2
	s_and_not1_saveexec_b32 s10, s28
; %bb.14857:                            ;   in Loop: Header=BB6_13467 Depth=2
	v_or_b32_e32 v28, 0x7e, v0
; %bb.14858:                            ;   in Loop: Header=BB6_13467 Depth=2
	s_or_b32 exec_lo, exec_lo, s10
                                        ; implicit-def: $vgpr0
.LBB6_14859:                            ;   in Loop: Header=BB6_13467 Depth=2
	s_and_not1_saveexec_b32 s10, s27
; %bb.14860:                            ;   in Loop: Header=BB6_13467 Depth=2
	v_or_b32_e32 v28, 0x7f, v0
; %bb.14861:                            ;   in Loop: Header=BB6_13467 Depth=2
	s_or_b32 exec_lo, exec_lo, s10
	v_mov_b32_e32 v1, 0
	s_mov_b32 s10, exec_lo
	v_cmpx_lt_u32_e32 0xffffff, v12
	s_cbranch_execz .LBB6_14869
; %bb.14862:                            ;   in Loop: Header=BB6_13467 Depth=2
	v_lshrrev_b32_e32 v0, 24, v12
	v_bfrev_b32_e32 v1, 1
	s_mov_b32 s27, exec_lo
	s_delay_alu instid0(VALU_DEP_2)
	v_cmpx_ne_u32_e32 0x80, v0
	s_cbranch_execz .LBB6_14868
; %bb.14863:                            ;   in Loop: Header=BB6_13467 Depth=2
	v_bfe_u32 v4, v12, 24, 7
	v_mov_b32_e32 v1, 0x7f800001
	s_mov_b32 s28, exec_lo
	s_delay_alu instid0(VALU_DEP_2)
	v_cmpx_ne_u32_e32 0x7f, v4
	s_cbranch_execz .LBB6_14867
; %bb.14864:                            ;   in Loop: Header=BB6_13467 Depth=2
	v_and_b32_e32 v54, 7, v0
	v_lshrrev_b32_e32 v1, 3, v4
	s_mov_b32 s29, exec_lo
	v_cmpx_gt_u32_e32 8, v4
; %bb.14865:                            ;   in Loop: Header=BB6_13467 Depth=2
	s_delay_alu instid0(VALU_DEP_3) | instskip(NEXT) | instid1(VALU_DEP_1)
	v_clz_i32_u32_e32 v1, v54
	v_min_u32_e32 v1, 32, v1
	s_delay_alu instid0(VALU_DEP_1) | instskip(NEXT) | instid1(VALU_DEP_1)
	v_subrev_nc_u32_e32 v4, 28, v1
	v_lshlrev_b64_e32 v[4:5], v4, v[54:55]
	s_delay_alu instid0(VALU_DEP_1)
	v_dual_sub_nc_u32 v1, 29, v1 :: v_dual_bitop2_b32 v54, 7, v4 bitop3:0x40
; %bb.14866:                            ;   in Loop: Header=BB6_13467 Depth=2
	s_or_b32 exec_lo, exec_lo, s29
	s_delay_alu instid0(VALU_DEP_1) | instskip(NEXT) | instid1(VALU_DEP_2)
	v_dual_lshlrev_b32 v0, 24, v0 :: v_dual_lshlrev_b32 v4, 20, v54
	v_lshl_add_u32 v1, v1, 23, 0x3c000000
	s_delay_alu instid0(VALU_DEP_2) | instskip(NEXT) | instid1(VALU_DEP_1)
	v_and_b32_e32 v0, 0x80000000, v0
	v_or3_b32 v1, v4, v0, v1
.LBB6_14867:                            ;   in Loop: Header=BB6_13467 Depth=2
	s_or_b32 exec_lo, exec_lo, s28
.LBB6_14868:                            ;   in Loop: Header=BB6_13467 Depth=2
	s_delay_alu instid0(SALU_CYCLE_1)
	s_or_b32 exec_lo, exec_lo, s27
.LBB6_14869:                            ;   in Loop: Header=BB6_13467 Depth=2
	s_delay_alu instid0(SALU_CYCLE_1) | instskip(NEXT) | instid1(VALU_DEP_1)
	s_or_b32 exec_lo, exec_lo, s10
	v_mul_f32_e32 v1, s26, v1
                                        ; implicit-def: $vgpr29
	s_mov_b32 s10, exec_lo
	s_delay_alu instid0(VALU_DEP_1) | instskip(SKIP_1) | instid1(VALU_DEP_2)
	v_and_b32_e32 v54, 0x7f800000, v1
	v_lshrrev_b32_e32 v0, 24, v1
	v_cmpx_ne_u64_e32 0x7f800000, v[54:55]
	s_xor_b32 s27, exec_lo, s10
	s_cbranch_execz .LBB6_14883
; %bb.14870:                            ;   in Loop: Header=BB6_13467 Depth=2
	v_and_b32_e32 v54, 0x7fffffff, v1
	v_and_b32_e32 v0, 0x80, v0
                                        ; implicit-def: $vgpr29
	s_mov_b32 s10, exec_lo
	s_delay_alu instid0(VALU_DEP_2)
	v_cmpx_gt_u64_e32 0x43e00001, v[54:55]
	s_xor_b32 s28, exec_lo, s10
	s_cbranch_execz .LBB6_14880
; %bb.14871:                            ;   in Loop: Header=BB6_13467 Depth=2
	v_mov_b32_e32 v29, 0
	s_mov_b32 s29, exec_lo
	v_cmpx_ne_u32_e32 0, v1
	s_cbranch_execz .LBB6_14879
; %bb.14872:                            ;   in Loop: Header=BB6_13467 Depth=2
	v_and_b32_e32 v5, 0x7fffff, v1
	v_bfe_u32 v1, v1, 23, 8
	s_mov_b32 s40, exec_lo
	s_delay_alu instid0(VALU_DEP_2) | instskip(NEXT) | instid1(VALU_DEP_2)
	v_or_b32_e32 v6, 0x800000, v5
	v_cmp_gt_u32_e64 s10, 0x7a, v1
	v_sub_nc_u32_e32 v4, 0x79, v1
	v_cmp_eq_u32_e32 vcc_lo, 0, v1
	s_delay_alu instid0(VALU_DEP_2) | instskip(NEXT) | instid1(VALU_DEP_1)
	v_dual_cndmask_b32 v4, 0, v4, s10 :: v_dual_cndmask_b32 v54, v6, v5, vcc_lo
	v_cndmask_b32_e64 v4, v4, 0x78, vcc_lo
	s_delay_alu instid0(VALU_DEP_1) | instskip(NEXT) | instid1(VALU_DEP_3)
	v_add_nc_u32_e32 v5, 20, v4
	v_lshrrev_b64 v[10:11], v4, v[54:55]
	s_delay_alu instid0(VALU_DEP_2) | instskip(SKIP_1) | instid1(VALU_DEP_3)
	v_lshlrev_b64_e64 v[6:7], v5, -1
	v_add_nc_u32_e32 v5, 19, v4
	v_mov_b64_e32 v[16:17], v[10:11]
	s_delay_alu instid0(VALU_DEP_2) | instskip(NEXT) | instid1(VALU_DEP_4)
	v_lshlrev_b64_e64 v[8:9], v5, 1
	v_bfi_b32 v7, v7, 0, 0
	v_bfi_b32 v6, v6, 0, v54
	s_delay_alu instid0(VALU_DEP_1)
	v_cmpx_eq_u64_e64 v[6:7], v[8:9]
; %bb.14873:                            ;   in Loop: Header=BB6_13467 Depth=2
	v_bfe_u32 v54, v10, 20, 1
	s_delay_alu instid0(VALU_DEP_1) | instskip(NEXT) | instid1(VALU_DEP_1)
	v_add_nc_u64_e32 v[6:7], v[10:11], v[54:55]
	v_add_nc_u64_e32 v[16:17], -1, v[6:7]
; %bb.14874:                            ;   in Loop: Header=BB6_13467 Depth=2
	s_or_b32 exec_lo, exec_lo, s40
	v_add_nc_u32_e32 v1, 0xffffff81, v1
	v_lshrrev_b32_e32 v5, 23, v10
	s_mov_b32 s10, exec_lo
	s_delay_alu instid0(VALU_DEP_2) | instskip(NEXT) | instid1(VALU_DEP_1)
	v_cndmask_b32_e64 v1, v1, 0xffffff82, vcc_lo
	v_add3_u32 v5, v4, v1, v5
	v_and_b32_e32 v1, 0xfffff, v16
	s_delay_alu instid0(VALU_DEP_1) | instskip(NEXT) | instid1(VALU_DEP_1)
	v_dual_add_nc_u32 v4, 6, v5 :: v_dual_add_nc_u32 v54, v1, v10
                                        ; implicit-def: $vgpr10_vgpr11
                                        ; implicit-def: $vgpr1
	v_cmpx_ne_u32_e32 0, v4
	s_xor_b32 s10, exec_lo, s10
; %bb.14875:                            ;   in Loop: Header=BB6_13467 Depth=2
	s_delay_alu instid0(VALU_DEP_2) | instskip(SKIP_1) | instid1(VALU_DEP_1)
	v_cmp_lt_u64_e32 vcc_lo, 0xffffff, v[54:55]
	v_add_nc_u32_e32 v1, 7, v5
	v_cndmask_b32_e32 v1, v4, v1, vcc_lo
	v_cndmask_b32_e64 v4, 0, 1, vcc_lo
	s_delay_alu instid0(VALU_DEP_1)
	v_lshrrev_b64 v[10:11], v4, v[54:55]
; %bb.14876:                            ;   in Loop: Header=BB6_13467 Depth=2
	s_and_not1_saveexec_b32 s10, s10
; %bb.14877:                            ;   in Loop: Header=BB6_13467 Depth=2
	v_mov_b64_e32 v[10:11], v[54:55]
	v_bfe_u32 v1, v54, 23, 1
; %bb.14878:                            ;   in Loop: Header=BB6_13467 Depth=2
	s_or_b32 exec_lo, exec_lo, s10
	s_delay_alu instid0(VALU_DEP_2) | instskip(NEXT) | instid1(VALU_DEP_2)
	v_lshrrev_b64 v[4:5], 20, v[10:11]
	v_cmp_gt_i32_e32 vcc_lo, 16, v1
	v_min_i32_e32 v6, 15, v1
	v_cmp_eq_u32_e64 s10, 0, v1
	s_delay_alu instid0(VALU_DEP_2) | instskip(SKIP_1) | instid1(VALU_DEP_2)
	v_dual_cndmask_b32 v4, 7, v4, vcc_lo :: v_dual_lshlrev_b32 v6, 3, v6
	v_cndmask_b32_e32 v5, 0, v5, vcc_lo
	v_and_b32_e32 v6, 0xf8, v6
	s_delay_alu instid0(VALU_DEP_2) | instskip(NEXT) | instid1(VALU_DEP_2)
	v_cmp_eq_u64_e32 vcc_lo, 0, v[4:5]
	v_and_or_b32 v1, v4, 7, v6
	s_and_b32 s10, s10, vcc_lo
	s_delay_alu instid0(VALU_DEP_1) | instid1(SALU_CYCLE_1)
	v_cndmask_b32_e64 v1, v1, 0, s10
	s_delay_alu instid0(VALU_DEP_1)
	v_or_b32_e32 v29, v1, v0
.LBB6_14879:                            ;   in Loop: Header=BB6_13467 Depth=2
	s_or_b32 exec_lo, exec_lo, s29
                                        ; implicit-def: $vgpr0
.LBB6_14880:                            ;   in Loop: Header=BB6_13467 Depth=2
	s_and_not1_saveexec_b32 s10, s28
; %bb.14881:                            ;   in Loop: Header=BB6_13467 Depth=2
	v_or_b32_e32 v29, 0x7e, v0
; %bb.14882:                            ;   in Loop: Header=BB6_13467 Depth=2
	s_or_b32 exec_lo, exec_lo, s10
                                        ; implicit-def: $vgpr0
.LBB6_14883:                            ;   in Loop: Header=BB6_13467 Depth=2
	s_and_not1_saveexec_b32 s10, s27
; %bb.14884:                            ;   in Loop: Header=BB6_13467 Depth=2
	v_or_b32_e32 v29, 0x7f, v0
; %bb.14885:                            ;   in Loop: Header=BB6_13467 Depth=2
	s_or_b32 exec_lo, exec_lo, s10
	v_and_b32_e32 v1, 0xff, v13
	v_dual_mov_b32 v54, v13 :: v_dual_mov_b32 v0, 0
	s_mov_b32 s10, exec_lo
	s_delay_alu instid0(VALU_DEP_2)
	v_cmpx_ne_u16_e32 0, v1
	s_cbranch_execz .LBB6_14891
; %bb.14886:                            ;   in Loop: Header=BB6_13467 Depth=2
	v_bfrev_b32_e32 v0, 1
	s_mov_b32 s27, exec_lo
	v_cmpx_ne_u16_e32 0x80, v1
	s_cbranch_execz .LBB6_14890
; %bb.14887:                            ;   in Loop: Header=BB6_13467 Depth=2
	v_and_b32_e32 v1, 0x7f, v13
	v_mov_b32_e32 v0, 0x7f800001
	s_mov_b32 s28, exec_lo
	s_delay_alu instid0(VALU_DEP_2)
	v_cmpx_ne_u32_e32 0x7f, v1
	s_cbranch_execz .LBB6_14889
; %bb.14888:                            ;   in Loop: Header=BB6_13467 Depth=2
	v_and_b32_e32 v0, 7, v13
	v_cmp_gt_u32_e32 vcc_lo, 8, v1
	s_delay_alu instid0(VALU_DEP_2) | instskip(NEXT) | instid1(VALU_DEP_1)
	v_clz_i32_u32_e32 v0, v0
	v_min_u32_e32 v0, 32, v0
	v_lshrrev_b32_e32 v4, 3, v1
	s_delay_alu instid0(VALU_DEP_2) | instskip(SKIP_1) | instid1(VALU_DEP_1)
	v_subrev_nc_u32_e32 v1, 28, v0
	v_sub_nc_u32_e32 v0, 29, v0
	v_dual_cndmask_b32 v4, v4, v0, vcc_lo :: v_dual_cndmask_b32 v0, 0, v1, vcc_lo
	s_delay_alu instid0(VALU_DEP_1) | instskip(NEXT) | instid1(VALU_DEP_2)
	v_lshl_add_u32 v4, v4, 23, 0x3c000000
	v_lshlrev_b64_e32 v[0:1], v0, v[54:55]
	v_lshlrev_b32_e32 v1, 24, v54
	s_delay_alu instid0(VALU_DEP_1) | instskip(NEXT) | instid1(VALU_DEP_3)
	v_and_b32_e32 v1, 0x80000000, v1
	v_lshlrev_b32_e32 v0, 20, v0
	s_delay_alu instid0(VALU_DEP_1) | instskip(NEXT) | instid1(VALU_DEP_1)
	v_and_b32_e32 v0, 0x700000, v0
	v_or3_b32 v0, v0, v1, v4
.LBB6_14889:                            ;   in Loop: Header=BB6_13467 Depth=2
	s_or_b32 exec_lo, exec_lo, s28
.LBB6_14890:                            ;   in Loop: Header=BB6_13467 Depth=2
	s_delay_alu instid0(SALU_CYCLE_1)
	s_or_b32 exec_lo, exec_lo, s27
.LBB6_14891:                            ;   in Loop: Header=BB6_13467 Depth=2
	s_delay_alu instid0(SALU_CYCLE_1) | instskip(NEXT) | instid1(VALU_DEP_1)
	s_or_b32 exec_lo, exec_lo, s10
	v_dual_mul_f32 v1, s26, v0 :: v_dual_mov_b32 v5, v55
                                        ; implicit-def: $vgpr116
	s_mov_b32 s10, exec_lo
	s_delay_alu instid0(VALU_DEP_1) | instskip(SKIP_1) | instid1(VALU_DEP_2)
	v_and_b32_e32 v4, 0x7f800000, v1
	v_lshrrev_b32_e32 v0, 24, v1
	v_cmpx_ne_u64_e32 0x7f800000, v[4:5]
	s_xor_b32 s27, exec_lo, s10
	s_cbranch_execz .LBB6_14905
; %bb.14892:                            ;   in Loop: Header=BB6_13467 Depth=2
	v_and_b32_e32 v4, 0x7fffffff, v1
	v_mov_b32_e32 v5, v55
	v_and_b32_e32 v0, 0x80, v0
                                        ; implicit-def: $vgpr116
	s_mov_b32 s10, exec_lo
	s_delay_alu instid0(VALU_DEP_2)
	v_cmpx_gt_u64_e32 0x43e00001, v[4:5]
	s_xor_b32 s28, exec_lo, s10
	s_cbranch_execz .LBB6_14902
; %bb.14893:                            ;   in Loop: Header=BB6_13467 Depth=2
	v_mov_b32_e32 v116, 0
	s_mov_b32 s29, exec_lo
	v_cmpx_ne_u32_e32 0, v1
	s_cbranch_execz .LBB6_14901
; %bb.14894:                            ;   in Loop: Header=BB6_13467 Depth=2
	v_and_b32_e32 v5, 0x7fffff, v1
	v_bfe_u32 v1, v1, 23, 8
	v_mov_b32_e32 v7, v55
	s_delay_alu instid0(VALU_DEP_3) | instskip(NEXT) | instid1(VALU_DEP_3)
	v_or_b32_e32 v6, 0x800000, v5
	v_cmp_gt_u32_e64 s10, 0x7a, v1
	v_sub_nc_u32_e32 v4, 0x79, v1
	v_cmp_eq_u32_e32 vcc_lo, 0, v1
	s_delay_alu instid0(VALU_DEP_2) | instskip(NEXT) | instid1(VALU_DEP_1)
	v_dual_cndmask_b32 v4, 0, v4, s10 :: v_dual_cndmask_b32 v6, v6, v5, vcc_lo
	v_cndmask_b32_e64 v4, v4, 0x78, vcc_lo
	s_delay_alu instid0(VALU_DEP_1) | instskip(NEXT) | instid1(VALU_DEP_1)
	v_add_nc_u32_e32 v5, 20, v4
	v_lshlrev_b64_e64 v[8:9], v5, -1
	v_add_nc_u32_e32 v5, 19, v4
	s_delay_alu instid0(VALU_DEP_1) | instskip(NEXT) | instid1(VALU_DEP_3)
	v_lshlrev_b64_e64 v[10:11], v5, 1
	v_bfi_b32 v9, v9, 0, 0
	s_delay_alu instid0(VALU_DEP_4) | instskip(NEXT) | instid1(VALU_DEP_1)
	v_bfi_b32 v8, v8, 0, v6
	v_cmp_eq_u64_e64 s10, v[8:9], v[10:11]
	v_lshrrev_b64 v[10:11], v4, v[6:7]
	s_delay_alu instid0(VALU_DEP_1)
	v_mov_b64_e32 v[16:17], v[10:11]
	s_and_saveexec_b32 s40, s10
; %bb.14895:                            ;   in Loop: Header=BB6_13467 Depth=2
	v_bfe_u32 v6, v10, 20, 1
	v_mov_b32_e32 v7, v55
	s_delay_alu instid0(VALU_DEP_1) | instskip(NEXT) | instid1(VALU_DEP_1)
	v_add_nc_u64_e32 v[6:7], v[10:11], v[6:7]
	v_add_nc_u64_e32 v[16:17], -1, v[6:7]
; %bb.14896:                            ;   in Loop: Header=BB6_13467 Depth=2
	s_or_b32 exec_lo, exec_lo, s40
	v_add_nc_u32_e32 v1, 0xffffff81, v1
	v_lshrrev_b32_e32 v5, 23, v10
	s_mov_b32 s10, exec_lo
	v_mov_b32_e32 v11, v55
	s_delay_alu instid0(VALU_DEP_3) | instskip(NEXT) | instid1(VALU_DEP_1)
	v_cndmask_b32_e64 v1, v1, 0xffffff82, vcc_lo
	v_add3_u32 v5, v4, v1, v5
	v_and_b32_e32 v1, 0xfffff, v16
	s_delay_alu instid0(VALU_DEP_1) | instskip(NEXT) | instid1(VALU_DEP_1)
	v_dual_add_nc_u32 v4, 6, v5 :: v_dual_add_nc_u32 v10, v1, v10
                                        ; implicit-def: $vgpr1
	v_cmpx_ne_u32_e32 0, v4
	s_xor_b32 s10, exec_lo, s10
; %bb.14897:                            ;   in Loop: Header=BB6_13467 Depth=2
	s_delay_alu instid0(VALU_DEP_2) | instskip(SKIP_1) | instid1(VALU_DEP_1)
	v_cmp_lt_u64_e32 vcc_lo, 0xffffff, v[10:11]
	v_add_nc_u32_e32 v1, 7, v5
	v_cndmask_b32_e32 v1, v4, v1, vcc_lo
	v_cndmask_b32_e64 v4, 0, 1, vcc_lo
	s_delay_alu instid0(VALU_DEP_1)
	v_lshrrev_b64 v[10:11], v4, v[10:11]
; %bb.14898:                            ;   in Loop: Header=BB6_13467 Depth=2
	s_and_not1_saveexec_b32 s10, s10
; %bb.14899:                            ;   in Loop: Header=BB6_13467 Depth=2
	s_delay_alu instid0(VALU_DEP_1)
	v_bfe_u32 v1, v10, 23, 1
; %bb.14900:                            ;   in Loop: Header=BB6_13467 Depth=2
	s_or_b32 exec_lo, exec_lo, s10
	s_delay_alu instid0(VALU_DEP_2) | instskip(NEXT) | instid1(VALU_DEP_2)
	v_lshrrev_b64 v[4:5], 20, v[10:11]
	v_cmp_gt_i32_e32 vcc_lo, 16, v1
	v_min_i32_e32 v6, 15, v1
	v_cmp_eq_u32_e64 s10, 0, v1
	s_delay_alu instid0(VALU_DEP_2) | instskip(SKIP_1) | instid1(VALU_DEP_2)
	v_dual_cndmask_b32 v4, 7, v4, vcc_lo :: v_dual_lshlrev_b32 v6, 3, v6
	v_cndmask_b32_e32 v5, 0, v5, vcc_lo
	v_and_b32_e32 v6, 0xf8, v6
	s_delay_alu instid0(VALU_DEP_2) | instskip(NEXT) | instid1(VALU_DEP_2)
	v_cmp_eq_u64_e32 vcc_lo, 0, v[4:5]
	v_and_or_b32 v1, v4, 7, v6
	s_and_b32 s10, s10, vcc_lo
	s_delay_alu instid0(VALU_DEP_1) | instid1(SALU_CYCLE_1)
	v_cndmask_b32_e64 v1, v1, 0, s10
	s_delay_alu instid0(VALU_DEP_1)
	v_or_b32_e32 v116, v1, v0
.LBB6_14901:                            ;   in Loop: Header=BB6_13467 Depth=2
	s_or_b32 exec_lo, exec_lo, s29
                                        ; implicit-def: $vgpr0
.LBB6_14902:                            ;   in Loop: Header=BB6_13467 Depth=2
	s_and_not1_saveexec_b32 s10, s28
; %bb.14903:                            ;   in Loop: Header=BB6_13467 Depth=2
	v_or_b32_e32 v116, 0x7e, v0
; %bb.14904:                            ;   in Loop: Header=BB6_13467 Depth=2
	s_or_b32 exec_lo, exec_lo, s10
                                        ; implicit-def: $vgpr0
.LBB6_14905:                            ;   in Loop: Header=BB6_13467 Depth=2
	s_and_not1_saveexec_b32 s10, s27
; %bb.14906:                            ;   in Loop: Header=BB6_13467 Depth=2
	v_or_b32_e32 v116, 0x7f, v0
; %bb.14907:                            ;   in Loop: Header=BB6_13467 Depth=2
	s_or_b32 exec_lo, exec_lo, s10
	v_lshrrev_b16 v1, 8, v54
	v_mov_b32_e32 v0, 0
	s_mov_b32 s10, exec_lo
	s_delay_alu instid0(VALU_DEP_2)
	v_cmpx_ne_u16_e32 0, v1
	s_cbranch_execz .LBB6_14915
; %bb.14908:                            ;   in Loop: Header=BB6_13467 Depth=2
	v_bfrev_b32_e32 v0, 1
	s_mov_b32 s27, exec_lo
	v_cmpx_ne_u16_e32 0x80, v1
	s_cbranch_execz .LBB6_14914
; %bb.14909:                            ;   in Loop: Header=BB6_13467 Depth=2
	v_and_b32_e32 v4, 0xffff, v1
	v_mov_b32_e32 v0, 0x7f800001
	s_mov_b32 s28, exec_lo
	s_delay_alu instid0(VALU_DEP_2) | instskip(NEXT) | instid1(VALU_DEP_1)
	v_and_b32_e32 v1, 0x7f, v4
	v_cmpx_ne_u32_e32 0x7f, v1
	s_cbranch_execz .LBB6_14913
; %bb.14910:                            ;   in Loop: Header=BB6_13467 Depth=2
	v_dual_mov_b32 v11, v55 :: v_dual_bitop2_b32 v10, 7, v4 bitop3:0x40
	v_lshrrev_b32_e32 v0, 3, v1
	s_mov_b32 s29, exec_lo
	v_cmpx_gt_u32_e32 8, v1
; %bb.14911:                            ;   in Loop: Header=BB6_13467 Depth=2
	s_delay_alu instid0(VALU_DEP_3) | instskip(NEXT) | instid1(VALU_DEP_1)
	v_clz_i32_u32_e32 v0, v10
	v_min_u32_e32 v0, 32, v0
	s_delay_alu instid0(VALU_DEP_1) | instskip(SKIP_1) | instid1(VALU_DEP_2)
	v_subrev_nc_u32_e32 v1, 28, v0
	v_sub_nc_u32_e32 v0, 29, v0
	v_lshlrev_b64_e32 v[4:5], v1, v[10:11]
	s_delay_alu instid0(VALU_DEP_1)
	v_and_b32_e32 v10, 7, v4
; %bb.14912:                            ;   in Loop: Header=BB6_13467 Depth=2
	s_or_b32 exec_lo, exec_lo, s29
	v_lshlrev_b32_e32 v1, 16, v54
	s_delay_alu instid0(VALU_DEP_2) | instskip(SKIP_1) | instid1(VALU_DEP_3)
	v_lshlrev_b32_e32 v4, 20, v10
	v_lshl_add_u32 v0, v0, 23, 0x3c000000
	v_and_b32_e32 v1, 0x80000000, v1
	s_delay_alu instid0(VALU_DEP_1)
	v_or3_b32 v0, v4, v1, v0
.LBB6_14913:                            ;   in Loop: Header=BB6_13467 Depth=2
	s_or_b32 exec_lo, exec_lo, s28
.LBB6_14914:                            ;   in Loop: Header=BB6_13467 Depth=2
	s_delay_alu instid0(SALU_CYCLE_1)
	s_or_b32 exec_lo, exec_lo, s27
.LBB6_14915:                            ;   in Loop: Header=BB6_13467 Depth=2
	s_delay_alu instid0(SALU_CYCLE_1) | instskip(NEXT) | instid1(VALU_DEP_1)
	s_or_b32 exec_lo, exec_lo, s10
	v_mul_f32_e32 v1, s26, v0
                                        ; implicit-def: $vgpr31
	s_mov_b32 s10, exec_lo
	s_delay_alu instid0(VALU_DEP_1) | instskip(SKIP_1) | instid1(VALU_DEP_2)
	v_and_b32_e32 v54, 0x7f800000, v1
	v_lshrrev_b32_e32 v0, 24, v1
	v_cmpx_ne_u64_e32 0x7f800000, v[54:55]
	s_xor_b32 s27, exec_lo, s10
	s_cbranch_execz .LBB6_14929
; %bb.14916:                            ;   in Loop: Header=BB6_13467 Depth=2
	v_and_b32_e32 v54, 0x7fffffff, v1
	v_and_b32_e32 v0, 0x80, v0
                                        ; implicit-def: $vgpr31
	s_mov_b32 s10, exec_lo
	s_delay_alu instid0(VALU_DEP_2)
	v_cmpx_gt_u64_e32 0x43e00001, v[54:55]
	s_xor_b32 s28, exec_lo, s10
	s_cbranch_execz .LBB6_14926
; %bb.14917:                            ;   in Loop: Header=BB6_13467 Depth=2
	v_mov_b32_e32 v31, 0
	s_mov_b32 s29, exec_lo
	v_cmpx_ne_u32_e32 0, v1
	s_cbranch_execz .LBB6_14925
; %bb.14918:                            ;   in Loop: Header=BB6_13467 Depth=2
	v_and_b32_e32 v5, 0x7fffff, v1
	v_bfe_u32 v1, v1, 23, 8
	s_mov_b32 s40, exec_lo
	s_delay_alu instid0(VALU_DEP_2) | instskip(NEXT) | instid1(VALU_DEP_2)
	v_or_b32_e32 v6, 0x800000, v5
	v_cmp_gt_u32_e64 s10, 0x7a, v1
	v_sub_nc_u32_e32 v4, 0x79, v1
	v_cmp_eq_u32_e32 vcc_lo, 0, v1
	s_delay_alu instid0(VALU_DEP_2) | instskip(NEXT) | instid1(VALU_DEP_1)
	v_dual_cndmask_b32 v4, 0, v4, s10 :: v_dual_cndmask_b32 v54, v6, v5, vcc_lo
	v_cndmask_b32_e64 v4, v4, 0x78, vcc_lo
	s_delay_alu instid0(VALU_DEP_1) | instskip(NEXT) | instid1(VALU_DEP_3)
	v_add_nc_u32_e32 v5, 20, v4
	v_lshrrev_b64 v[10:11], v4, v[54:55]
	s_delay_alu instid0(VALU_DEP_2) | instskip(SKIP_1) | instid1(VALU_DEP_3)
	v_lshlrev_b64_e64 v[6:7], v5, -1
	v_add_nc_u32_e32 v5, 19, v4
	v_mov_b64_e32 v[16:17], v[10:11]
	s_delay_alu instid0(VALU_DEP_2) | instskip(NEXT) | instid1(VALU_DEP_4)
	v_lshlrev_b64_e64 v[8:9], v5, 1
	v_bfi_b32 v7, v7, 0, 0
	v_bfi_b32 v6, v6, 0, v54
	s_delay_alu instid0(VALU_DEP_1)
	v_cmpx_eq_u64_e64 v[6:7], v[8:9]
; %bb.14919:                            ;   in Loop: Header=BB6_13467 Depth=2
	v_bfe_u32 v54, v10, 20, 1
	s_delay_alu instid0(VALU_DEP_1) | instskip(NEXT) | instid1(VALU_DEP_1)
	v_add_nc_u64_e32 v[6:7], v[10:11], v[54:55]
	v_add_nc_u64_e32 v[16:17], -1, v[6:7]
; %bb.14920:                            ;   in Loop: Header=BB6_13467 Depth=2
	s_or_b32 exec_lo, exec_lo, s40
	v_add_nc_u32_e32 v1, 0xffffff81, v1
	v_lshrrev_b32_e32 v5, 23, v10
	s_mov_b32 s10, exec_lo
	s_delay_alu instid0(VALU_DEP_2) | instskip(NEXT) | instid1(VALU_DEP_1)
	v_cndmask_b32_e64 v1, v1, 0xffffff82, vcc_lo
	v_add3_u32 v5, v4, v1, v5
	v_and_b32_e32 v1, 0xfffff, v16
	s_delay_alu instid0(VALU_DEP_1) | instskip(NEXT) | instid1(VALU_DEP_1)
	v_dual_add_nc_u32 v4, 6, v5 :: v_dual_add_nc_u32 v54, v1, v10
                                        ; implicit-def: $vgpr10_vgpr11
                                        ; implicit-def: $vgpr1
	v_cmpx_ne_u32_e32 0, v4
	s_xor_b32 s10, exec_lo, s10
; %bb.14921:                            ;   in Loop: Header=BB6_13467 Depth=2
	s_delay_alu instid0(VALU_DEP_2) | instskip(SKIP_1) | instid1(VALU_DEP_1)
	v_cmp_lt_u64_e32 vcc_lo, 0xffffff, v[54:55]
	v_add_nc_u32_e32 v1, 7, v5
	v_cndmask_b32_e32 v1, v4, v1, vcc_lo
	v_cndmask_b32_e64 v4, 0, 1, vcc_lo
	s_delay_alu instid0(VALU_DEP_1)
	v_lshrrev_b64 v[10:11], v4, v[54:55]
; %bb.14922:                            ;   in Loop: Header=BB6_13467 Depth=2
	s_and_not1_saveexec_b32 s10, s10
; %bb.14923:                            ;   in Loop: Header=BB6_13467 Depth=2
	v_mov_b64_e32 v[10:11], v[54:55]
	v_bfe_u32 v1, v54, 23, 1
; %bb.14924:                            ;   in Loop: Header=BB6_13467 Depth=2
	s_or_b32 exec_lo, exec_lo, s10
	s_delay_alu instid0(VALU_DEP_2) | instskip(NEXT) | instid1(VALU_DEP_2)
	v_lshrrev_b64 v[4:5], 20, v[10:11]
	v_cmp_gt_i32_e32 vcc_lo, 16, v1
	v_min_i32_e32 v6, 15, v1
	v_cmp_eq_u32_e64 s10, 0, v1
	s_delay_alu instid0(VALU_DEP_2) | instskip(SKIP_1) | instid1(VALU_DEP_2)
	v_dual_cndmask_b32 v4, 7, v4, vcc_lo :: v_dual_lshlrev_b32 v6, 3, v6
	v_cndmask_b32_e32 v5, 0, v5, vcc_lo
	v_and_b32_e32 v6, 0xf8, v6
	s_delay_alu instid0(VALU_DEP_2) | instskip(NEXT) | instid1(VALU_DEP_2)
	v_cmp_eq_u64_e32 vcc_lo, 0, v[4:5]
	v_and_or_b32 v1, v4, 7, v6
	s_and_b32 s10, s10, vcc_lo
	s_delay_alu instid0(VALU_DEP_1) | instid1(SALU_CYCLE_1)
	v_cndmask_b32_e64 v1, v1, 0, s10
	s_delay_alu instid0(VALU_DEP_1)
	v_or_b32_e32 v31, v1, v0
.LBB6_14925:                            ;   in Loop: Header=BB6_13467 Depth=2
	s_or_b32 exec_lo, exec_lo, s29
                                        ; implicit-def: $vgpr0
.LBB6_14926:                            ;   in Loop: Header=BB6_13467 Depth=2
	s_and_not1_saveexec_b32 s10, s28
; %bb.14927:                            ;   in Loop: Header=BB6_13467 Depth=2
	v_or_b32_e32 v31, 0x7e, v0
; %bb.14928:                            ;   in Loop: Header=BB6_13467 Depth=2
	s_or_b32 exec_lo, exec_lo, s10
                                        ; implicit-def: $vgpr0
.LBB6_14929:                            ;   in Loop: Header=BB6_13467 Depth=2
	s_and_not1_saveexec_b32 s10, s27
; %bb.14930:                            ;   in Loop: Header=BB6_13467 Depth=2
	v_or_b32_e32 v31, 0x7f, v0
; %bb.14931:                            ;   in Loop: Header=BB6_13467 Depth=2
	s_or_b32 exec_lo, exec_lo, s10
	v_dual_mov_b32 v1, 0 :: v_dual_lshrrev_b32 v0, 16, v13
	s_mov_b32 s10, exec_lo
	s_delay_alu instid0(VALU_DEP_1) | instskip(NEXT) | instid1(VALU_DEP_1)
	v_and_b32_e32 v4, 0xff, v0
	v_cmpx_ne_u16_e32 0, v4
	s_cbranch_execz .LBB6_14939
; %bb.14932:                            ;   in Loop: Header=BB6_13467 Depth=2
	v_bfrev_b32_e32 v1, 1
	s_mov_b32 s27, exec_lo
	v_cmpx_ne_u16_e32 0x80, v4
	s_cbranch_execz .LBB6_14938
; %bb.14933:                            ;   in Loop: Header=BB6_13467 Depth=2
	v_bfe_u32 v4, v13, 16, 7
	v_mov_b32_e32 v1, 0x7f800001
	s_mov_b32 s28, exec_lo
	s_delay_alu instid0(VALU_DEP_2)
	v_cmpx_ne_u32_e32 0x7f, v4
	s_cbranch_execz .LBB6_14937
; %bb.14934:                            ;   in Loop: Header=BB6_13467 Depth=2
	v_and_b32_e32 v54, 7, v0
	v_lshrrev_b32_e32 v1, 3, v4
	s_mov_b32 s29, exec_lo
	v_cmpx_gt_u32_e32 8, v4
; %bb.14935:                            ;   in Loop: Header=BB6_13467 Depth=2
	s_delay_alu instid0(VALU_DEP_3) | instskip(NEXT) | instid1(VALU_DEP_1)
	v_clz_i32_u32_e32 v1, v54
	v_min_u32_e32 v1, 32, v1
	s_delay_alu instid0(VALU_DEP_1) | instskip(NEXT) | instid1(VALU_DEP_1)
	v_subrev_nc_u32_e32 v4, 28, v1
	v_lshlrev_b64_e32 v[4:5], v4, v[54:55]
	s_delay_alu instid0(VALU_DEP_1)
	v_dual_sub_nc_u32 v1, 29, v1 :: v_dual_bitop2_b32 v54, 7, v4 bitop3:0x40
; %bb.14936:                            ;   in Loop: Header=BB6_13467 Depth=2
	s_or_b32 exec_lo, exec_lo, s29
	s_delay_alu instid0(VALU_DEP_1) | instskip(NEXT) | instid1(VALU_DEP_2)
	v_dual_lshlrev_b32 v0, 24, v0 :: v_dual_lshlrev_b32 v4, 20, v54
	v_lshl_add_u32 v1, v1, 23, 0x3c000000
	s_delay_alu instid0(VALU_DEP_2) | instskip(NEXT) | instid1(VALU_DEP_1)
	v_and_b32_e32 v0, 0x80000000, v0
	v_or3_b32 v1, v4, v0, v1
.LBB6_14937:                            ;   in Loop: Header=BB6_13467 Depth=2
	s_or_b32 exec_lo, exec_lo, s28
.LBB6_14938:                            ;   in Loop: Header=BB6_13467 Depth=2
	s_delay_alu instid0(SALU_CYCLE_1)
	s_or_b32 exec_lo, exec_lo, s27
.LBB6_14939:                            ;   in Loop: Header=BB6_13467 Depth=2
	s_delay_alu instid0(SALU_CYCLE_1) | instskip(NEXT) | instid1(VALU_DEP_1)
	s_or_b32 exec_lo, exec_lo, s10
	v_mul_f32_e32 v1, s26, v1
                                        ; implicit-def: $vgpr34
	s_mov_b32 s10, exec_lo
	s_delay_alu instid0(VALU_DEP_1) | instskip(SKIP_1) | instid1(VALU_DEP_2)
	v_and_b32_e32 v54, 0x7f800000, v1
	v_lshrrev_b32_e32 v0, 24, v1
	v_cmpx_ne_u64_e32 0x7f800000, v[54:55]
	s_xor_b32 s27, exec_lo, s10
	s_cbranch_execz .LBB6_14953
; %bb.14940:                            ;   in Loop: Header=BB6_13467 Depth=2
	v_and_b32_e32 v54, 0x7fffffff, v1
	v_and_b32_e32 v0, 0x80, v0
                                        ; implicit-def: $vgpr34
	s_mov_b32 s10, exec_lo
	s_delay_alu instid0(VALU_DEP_2)
	v_cmpx_gt_u64_e32 0x43e00001, v[54:55]
	s_xor_b32 s28, exec_lo, s10
	s_cbranch_execz .LBB6_14950
; %bb.14941:                            ;   in Loop: Header=BB6_13467 Depth=2
	v_mov_b32_e32 v34, 0
	s_mov_b32 s29, exec_lo
	v_cmpx_ne_u32_e32 0, v1
	s_cbranch_execz .LBB6_14949
; %bb.14942:                            ;   in Loop: Header=BB6_13467 Depth=2
	v_and_b32_e32 v5, 0x7fffff, v1
	v_bfe_u32 v1, v1, 23, 8
	s_mov_b32 s40, exec_lo
	s_delay_alu instid0(VALU_DEP_2) | instskip(NEXT) | instid1(VALU_DEP_2)
	v_or_b32_e32 v6, 0x800000, v5
	v_cmp_gt_u32_e64 s10, 0x7a, v1
	v_sub_nc_u32_e32 v4, 0x79, v1
	v_cmp_eq_u32_e32 vcc_lo, 0, v1
	s_delay_alu instid0(VALU_DEP_2) | instskip(NEXT) | instid1(VALU_DEP_1)
	v_dual_cndmask_b32 v4, 0, v4, s10 :: v_dual_cndmask_b32 v54, v6, v5, vcc_lo
	v_cndmask_b32_e64 v4, v4, 0x78, vcc_lo
	s_delay_alu instid0(VALU_DEP_1) | instskip(NEXT) | instid1(VALU_DEP_3)
	v_add_nc_u32_e32 v5, 20, v4
	v_lshrrev_b64 v[10:11], v4, v[54:55]
	s_delay_alu instid0(VALU_DEP_2) | instskip(SKIP_1) | instid1(VALU_DEP_3)
	v_lshlrev_b64_e64 v[6:7], v5, -1
	v_add_nc_u32_e32 v5, 19, v4
	v_mov_b64_e32 v[16:17], v[10:11]
	s_delay_alu instid0(VALU_DEP_2) | instskip(NEXT) | instid1(VALU_DEP_4)
	v_lshlrev_b64_e64 v[8:9], v5, 1
	v_bfi_b32 v7, v7, 0, 0
	v_bfi_b32 v6, v6, 0, v54
	s_delay_alu instid0(VALU_DEP_1)
	v_cmpx_eq_u64_e64 v[6:7], v[8:9]
; %bb.14943:                            ;   in Loop: Header=BB6_13467 Depth=2
	v_bfe_u32 v54, v10, 20, 1
	s_delay_alu instid0(VALU_DEP_1) | instskip(NEXT) | instid1(VALU_DEP_1)
	v_add_nc_u64_e32 v[6:7], v[10:11], v[54:55]
	v_add_nc_u64_e32 v[16:17], -1, v[6:7]
; %bb.14944:                            ;   in Loop: Header=BB6_13467 Depth=2
	s_or_b32 exec_lo, exec_lo, s40
	v_add_nc_u32_e32 v1, 0xffffff81, v1
	v_lshrrev_b32_e32 v5, 23, v10
	s_mov_b32 s10, exec_lo
	s_delay_alu instid0(VALU_DEP_2) | instskip(NEXT) | instid1(VALU_DEP_1)
	v_cndmask_b32_e64 v1, v1, 0xffffff82, vcc_lo
	v_add3_u32 v5, v4, v1, v5
	v_and_b32_e32 v1, 0xfffff, v16
	s_delay_alu instid0(VALU_DEP_1) | instskip(NEXT) | instid1(VALU_DEP_1)
	v_dual_add_nc_u32 v4, 6, v5 :: v_dual_add_nc_u32 v54, v1, v10
                                        ; implicit-def: $vgpr10_vgpr11
                                        ; implicit-def: $vgpr1
	v_cmpx_ne_u32_e32 0, v4
	s_xor_b32 s10, exec_lo, s10
; %bb.14945:                            ;   in Loop: Header=BB6_13467 Depth=2
	s_delay_alu instid0(VALU_DEP_2) | instskip(SKIP_1) | instid1(VALU_DEP_1)
	v_cmp_lt_u64_e32 vcc_lo, 0xffffff, v[54:55]
	v_add_nc_u32_e32 v1, 7, v5
	v_cndmask_b32_e32 v1, v4, v1, vcc_lo
	v_cndmask_b32_e64 v4, 0, 1, vcc_lo
	s_delay_alu instid0(VALU_DEP_1)
	v_lshrrev_b64 v[10:11], v4, v[54:55]
; %bb.14946:                            ;   in Loop: Header=BB6_13467 Depth=2
	s_and_not1_saveexec_b32 s10, s10
; %bb.14947:                            ;   in Loop: Header=BB6_13467 Depth=2
	v_mov_b64_e32 v[10:11], v[54:55]
	v_bfe_u32 v1, v54, 23, 1
; %bb.14948:                            ;   in Loop: Header=BB6_13467 Depth=2
	s_or_b32 exec_lo, exec_lo, s10
	s_delay_alu instid0(VALU_DEP_2) | instskip(NEXT) | instid1(VALU_DEP_2)
	v_lshrrev_b64 v[4:5], 20, v[10:11]
	v_cmp_gt_i32_e32 vcc_lo, 16, v1
	v_min_i32_e32 v6, 15, v1
	v_cmp_eq_u32_e64 s10, 0, v1
	s_delay_alu instid0(VALU_DEP_2) | instskip(SKIP_1) | instid1(VALU_DEP_2)
	v_dual_cndmask_b32 v4, 7, v4, vcc_lo :: v_dual_lshlrev_b32 v6, 3, v6
	v_cndmask_b32_e32 v5, 0, v5, vcc_lo
	v_and_b32_e32 v6, 0xf8, v6
	s_delay_alu instid0(VALU_DEP_2) | instskip(NEXT) | instid1(VALU_DEP_2)
	v_cmp_eq_u64_e32 vcc_lo, 0, v[4:5]
	v_and_or_b32 v1, v4, 7, v6
	s_and_b32 s10, s10, vcc_lo
	s_delay_alu instid0(VALU_DEP_1) | instid1(SALU_CYCLE_1)
	v_cndmask_b32_e64 v1, v1, 0, s10
	s_delay_alu instid0(VALU_DEP_1)
	v_or_b32_e32 v34, v1, v0
.LBB6_14949:                            ;   in Loop: Header=BB6_13467 Depth=2
	s_or_b32 exec_lo, exec_lo, s29
                                        ; implicit-def: $vgpr0
.LBB6_14950:                            ;   in Loop: Header=BB6_13467 Depth=2
	s_and_not1_saveexec_b32 s10, s28
; %bb.14951:                            ;   in Loop: Header=BB6_13467 Depth=2
	v_or_b32_e32 v34, 0x7e, v0
; %bb.14952:                            ;   in Loop: Header=BB6_13467 Depth=2
	s_or_b32 exec_lo, exec_lo, s10
                                        ; implicit-def: $vgpr0
.LBB6_14953:                            ;   in Loop: Header=BB6_13467 Depth=2
	s_and_not1_saveexec_b32 s10, s27
; %bb.14954:                            ;   in Loop: Header=BB6_13467 Depth=2
	v_or_b32_e32 v34, 0x7f, v0
; %bb.14955:                            ;   in Loop: Header=BB6_13467 Depth=2
	s_or_b32 exec_lo, exec_lo, s10
	v_mov_b32_e32 v1, 0
	s_mov_b32 s10, exec_lo
	v_cmpx_lt_u64_e64 s[12:13], v[12:13]
	s_cbranch_execz .LBB6_14963
; %bb.14956:                            ;   in Loop: Header=BB6_13467 Depth=2
	v_lshrrev_b32_e32 v0, 24, v13
	v_bfrev_b32_e32 v1, 1
	s_mov_b32 s27, exec_lo
	s_delay_alu instid0(VALU_DEP_2)
	v_cmpx_ne_u32_e32 0x80, v0
	s_cbranch_execz .LBB6_14962
; %bb.14957:                            ;   in Loop: Header=BB6_13467 Depth=2
	v_bfe_u32 v4, v13, 24, 7
	v_mov_b32_e32 v1, 0x7f800001
	s_mov_b32 s28, exec_lo
	s_delay_alu instid0(VALU_DEP_2)
	v_cmpx_ne_u32_e32 0x7f, v4
	s_cbranch_execz .LBB6_14961
; %bb.14958:                            ;   in Loop: Header=BB6_13467 Depth=2
	v_and_b32_e32 v54, 7, v0
	v_lshrrev_b32_e32 v1, 3, v4
	s_mov_b32 s29, exec_lo
	v_cmpx_gt_u32_e32 8, v4
; %bb.14959:                            ;   in Loop: Header=BB6_13467 Depth=2
	s_delay_alu instid0(VALU_DEP_3) | instskip(NEXT) | instid1(VALU_DEP_1)
	v_clz_i32_u32_e32 v1, v54
	v_min_u32_e32 v1, 32, v1
	s_delay_alu instid0(VALU_DEP_1) | instskip(NEXT) | instid1(VALU_DEP_1)
	v_subrev_nc_u32_e32 v4, 28, v1
	v_lshlrev_b64_e32 v[4:5], v4, v[54:55]
	s_delay_alu instid0(VALU_DEP_1)
	v_dual_sub_nc_u32 v1, 29, v1 :: v_dual_bitop2_b32 v54, 7, v4 bitop3:0x40
; %bb.14960:                            ;   in Loop: Header=BB6_13467 Depth=2
	s_or_b32 exec_lo, exec_lo, s29
	s_delay_alu instid0(VALU_DEP_1) | instskip(NEXT) | instid1(VALU_DEP_2)
	v_dual_lshlrev_b32 v0, 24, v0 :: v_dual_lshlrev_b32 v4, 20, v54
	v_lshl_add_u32 v1, v1, 23, 0x3c000000
	s_delay_alu instid0(VALU_DEP_2) | instskip(NEXT) | instid1(VALU_DEP_1)
	v_and_b32_e32 v0, 0x80000000, v0
	v_or3_b32 v1, v4, v0, v1
.LBB6_14961:                            ;   in Loop: Header=BB6_13467 Depth=2
	s_or_b32 exec_lo, exec_lo, s28
.LBB6_14962:                            ;   in Loop: Header=BB6_13467 Depth=2
	s_delay_alu instid0(SALU_CYCLE_1)
	s_or_b32 exec_lo, exec_lo, s27
.LBB6_14963:                            ;   in Loop: Header=BB6_13467 Depth=2
	s_delay_alu instid0(SALU_CYCLE_1) | instskip(NEXT) | instid1(VALU_DEP_1)
	s_or_b32 exec_lo, exec_lo, s10
	v_mul_f32_e32 v1, s26, v1
                                        ; implicit-def: $vgpr35
	s_mov_b32 s10, exec_lo
	s_delay_alu instid0(VALU_DEP_1) | instskip(SKIP_1) | instid1(VALU_DEP_2)
	v_and_b32_e32 v54, 0x7f800000, v1
	v_lshrrev_b32_e32 v0, 24, v1
	v_cmpx_ne_u64_e32 0x7f800000, v[54:55]
	s_xor_b32 s27, exec_lo, s10
	s_cbranch_execz .LBB6_14977
; %bb.14964:                            ;   in Loop: Header=BB6_13467 Depth=2
	v_and_b32_e32 v54, 0x7fffffff, v1
	v_and_b32_e32 v0, 0x80, v0
                                        ; implicit-def: $vgpr35
	s_mov_b32 s10, exec_lo
	s_delay_alu instid0(VALU_DEP_2)
	v_cmpx_gt_u64_e32 0x43e00001, v[54:55]
	s_xor_b32 s28, exec_lo, s10
	s_cbranch_execz .LBB6_14974
; %bb.14965:                            ;   in Loop: Header=BB6_13467 Depth=2
	v_mov_b32_e32 v35, 0
	s_mov_b32 s29, exec_lo
	v_cmpx_ne_u32_e32 0, v1
	s_cbranch_execz .LBB6_14973
; %bb.14966:                            ;   in Loop: Header=BB6_13467 Depth=2
	v_and_b32_e32 v5, 0x7fffff, v1
	v_bfe_u32 v1, v1, 23, 8
	s_mov_b32 s40, exec_lo
	s_delay_alu instid0(VALU_DEP_2) | instskip(NEXT) | instid1(VALU_DEP_2)
	v_or_b32_e32 v6, 0x800000, v5
	v_cmp_gt_u32_e64 s10, 0x7a, v1
	v_sub_nc_u32_e32 v4, 0x79, v1
	v_cmp_eq_u32_e32 vcc_lo, 0, v1
	s_delay_alu instid0(VALU_DEP_2) | instskip(NEXT) | instid1(VALU_DEP_1)
	v_dual_cndmask_b32 v4, 0, v4, s10 :: v_dual_cndmask_b32 v54, v6, v5, vcc_lo
	v_cndmask_b32_e64 v4, v4, 0x78, vcc_lo
	s_delay_alu instid0(VALU_DEP_1) | instskip(NEXT) | instid1(VALU_DEP_3)
	v_add_nc_u32_e32 v5, 20, v4
	v_lshrrev_b64 v[10:11], v4, v[54:55]
	s_delay_alu instid0(VALU_DEP_2) | instskip(SKIP_1) | instid1(VALU_DEP_3)
	v_lshlrev_b64_e64 v[6:7], v5, -1
	v_add_nc_u32_e32 v5, 19, v4
	v_mov_b64_e32 v[12:13], v[10:11]
	s_delay_alu instid0(VALU_DEP_2) | instskip(NEXT) | instid1(VALU_DEP_4)
	v_lshlrev_b64_e64 v[8:9], v5, 1
	v_bfi_b32 v7, v7, 0, 0
	v_bfi_b32 v6, v6, 0, v54
	s_delay_alu instid0(VALU_DEP_1)
	v_cmpx_eq_u64_e64 v[6:7], v[8:9]
; %bb.14967:                            ;   in Loop: Header=BB6_13467 Depth=2
	v_bfe_u32 v54, v10, 20, 1
	s_delay_alu instid0(VALU_DEP_1) | instskip(NEXT) | instid1(VALU_DEP_1)
	v_add_nc_u64_e32 v[6:7], v[10:11], v[54:55]
	v_add_nc_u64_e32 v[12:13], -1, v[6:7]
; %bb.14968:                            ;   in Loop: Header=BB6_13467 Depth=2
	s_or_b32 exec_lo, exec_lo, s40
	v_add_nc_u32_e32 v1, 0xffffff81, v1
	v_lshrrev_b32_e32 v5, 23, v10
	s_mov_b32 s10, exec_lo
	s_delay_alu instid0(VALU_DEP_2) | instskip(NEXT) | instid1(VALU_DEP_1)
	v_cndmask_b32_e64 v1, v1, 0xffffff82, vcc_lo
	v_add3_u32 v5, v4, v1, v5
	v_and_b32_e32 v1, 0xfffff, v12
	s_delay_alu instid0(VALU_DEP_1) | instskip(NEXT) | instid1(VALU_DEP_1)
	v_dual_add_nc_u32 v4, 6, v5 :: v_dual_add_nc_u32 v54, v1, v10
                                        ; implicit-def: $vgpr10_vgpr11
                                        ; implicit-def: $vgpr1
	v_cmpx_ne_u32_e32 0, v4
	s_xor_b32 s10, exec_lo, s10
; %bb.14969:                            ;   in Loop: Header=BB6_13467 Depth=2
	s_delay_alu instid0(VALU_DEP_2) | instskip(SKIP_1) | instid1(VALU_DEP_1)
	v_cmp_lt_u64_e32 vcc_lo, 0xffffff, v[54:55]
	v_add_nc_u32_e32 v1, 7, v5
	v_cndmask_b32_e32 v1, v4, v1, vcc_lo
	v_cndmask_b32_e64 v4, 0, 1, vcc_lo
	s_delay_alu instid0(VALU_DEP_1)
	v_lshrrev_b64 v[10:11], v4, v[54:55]
; %bb.14970:                            ;   in Loop: Header=BB6_13467 Depth=2
	s_and_not1_saveexec_b32 s10, s10
; %bb.14971:                            ;   in Loop: Header=BB6_13467 Depth=2
	v_mov_b64_e32 v[10:11], v[54:55]
	v_bfe_u32 v1, v54, 23, 1
; %bb.14972:                            ;   in Loop: Header=BB6_13467 Depth=2
	s_or_b32 exec_lo, exec_lo, s10
	s_delay_alu instid0(VALU_DEP_2) | instskip(NEXT) | instid1(VALU_DEP_2)
	v_lshrrev_b64 v[4:5], 20, v[10:11]
	v_cmp_gt_i32_e32 vcc_lo, 16, v1
	v_min_i32_e32 v6, 15, v1
	v_cmp_eq_u32_e64 s10, 0, v1
	s_delay_alu instid0(VALU_DEP_2) | instskip(SKIP_1) | instid1(VALU_DEP_2)
	v_dual_cndmask_b32 v4, 7, v4, vcc_lo :: v_dual_lshlrev_b32 v6, 3, v6
	v_cndmask_b32_e32 v5, 0, v5, vcc_lo
	v_and_b32_e32 v6, 0xf8, v6
	s_delay_alu instid0(VALU_DEP_2) | instskip(NEXT) | instid1(VALU_DEP_2)
	v_cmp_eq_u64_e32 vcc_lo, 0, v[4:5]
	v_and_or_b32 v1, v4, 7, v6
	s_and_b32 s10, s10, vcc_lo
	s_delay_alu instid0(VALU_DEP_1) | instid1(SALU_CYCLE_1)
	v_cndmask_b32_e64 v1, v1, 0, s10
	s_delay_alu instid0(VALU_DEP_1)
	v_or_b32_e32 v35, v1, v0
.LBB6_14973:                            ;   in Loop: Header=BB6_13467 Depth=2
	s_or_b32 exec_lo, exec_lo, s29
                                        ; implicit-def: $vgpr0
.LBB6_14974:                            ;   in Loop: Header=BB6_13467 Depth=2
	s_and_not1_saveexec_b32 s10, s28
; %bb.14975:                            ;   in Loop: Header=BB6_13467 Depth=2
	v_or_b32_e32 v35, 0x7e, v0
; %bb.14976:                            ;   in Loop: Header=BB6_13467 Depth=2
	s_or_b32 exec_lo, exec_lo, s10
                                        ; implicit-def: $vgpr0
.LBB6_14977:                            ;   in Loop: Header=BB6_13467 Depth=2
	s_and_not1_saveexec_b32 s10, s27
; %bb.14978:                            ;   in Loop: Header=BB6_13467 Depth=2
	v_or_b32_e32 v35, 0x7f, v0
; %bb.14979:                            ;   in Loop: Header=BB6_13467 Depth=2
	s_or_b32 exec_lo, exec_lo, s10
	global_load_b128 v[10:13], v[14:15], off offset:2048 th:TH_LOAD_NT
	v_mov_b32_e32 v0, 0
	s_mov_b32 s10, exec_lo
	s_wait_loadcnt 0x0
	v_and_b32_e32 v1, 0xff, v10
	s_wait_xcnt 0x0
	s_delay_alu instid0(VALU_DEP_1)
	v_cmpx_ne_u16_e32 0, v1
	s_cbranch_execz .LBB6_14985
; %bb.14980:                            ;   in Loop: Header=BB6_13467 Depth=2
	v_bfrev_b32_e32 v0, 1
	s_mov_b32 s27, exec_lo
	v_cmpx_ne_u16_e32 0x80, v1
	s_cbranch_execz .LBB6_14984
; %bb.14981:                            ;   in Loop: Header=BB6_13467 Depth=2
	v_and_b32_e32 v1, 0x7f, v10
	v_mov_b32_e32 v0, 0x7f800001
	s_mov_b32 s28, exec_lo
	s_delay_alu instid0(VALU_DEP_2)
	v_cmpx_ne_u32_e32 0x7f, v1
	s_cbranch_execz .LBB6_14983
; %bb.14982:                            ;   in Loop: Header=BB6_13467 Depth=2
	v_dual_lshrrev_b32 v4, 3, v1 :: v_dual_bitop2_b32 v0, 7, v10 bitop3:0x40
	v_cmp_gt_u32_e32 vcc_lo, 8, v1
	s_delay_alu instid0(VALU_DEP_2) | instskip(NEXT) | instid1(VALU_DEP_1)
	v_clz_i32_u32_e32 v0, v0
	v_min_u32_e32 v0, 32, v0
	s_delay_alu instid0(VALU_DEP_1) | instskip(SKIP_1) | instid1(VALU_DEP_1)
	v_subrev_nc_u32_e32 v1, 28, v0
	v_sub_nc_u32_e32 v0, 29, v0
	v_dual_cndmask_b32 v4, v4, v0, vcc_lo :: v_dual_cndmask_b32 v0, 0, v1, vcc_lo
	s_delay_alu instid0(VALU_DEP_1) | instskip(NEXT) | instid1(VALU_DEP_2)
	v_lshl_add_u32 v4, v4, 23, 0x3c000000
	v_lshlrev_b64_e32 v[0:1], v0, v[10:11]
	v_lshlrev_b32_e32 v1, 24, v10
	s_delay_alu instid0(VALU_DEP_1) | instskip(NEXT) | instid1(VALU_DEP_3)
	v_and_b32_e32 v1, 0x80000000, v1
	v_lshlrev_b32_e32 v0, 20, v0
	s_delay_alu instid0(VALU_DEP_1) | instskip(NEXT) | instid1(VALU_DEP_1)
	v_and_b32_e32 v0, 0x700000, v0
	v_or3_b32 v0, v0, v1, v4
.LBB6_14983:                            ;   in Loop: Header=BB6_13467 Depth=2
	s_or_b32 exec_lo, exec_lo, s28
.LBB6_14984:                            ;   in Loop: Header=BB6_13467 Depth=2
	s_delay_alu instid0(SALU_CYCLE_1)
	s_or_b32 exec_lo, exec_lo, s27
.LBB6_14985:                            ;   in Loop: Header=BB6_13467 Depth=2
	s_delay_alu instid0(SALU_CYCLE_1) | instskip(NEXT) | instid1(VALU_DEP_1)
	s_or_b32 exec_lo, exec_lo, s10
	v_mul_f32_e32 v1, s26, v0
                                        ; implicit-def: $vgpr20
	s_mov_b32 s10, exec_lo
	s_delay_alu instid0(VALU_DEP_1) | instskip(SKIP_1) | instid1(VALU_DEP_2)
	v_and_b32_e32 v54, 0x7f800000, v1
	v_lshrrev_b32_e32 v0, 24, v1
	v_cmpx_ne_u64_e32 0x7f800000, v[54:55]
	s_xor_b32 s27, exec_lo, s10
	s_cbranch_execz .LBB6_14999
; %bb.14986:                            ;   in Loop: Header=BB6_13467 Depth=2
	v_and_b32_e32 v54, 0x7fffffff, v1
	v_and_b32_e32 v0, 0x80, v0
                                        ; implicit-def: $vgpr20
	s_mov_b32 s10, exec_lo
	s_delay_alu instid0(VALU_DEP_2)
	v_cmpx_gt_u64_e32 0x43e00001, v[54:55]
	s_xor_b32 s28, exec_lo, s10
	s_cbranch_execz .LBB6_14996
; %bb.14987:                            ;   in Loop: Header=BB6_13467 Depth=2
	v_mov_b32_e32 v20, 0
	s_mov_b32 s29, exec_lo
	v_cmpx_ne_u32_e32 0, v1
	s_cbranch_execz .LBB6_14995
; %bb.14988:                            ;   in Loop: Header=BB6_13467 Depth=2
	v_and_b32_e32 v5, 0x7fffff, v1
	v_bfe_u32 v1, v1, 23, 8
	s_mov_b32 s40, exec_lo
	s_delay_alu instid0(VALU_DEP_2) | instskip(NEXT) | instid1(VALU_DEP_2)
	v_or_b32_e32 v6, 0x800000, v5
	v_cmp_gt_u32_e64 s10, 0x7a, v1
	v_sub_nc_u32_e32 v4, 0x79, v1
	v_cmp_eq_u32_e32 vcc_lo, 0, v1
	s_delay_alu instid0(VALU_DEP_2) | instskip(NEXT) | instid1(VALU_DEP_1)
	v_dual_cndmask_b32 v4, 0, v4, s10 :: v_dual_cndmask_b32 v54, v6, v5, vcc_lo
	v_cndmask_b32_e64 v4, v4, 0x78, vcc_lo
	s_delay_alu instid0(VALU_DEP_1) | instskip(NEXT) | instid1(VALU_DEP_3)
	v_add_nc_u32_e32 v5, 20, v4
	v_lshrrev_b64 v[16:17], v4, v[54:55]
	s_delay_alu instid0(VALU_DEP_2) | instskip(SKIP_1) | instid1(VALU_DEP_3)
	v_lshlrev_b64_e64 v[6:7], v5, -1
	v_add_nc_u32_e32 v5, 19, v4
	v_mov_b64_e32 v[18:19], v[16:17]
	s_delay_alu instid0(VALU_DEP_2) | instskip(NEXT) | instid1(VALU_DEP_4)
	v_lshlrev_b64_e64 v[8:9], v5, 1
	v_bfi_b32 v7, v7, 0, 0
	v_bfi_b32 v6, v6, 0, v54
	s_delay_alu instid0(VALU_DEP_1)
	v_cmpx_eq_u64_e64 v[6:7], v[8:9]
; %bb.14989:                            ;   in Loop: Header=BB6_13467 Depth=2
	v_bfe_u32 v54, v16, 20, 1
	s_delay_alu instid0(VALU_DEP_1) | instskip(NEXT) | instid1(VALU_DEP_1)
	v_add_nc_u64_e32 v[6:7], v[16:17], v[54:55]
	v_add_nc_u64_e32 v[18:19], -1, v[6:7]
; %bb.14990:                            ;   in Loop: Header=BB6_13467 Depth=2
	s_or_b32 exec_lo, exec_lo, s40
	v_add_nc_u32_e32 v1, 0xffffff81, v1
	v_lshrrev_b32_e32 v5, 23, v16
	s_mov_b32 s10, exec_lo
	s_delay_alu instid0(VALU_DEP_2) | instskip(NEXT) | instid1(VALU_DEP_1)
	v_cndmask_b32_e64 v1, v1, 0xffffff82, vcc_lo
	v_add3_u32 v5, v4, v1, v5
	v_and_b32_e32 v1, 0xfffff, v18
	s_delay_alu instid0(VALU_DEP_1) | instskip(NEXT) | instid1(VALU_DEP_1)
	v_dual_add_nc_u32 v4, 6, v5 :: v_dual_add_nc_u32 v54, v1, v16
                                        ; implicit-def: $vgpr16_vgpr17
                                        ; implicit-def: $vgpr1
	v_cmpx_ne_u32_e32 0, v4
	s_xor_b32 s10, exec_lo, s10
; %bb.14991:                            ;   in Loop: Header=BB6_13467 Depth=2
	s_delay_alu instid0(VALU_DEP_2) | instskip(SKIP_1) | instid1(VALU_DEP_1)
	v_cmp_lt_u64_e32 vcc_lo, 0xffffff, v[54:55]
	v_add_nc_u32_e32 v1, 7, v5
	v_cndmask_b32_e32 v1, v4, v1, vcc_lo
	v_cndmask_b32_e64 v4, 0, 1, vcc_lo
	s_delay_alu instid0(VALU_DEP_1)
	v_lshrrev_b64 v[16:17], v4, v[54:55]
; %bb.14992:                            ;   in Loop: Header=BB6_13467 Depth=2
	s_and_not1_saveexec_b32 s10, s10
; %bb.14993:                            ;   in Loop: Header=BB6_13467 Depth=2
	v_mov_b64_e32 v[16:17], v[54:55]
	v_bfe_u32 v1, v54, 23, 1
; %bb.14994:                            ;   in Loop: Header=BB6_13467 Depth=2
	s_or_b32 exec_lo, exec_lo, s10
	s_delay_alu instid0(VALU_DEP_2) | instskip(NEXT) | instid1(VALU_DEP_2)
	v_lshrrev_b64 v[4:5], 20, v[16:17]
	v_cmp_gt_i32_e32 vcc_lo, 16, v1
	v_min_i32_e32 v6, 15, v1
	v_cmp_eq_u32_e64 s10, 0, v1
	s_delay_alu instid0(VALU_DEP_2) | instskip(SKIP_1) | instid1(VALU_DEP_2)
	v_dual_cndmask_b32 v4, 7, v4, vcc_lo :: v_dual_lshlrev_b32 v6, 3, v6
	v_cndmask_b32_e32 v5, 0, v5, vcc_lo
	v_and_b32_e32 v6, 0xf8, v6
	s_delay_alu instid0(VALU_DEP_2) | instskip(NEXT) | instid1(VALU_DEP_2)
	v_cmp_eq_u64_e32 vcc_lo, 0, v[4:5]
	v_and_or_b32 v1, v4, 7, v6
	s_and_b32 s10, s10, vcc_lo
	s_delay_alu instid0(VALU_DEP_1) | instid1(SALU_CYCLE_1)
	v_cndmask_b32_e64 v1, v1, 0, s10
	s_delay_alu instid0(VALU_DEP_1)
	v_or_b32_e32 v20, v1, v0
.LBB6_14995:                            ;   in Loop: Header=BB6_13467 Depth=2
	s_or_b32 exec_lo, exec_lo, s29
                                        ; implicit-def: $vgpr0
.LBB6_14996:                            ;   in Loop: Header=BB6_13467 Depth=2
	s_and_not1_saveexec_b32 s10, s28
; %bb.14997:                            ;   in Loop: Header=BB6_13467 Depth=2
	v_or_b32_e32 v20, 0x7e, v0
; %bb.14998:                            ;   in Loop: Header=BB6_13467 Depth=2
	s_or_b32 exec_lo, exec_lo, s10
                                        ; implicit-def: $vgpr0
.LBB6_14999:                            ;   in Loop: Header=BB6_13467 Depth=2
	s_and_not1_saveexec_b32 s10, s27
; %bb.15000:                            ;   in Loop: Header=BB6_13467 Depth=2
	v_or_b32_e32 v20, 0x7f, v0
; %bb.15001:                            ;   in Loop: Header=BB6_13467 Depth=2
	s_or_b32 exec_lo, exec_lo, s10
	v_lshrrev_b16 v1, 8, v10
	v_mov_b32_e32 v0, 0
	s_mov_b32 s10, exec_lo
	s_delay_alu instid0(VALU_DEP_2)
	v_cmpx_ne_u16_e32 0, v1
	s_cbranch_execz .LBB6_15009
; %bb.15002:                            ;   in Loop: Header=BB6_13467 Depth=2
	v_bfrev_b32_e32 v0, 1
	s_mov_b32 s27, exec_lo
	v_cmpx_ne_u16_e32 0x80, v1
	s_cbranch_execz .LBB6_15008
; %bb.15003:                            ;   in Loop: Header=BB6_13467 Depth=2
	v_and_b32_e32 v4, 0xffff, v1
	v_mov_b32_e32 v0, 0x7f800001
	s_mov_b32 s28, exec_lo
	s_delay_alu instid0(VALU_DEP_2) | instskip(NEXT) | instid1(VALU_DEP_1)
	v_and_b32_e32 v1, 0x7f, v4
	v_cmpx_ne_u32_e32 0x7f, v1
	s_cbranch_execz .LBB6_15007
; %bb.15004:                            ;   in Loop: Header=BB6_13467 Depth=2
	v_dual_lshrrev_b32 v0, 3, v1 :: v_dual_bitop2_b32 v54, 7, v4 bitop3:0x40
	s_mov_b32 s29, exec_lo
	v_cmpx_gt_u32_e32 8, v1
; %bb.15005:                            ;   in Loop: Header=BB6_13467 Depth=2
	s_delay_alu instid0(VALU_DEP_2) | instskip(NEXT) | instid1(VALU_DEP_1)
	v_clz_i32_u32_e32 v0, v54
	v_min_u32_e32 v0, 32, v0
	s_delay_alu instid0(VALU_DEP_1) | instskip(SKIP_1) | instid1(VALU_DEP_2)
	v_subrev_nc_u32_e32 v1, 28, v0
	v_sub_nc_u32_e32 v0, 29, v0
	v_lshlrev_b64_e32 v[4:5], v1, v[54:55]
	s_delay_alu instid0(VALU_DEP_1)
	v_and_b32_e32 v54, 7, v4
; %bb.15006:                            ;   in Loop: Header=BB6_13467 Depth=2
	s_or_b32 exec_lo, exec_lo, s29
	v_lshlrev_b32_e32 v1, 16, v10
	s_delay_alu instid0(VALU_DEP_2) | instskip(SKIP_1) | instid1(VALU_DEP_3)
	v_lshlrev_b32_e32 v4, 20, v54
	v_lshl_add_u32 v0, v0, 23, 0x3c000000
	v_and_b32_e32 v1, 0x80000000, v1
	s_delay_alu instid0(VALU_DEP_1)
	v_or3_b32 v0, v4, v1, v0
.LBB6_15007:                            ;   in Loop: Header=BB6_13467 Depth=2
	s_or_b32 exec_lo, exec_lo, s28
.LBB6_15008:                            ;   in Loop: Header=BB6_13467 Depth=2
	s_delay_alu instid0(SALU_CYCLE_1)
	s_or_b32 exec_lo, exec_lo, s27
.LBB6_15009:                            ;   in Loop: Header=BB6_13467 Depth=2
	s_delay_alu instid0(SALU_CYCLE_1) | instskip(NEXT) | instid1(VALU_DEP_1)
	s_or_b32 exec_lo, exec_lo, s10
	v_mul_f32_e32 v1, s26, v0
                                        ; implicit-def: $vgpr21
	s_mov_b32 s10, exec_lo
	s_delay_alu instid0(VALU_DEP_1) | instskip(SKIP_1) | instid1(VALU_DEP_2)
	v_and_b32_e32 v54, 0x7f800000, v1
	v_lshrrev_b32_e32 v0, 24, v1
	v_cmpx_ne_u64_e32 0x7f800000, v[54:55]
	s_xor_b32 s27, exec_lo, s10
	s_cbranch_execz .LBB6_15023
; %bb.15010:                            ;   in Loop: Header=BB6_13467 Depth=2
	v_and_b32_e32 v54, 0x7fffffff, v1
	v_and_b32_e32 v0, 0x80, v0
                                        ; implicit-def: $vgpr21
	s_mov_b32 s10, exec_lo
	s_delay_alu instid0(VALU_DEP_2)
	v_cmpx_gt_u64_e32 0x43e00001, v[54:55]
	s_xor_b32 s28, exec_lo, s10
	s_cbranch_execz .LBB6_15020
; %bb.15011:                            ;   in Loop: Header=BB6_13467 Depth=2
	v_mov_b32_e32 v21, 0
	s_mov_b32 s29, exec_lo
	v_cmpx_ne_u32_e32 0, v1
	s_cbranch_execz .LBB6_15019
; %bb.15012:                            ;   in Loop: Header=BB6_13467 Depth=2
	v_and_b32_e32 v5, 0x7fffff, v1
	v_bfe_u32 v1, v1, 23, 8
	s_mov_b32 s40, exec_lo
	s_delay_alu instid0(VALU_DEP_2) | instskip(NEXT) | instid1(VALU_DEP_2)
	v_or_b32_e32 v6, 0x800000, v5
	v_cmp_gt_u32_e64 s10, 0x7a, v1
	v_sub_nc_u32_e32 v4, 0x79, v1
	v_cmp_eq_u32_e32 vcc_lo, 0, v1
	s_delay_alu instid0(VALU_DEP_2) | instskip(NEXT) | instid1(VALU_DEP_1)
	v_dual_cndmask_b32 v4, 0, v4, s10 :: v_dual_cndmask_b32 v54, v6, v5, vcc_lo
	v_cndmask_b32_e64 v4, v4, 0x78, vcc_lo
	s_delay_alu instid0(VALU_DEP_1) | instskip(NEXT) | instid1(VALU_DEP_3)
	v_add_nc_u32_e32 v5, 20, v4
	v_lshrrev_b64 v[16:17], v4, v[54:55]
	s_delay_alu instid0(VALU_DEP_2) | instskip(SKIP_1) | instid1(VALU_DEP_3)
	v_lshlrev_b64_e64 v[6:7], v5, -1
	v_add_nc_u32_e32 v5, 19, v4
	v_mov_b64_e32 v[18:19], v[16:17]
	s_delay_alu instid0(VALU_DEP_2) | instskip(NEXT) | instid1(VALU_DEP_4)
	v_lshlrev_b64_e64 v[8:9], v5, 1
	v_bfi_b32 v7, v7, 0, 0
	v_bfi_b32 v6, v6, 0, v54
	s_delay_alu instid0(VALU_DEP_1)
	v_cmpx_eq_u64_e64 v[6:7], v[8:9]
; %bb.15013:                            ;   in Loop: Header=BB6_13467 Depth=2
	v_bfe_u32 v54, v16, 20, 1
	s_delay_alu instid0(VALU_DEP_1) | instskip(NEXT) | instid1(VALU_DEP_1)
	v_add_nc_u64_e32 v[6:7], v[16:17], v[54:55]
	v_add_nc_u64_e32 v[18:19], -1, v[6:7]
; %bb.15014:                            ;   in Loop: Header=BB6_13467 Depth=2
	s_or_b32 exec_lo, exec_lo, s40
	v_add_nc_u32_e32 v1, 0xffffff81, v1
	v_lshrrev_b32_e32 v5, 23, v16
	s_mov_b32 s10, exec_lo
	s_delay_alu instid0(VALU_DEP_2) | instskip(NEXT) | instid1(VALU_DEP_1)
	v_cndmask_b32_e64 v1, v1, 0xffffff82, vcc_lo
	v_add3_u32 v5, v4, v1, v5
	v_and_b32_e32 v1, 0xfffff, v18
	s_delay_alu instid0(VALU_DEP_1) | instskip(NEXT) | instid1(VALU_DEP_1)
	v_dual_add_nc_u32 v4, 6, v5 :: v_dual_add_nc_u32 v54, v1, v16
                                        ; implicit-def: $vgpr16_vgpr17
                                        ; implicit-def: $vgpr1
	v_cmpx_ne_u32_e32 0, v4
	s_xor_b32 s10, exec_lo, s10
; %bb.15015:                            ;   in Loop: Header=BB6_13467 Depth=2
	s_delay_alu instid0(VALU_DEP_2) | instskip(SKIP_1) | instid1(VALU_DEP_1)
	v_cmp_lt_u64_e32 vcc_lo, 0xffffff, v[54:55]
	v_add_nc_u32_e32 v1, 7, v5
	v_cndmask_b32_e32 v1, v4, v1, vcc_lo
	v_cndmask_b32_e64 v4, 0, 1, vcc_lo
	s_delay_alu instid0(VALU_DEP_1)
	v_lshrrev_b64 v[16:17], v4, v[54:55]
; %bb.15016:                            ;   in Loop: Header=BB6_13467 Depth=2
	s_and_not1_saveexec_b32 s10, s10
; %bb.15017:                            ;   in Loop: Header=BB6_13467 Depth=2
	v_mov_b64_e32 v[16:17], v[54:55]
	v_bfe_u32 v1, v54, 23, 1
; %bb.15018:                            ;   in Loop: Header=BB6_13467 Depth=2
	s_or_b32 exec_lo, exec_lo, s10
	s_delay_alu instid0(VALU_DEP_2) | instskip(NEXT) | instid1(VALU_DEP_2)
	v_lshrrev_b64 v[4:5], 20, v[16:17]
	v_cmp_gt_i32_e32 vcc_lo, 16, v1
	v_min_i32_e32 v6, 15, v1
	v_cmp_eq_u32_e64 s10, 0, v1
	s_delay_alu instid0(VALU_DEP_2) | instskip(SKIP_1) | instid1(VALU_DEP_2)
	v_dual_cndmask_b32 v4, 7, v4, vcc_lo :: v_dual_lshlrev_b32 v6, 3, v6
	v_cndmask_b32_e32 v5, 0, v5, vcc_lo
	v_and_b32_e32 v6, 0xf8, v6
	s_delay_alu instid0(VALU_DEP_2) | instskip(NEXT) | instid1(VALU_DEP_2)
	v_cmp_eq_u64_e32 vcc_lo, 0, v[4:5]
	v_and_or_b32 v1, v4, 7, v6
	s_and_b32 s10, s10, vcc_lo
	s_delay_alu instid0(VALU_DEP_1) | instid1(SALU_CYCLE_1)
	v_cndmask_b32_e64 v1, v1, 0, s10
	s_delay_alu instid0(VALU_DEP_1)
	v_or_b32_e32 v21, v1, v0
.LBB6_15019:                            ;   in Loop: Header=BB6_13467 Depth=2
	s_or_b32 exec_lo, exec_lo, s29
                                        ; implicit-def: $vgpr0
.LBB6_15020:                            ;   in Loop: Header=BB6_13467 Depth=2
	s_and_not1_saveexec_b32 s10, s28
; %bb.15021:                            ;   in Loop: Header=BB6_13467 Depth=2
	v_or_b32_e32 v21, 0x7e, v0
; %bb.15022:                            ;   in Loop: Header=BB6_13467 Depth=2
	s_or_b32 exec_lo, exec_lo, s10
                                        ; implicit-def: $vgpr0
.LBB6_15023:                            ;   in Loop: Header=BB6_13467 Depth=2
	s_and_not1_saveexec_b32 s10, s27
; %bb.15024:                            ;   in Loop: Header=BB6_13467 Depth=2
	v_or_b32_e32 v21, 0x7f, v0
; %bb.15025:                            ;   in Loop: Header=BB6_13467 Depth=2
	s_or_b32 exec_lo, exec_lo, s10
	v_dual_mov_b32 v1, 0 :: v_dual_lshrrev_b32 v0, 16, v10
	s_mov_b32 s10, exec_lo
	s_delay_alu instid0(VALU_DEP_1) | instskip(NEXT) | instid1(VALU_DEP_1)
	v_and_b32_e32 v4, 0xff, v0
	v_cmpx_ne_u16_e32 0, v4
	s_cbranch_execz .LBB6_15033
; %bb.15026:                            ;   in Loop: Header=BB6_13467 Depth=2
	v_bfrev_b32_e32 v1, 1
	s_mov_b32 s27, exec_lo
	v_cmpx_ne_u16_e32 0x80, v4
	s_cbranch_execz .LBB6_15032
; %bb.15027:                            ;   in Loop: Header=BB6_13467 Depth=2
	v_bfe_u32 v4, v10, 16, 7
	v_mov_b32_e32 v1, 0x7f800001
	s_mov_b32 s28, exec_lo
	s_delay_alu instid0(VALU_DEP_2)
	v_cmpx_ne_u32_e32 0x7f, v4
	s_cbranch_execz .LBB6_15031
; %bb.15028:                            ;   in Loop: Header=BB6_13467 Depth=2
	v_and_b32_e32 v54, 7, v0
	v_lshrrev_b32_e32 v1, 3, v4
	s_mov_b32 s29, exec_lo
	v_cmpx_gt_u32_e32 8, v4
; %bb.15029:                            ;   in Loop: Header=BB6_13467 Depth=2
	s_delay_alu instid0(VALU_DEP_3) | instskip(NEXT) | instid1(VALU_DEP_1)
	v_clz_i32_u32_e32 v1, v54
	v_min_u32_e32 v1, 32, v1
	s_delay_alu instid0(VALU_DEP_1) | instskip(NEXT) | instid1(VALU_DEP_1)
	v_subrev_nc_u32_e32 v4, 28, v1
	v_lshlrev_b64_e32 v[4:5], v4, v[54:55]
	s_delay_alu instid0(VALU_DEP_1)
	v_dual_sub_nc_u32 v1, 29, v1 :: v_dual_bitop2_b32 v54, 7, v4 bitop3:0x40
; %bb.15030:                            ;   in Loop: Header=BB6_13467 Depth=2
	s_or_b32 exec_lo, exec_lo, s29
	s_delay_alu instid0(VALU_DEP_1) | instskip(NEXT) | instid1(VALU_DEP_2)
	v_dual_lshlrev_b32 v0, 24, v0 :: v_dual_lshlrev_b32 v4, 20, v54
	v_lshl_add_u32 v1, v1, 23, 0x3c000000
	s_delay_alu instid0(VALU_DEP_2) | instskip(NEXT) | instid1(VALU_DEP_1)
	v_and_b32_e32 v0, 0x80000000, v0
	v_or3_b32 v1, v4, v0, v1
.LBB6_15031:                            ;   in Loop: Header=BB6_13467 Depth=2
	s_or_b32 exec_lo, exec_lo, s28
.LBB6_15032:                            ;   in Loop: Header=BB6_13467 Depth=2
	s_delay_alu instid0(SALU_CYCLE_1)
	s_or_b32 exec_lo, exec_lo, s27
.LBB6_15033:                            ;   in Loop: Header=BB6_13467 Depth=2
	s_delay_alu instid0(SALU_CYCLE_1) | instskip(NEXT) | instid1(VALU_DEP_1)
	s_or_b32 exec_lo, exec_lo, s10
	v_mul_f32_e32 v1, s26, v1
                                        ; implicit-def: $vgpr52
	s_mov_b32 s10, exec_lo
	s_delay_alu instid0(VALU_DEP_1) | instskip(SKIP_1) | instid1(VALU_DEP_2)
	v_and_b32_e32 v54, 0x7f800000, v1
	v_lshrrev_b32_e32 v0, 24, v1
	v_cmpx_ne_u64_e32 0x7f800000, v[54:55]
	s_xor_b32 s27, exec_lo, s10
	s_cbranch_execz .LBB6_15047
; %bb.15034:                            ;   in Loop: Header=BB6_13467 Depth=2
	v_and_b32_e32 v54, 0x7fffffff, v1
	v_and_b32_e32 v0, 0x80, v0
                                        ; implicit-def: $vgpr52
	s_mov_b32 s10, exec_lo
	s_delay_alu instid0(VALU_DEP_2)
	v_cmpx_gt_u64_e32 0x43e00001, v[54:55]
	s_xor_b32 s28, exec_lo, s10
	s_cbranch_execz .LBB6_15044
; %bb.15035:                            ;   in Loop: Header=BB6_13467 Depth=2
	v_mov_b32_e32 v52, 0
	s_mov_b32 s29, exec_lo
	v_cmpx_ne_u32_e32 0, v1
	s_cbranch_execz .LBB6_15043
; %bb.15036:                            ;   in Loop: Header=BB6_13467 Depth=2
	v_and_b32_e32 v5, 0x7fffff, v1
	v_bfe_u32 v1, v1, 23, 8
	s_mov_b32 s40, exec_lo
	s_delay_alu instid0(VALU_DEP_2) | instskip(NEXT) | instid1(VALU_DEP_2)
	v_or_b32_e32 v6, 0x800000, v5
	v_cmp_gt_u32_e64 s10, 0x7a, v1
	v_sub_nc_u32_e32 v4, 0x79, v1
	v_cmp_eq_u32_e32 vcc_lo, 0, v1
	s_delay_alu instid0(VALU_DEP_2) | instskip(NEXT) | instid1(VALU_DEP_1)
	v_dual_cndmask_b32 v4, 0, v4, s10 :: v_dual_cndmask_b32 v54, v6, v5, vcc_lo
	v_cndmask_b32_e64 v4, v4, 0x78, vcc_lo
	s_delay_alu instid0(VALU_DEP_1) | instskip(NEXT) | instid1(VALU_DEP_3)
	v_add_nc_u32_e32 v5, 20, v4
	v_lshrrev_b64 v[16:17], v4, v[54:55]
	s_delay_alu instid0(VALU_DEP_2) | instskip(SKIP_1) | instid1(VALU_DEP_3)
	v_lshlrev_b64_e64 v[6:7], v5, -1
	v_add_nc_u32_e32 v5, 19, v4
	v_mov_b64_e32 v[18:19], v[16:17]
	s_delay_alu instid0(VALU_DEP_2) | instskip(NEXT) | instid1(VALU_DEP_4)
	v_lshlrev_b64_e64 v[8:9], v5, 1
	v_bfi_b32 v7, v7, 0, 0
	v_bfi_b32 v6, v6, 0, v54
	s_delay_alu instid0(VALU_DEP_1)
	v_cmpx_eq_u64_e64 v[6:7], v[8:9]
; %bb.15037:                            ;   in Loop: Header=BB6_13467 Depth=2
	v_bfe_u32 v54, v16, 20, 1
	s_delay_alu instid0(VALU_DEP_1) | instskip(NEXT) | instid1(VALU_DEP_1)
	v_add_nc_u64_e32 v[6:7], v[16:17], v[54:55]
	v_add_nc_u64_e32 v[18:19], -1, v[6:7]
; %bb.15038:                            ;   in Loop: Header=BB6_13467 Depth=2
	s_or_b32 exec_lo, exec_lo, s40
	v_add_nc_u32_e32 v1, 0xffffff81, v1
	v_lshrrev_b32_e32 v5, 23, v16
	s_mov_b32 s10, exec_lo
	s_delay_alu instid0(VALU_DEP_2) | instskip(NEXT) | instid1(VALU_DEP_1)
	v_cndmask_b32_e64 v1, v1, 0xffffff82, vcc_lo
	v_add3_u32 v5, v4, v1, v5
	v_and_b32_e32 v1, 0xfffff, v18
	s_delay_alu instid0(VALU_DEP_1) | instskip(NEXT) | instid1(VALU_DEP_1)
	v_dual_add_nc_u32 v4, 6, v5 :: v_dual_add_nc_u32 v54, v1, v16
                                        ; implicit-def: $vgpr16_vgpr17
                                        ; implicit-def: $vgpr1
	v_cmpx_ne_u32_e32 0, v4
	s_xor_b32 s10, exec_lo, s10
; %bb.15039:                            ;   in Loop: Header=BB6_13467 Depth=2
	s_delay_alu instid0(VALU_DEP_2) | instskip(SKIP_1) | instid1(VALU_DEP_1)
	v_cmp_lt_u64_e32 vcc_lo, 0xffffff, v[54:55]
	v_add_nc_u32_e32 v1, 7, v5
	v_cndmask_b32_e32 v1, v4, v1, vcc_lo
	v_cndmask_b32_e64 v4, 0, 1, vcc_lo
	s_delay_alu instid0(VALU_DEP_1)
	v_lshrrev_b64 v[16:17], v4, v[54:55]
; %bb.15040:                            ;   in Loop: Header=BB6_13467 Depth=2
	s_and_not1_saveexec_b32 s10, s10
; %bb.15041:                            ;   in Loop: Header=BB6_13467 Depth=2
	v_mov_b64_e32 v[16:17], v[54:55]
	v_bfe_u32 v1, v54, 23, 1
; %bb.15042:                            ;   in Loop: Header=BB6_13467 Depth=2
	s_or_b32 exec_lo, exec_lo, s10
	s_delay_alu instid0(VALU_DEP_2) | instskip(NEXT) | instid1(VALU_DEP_2)
	v_lshrrev_b64 v[4:5], 20, v[16:17]
	v_cmp_gt_i32_e32 vcc_lo, 16, v1
	v_min_i32_e32 v6, 15, v1
	v_cmp_eq_u32_e64 s10, 0, v1
	s_delay_alu instid0(VALU_DEP_2) | instskip(SKIP_1) | instid1(VALU_DEP_2)
	v_dual_cndmask_b32 v4, 7, v4, vcc_lo :: v_dual_lshlrev_b32 v6, 3, v6
	v_cndmask_b32_e32 v5, 0, v5, vcc_lo
	v_and_b32_e32 v6, 0xf8, v6
	s_delay_alu instid0(VALU_DEP_2) | instskip(NEXT) | instid1(VALU_DEP_2)
	v_cmp_eq_u64_e32 vcc_lo, 0, v[4:5]
	v_and_or_b32 v1, v4, 7, v6
	s_and_b32 s10, s10, vcc_lo
	s_delay_alu instid0(VALU_DEP_1) | instid1(SALU_CYCLE_1)
	v_cndmask_b32_e64 v1, v1, 0, s10
	s_delay_alu instid0(VALU_DEP_1)
	v_or_b32_e32 v52, v1, v0
.LBB6_15043:                            ;   in Loop: Header=BB6_13467 Depth=2
	s_or_b32 exec_lo, exec_lo, s29
                                        ; implicit-def: $vgpr0
.LBB6_15044:                            ;   in Loop: Header=BB6_13467 Depth=2
	s_and_not1_saveexec_b32 s10, s28
; %bb.15045:                            ;   in Loop: Header=BB6_13467 Depth=2
	v_or_b32_e32 v52, 0x7e, v0
; %bb.15046:                            ;   in Loop: Header=BB6_13467 Depth=2
	s_or_b32 exec_lo, exec_lo, s10
                                        ; implicit-def: $vgpr0
.LBB6_15047:                            ;   in Loop: Header=BB6_13467 Depth=2
	s_and_not1_saveexec_b32 s10, s27
; %bb.15048:                            ;   in Loop: Header=BB6_13467 Depth=2
	v_or_b32_e32 v52, 0x7f, v0
; %bb.15049:                            ;   in Loop: Header=BB6_13467 Depth=2
	s_or_b32 exec_lo, exec_lo, s10
	v_mov_b32_e32 v1, 0
	s_mov_b32 s10, exec_lo
	v_cmpx_lt_u32_e32 0xffffff, v10
	s_cbranch_execz .LBB6_15057
; %bb.15050:                            ;   in Loop: Header=BB6_13467 Depth=2
	v_lshrrev_b32_e32 v0, 24, v10
	v_bfrev_b32_e32 v1, 1
	s_mov_b32 s27, exec_lo
	s_delay_alu instid0(VALU_DEP_2)
	v_cmpx_ne_u32_e32 0x80, v0
	s_cbranch_execz .LBB6_15056
; %bb.15051:                            ;   in Loop: Header=BB6_13467 Depth=2
	v_bfe_u32 v4, v10, 24, 7
	v_mov_b32_e32 v1, 0x7f800001
	s_mov_b32 s28, exec_lo
	s_delay_alu instid0(VALU_DEP_2)
	v_cmpx_ne_u32_e32 0x7f, v4
	s_cbranch_execz .LBB6_15055
; %bb.15052:                            ;   in Loop: Header=BB6_13467 Depth=2
	v_and_b32_e32 v54, 7, v0
	v_lshrrev_b32_e32 v1, 3, v4
	s_mov_b32 s29, exec_lo
	v_cmpx_gt_u32_e32 8, v4
; %bb.15053:                            ;   in Loop: Header=BB6_13467 Depth=2
	s_delay_alu instid0(VALU_DEP_3) | instskip(NEXT) | instid1(VALU_DEP_1)
	v_clz_i32_u32_e32 v1, v54
	v_min_u32_e32 v1, 32, v1
	s_delay_alu instid0(VALU_DEP_1) | instskip(NEXT) | instid1(VALU_DEP_1)
	v_subrev_nc_u32_e32 v4, 28, v1
	v_lshlrev_b64_e32 v[4:5], v4, v[54:55]
	s_delay_alu instid0(VALU_DEP_1)
	v_dual_sub_nc_u32 v1, 29, v1 :: v_dual_bitop2_b32 v54, 7, v4 bitop3:0x40
; %bb.15054:                            ;   in Loop: Header=BB6_13467 Depth=2
	s_or_b32 exec_lo, exec_lo, s29
	s_delay_alu instid0(VALU_DEP_1) | instskip(NEXT) | instid1(VALU_DEP_2)
	v_dual_lshlrev_b32 v0, 24, v0 :: v_dual_lshlrev_b32 v4, 20, v54
	v_lshl_add_u32 v1, v1, 23, 0x3c000000
	s_delay_alu instid0(VALU_DEP_2) | instskip(NEXT) | instid1(VALU_DEP_1)
	v_and_b32_e32 v0, 0x80000000, v0
	v_or3_b32 v1, v4, v0, v1
.LBB6_15055:                            ;   in Loop: Header=BB6_13467 Depth=2
	s_or_b32 exec_lo, exec_lo, s28
.LBB6_15056:                            ;   in Loop: Header=BB6_13467 Depth=2
	s_delay_alu instid0(SALU_CYCLE_1)
	s_or_b32 exec_lo, exec_lo, s27
.LBB6_15057:                            ;   in Loop: Header=BB6_13467 Depth=2
	s_delay_alu instid0(SALU_CYCLE_1) | instskip(NEXT) | instid1(VALU_DEP_1)
	s_or_b32 exec_lo, exec_lo, s10
	v_mul_f32_e32 v1, s26, v1
                                        ; implicit-def: $vgpr36
	s_mov_b32 s10, exec_lo
	s_delay_alu instid0(VALU_DEP_1) | instskip(SKIP_1) | instid1(VALU_DEP_2)
	v_and_b32_e32 v54, 0x7f800000, v1
	v_lshrrev_b32_e32 v0, 24, v1
	v_cmpx_ne_u64_e32 0x7f800000, v[54:55]
	s_xor_b32 s27, exec_lo, s10
	s_cbranch_execz .LBB6_15071
; %bb.15058:                            ;   in Loop: Header=BB6_13467 Depth=2
	v_and_b32_e32 v54, 0x7fffffff, v1
	v_and_b32_e32 v0, 0x80, v0
                                        ; implicit-def: $vgpr36
	s_mov_b32 s10, exec_lo
	s_delay_alu instid0(VALU_DEP_2)
	v_cmpx_gt_u64_e32 0x43e00001, v[54:55]
	s_xor_b32 s28, exec_lo, s10
	s_cbranch_execz .LBB6_15068
; %bb.15059:                            ;   in Loop: Header=BB6_13467 Depth=2
	v_mov_b32_e32 v36, 0
	s_mov_b32 s29, exec_lo
	v_cmpx_ne_u32_e32 0, v1
	s_cbranch_execz .LBB6_15067
; %bb.15060:                            ;   in Loop: Header=BB6_13467 Depth=2
	v_and_b32_e32 v5, 0x7fffff, v1
	v_bfe_u32 v1, v1, 23, 8
	s_mov_b32 s40, exec_lo
	s_delay_alu instid0(VALU_DEP_2) | instskip(NEXT) | instid1(VALU_DEP_2)
	v_or_b32_e32 v6, 0x800000, v5
	v_cmp_gt_u32_e64 s10, 0x7a, v1
	v_sub_nc_u32_e32 v4, 0x79, v1
	v_cmp_eq_u32_e32 vcc_lo, 0, v1
	s_delay_alu instid0(VALU_DEP_2) | instskip(NEXT) | instid1(VALU_DEP_1)
	v_dual_cndmask_b32 v4, 0, v4, s10 :: v_dual_cndmask_b32 v54, v6, v5, vcc_lo
	v_cndmask_b32_e64 v4, v4, 0x78, vcc_lo
	s_delay_alu instid0(VALU_DEP_1) | instskip(NEXT) | instid1(VALU_DEP_3)
	v_add_nc_u32_e32 v5, 20, v4
	v_lshrrev_b64 v[16:17], v4, v[54:55]
	s_delay_alu instid0(VALU_DEP_2) | instskip(SKIP_1) | instid1(VALU_DEP_3)
	v_lshlrev_b64_e64 v[6:7], v5, -1
	v_add_nc_u32_e32 v5, 19, v4
	v_mov_b64_e32 v[18:19], v[16:17]
	s_delay_alu instid0(VALU_DEP_2) | instskip(NEXT) | instid1(VALU_DEP_4)
	v_lshlrev_b64_e64 v[8:9], v5, 1
	v_bfi_b32 v7, v7, 0, 0
	v_bfi_b32 v6, v6, 0, v54
	s_delay_alu instid0(VALU_DEP_1)
	v_cmpx_eq_u64_e64 v[6:7], v[8:9]
; %bb.15061:                            ;   in Loop: Header=BB6_13467 Depth=2
	v_bfe_u32 v54, v16, 20, 1
	s_delay_alu instid0(VALU_DEP_1) | instskip(NEXT) | instid1(VALU_DEP_1)
	v_add_nc_u64_e32 v[6:7], v[16:17], v[54:55]
	v_add_nc_u64_e32 v[18:19], -1, v[6:7]
; %bb.15062:                            ;   in Loop: Header=BB6_13467 Depth=2
	s_or_b32 exec_lo, exec_lo, s40
	v_add_nc_u32_e32 v1, 0xffffff81, v1
	v_lshrrev_b32_e32 v5, 23, v16
	s_mov_b32 s10, exec_lo
	s_delay_alu instid0(VALU_DEP_2) | instskip(NEXT) | instid1(VALU_DEP_1)
	v_cndmask_b32_e64 v1, v1, 0xffffff82, vcc_lo
	v_add3_u32 v5, v4, v1, v5
	v_and_b32_e32 v1, 0xfffff, v18
	s_delay_alu instid0(VALU_DEP_1) | instskip(NEXT) | instid1(VALU_DEP_1)
	v_dual_add_nc_u32 v4, 6, v5 :: v_dual_add_nc_u32 v54, v1, v16
                                        ; implicit-def: $vgpr16_vgpr17
                                        ; implicit-def: $vgpr1
	v_cmpx_ne_u32_e32 0, v4
	s_xor_b32 s10, exec_lo, s10
; %bb.15063:                            ;   in Loop: Header=BB6_13467 Depth=2
	s_delay_alu instid0(VALU_DEP_2) | instskip(SKIP_1) | instid1(VALU_DEP_1)
	v_cmp_lt_u64_e32 vcc_lo, 0xffffff, v[54:55]
	v_add_nc_u32_e32 v1, 7, v5
	v_cndmask_b32_e32 v1, v4, v1, vcc_lo
	v_cndmask_b32_e64 v4, 0, 1, vcc_lo
	s_delay_alu instid0(VALU_DEP_1)
	v_lshrrev_b64 v[16:17], v4, v[54:55]
; %bb.15064:                            ;   in Loop: Header=BB6_13467 Depth=2
	s_and_not1_saveexec_b32 s10, s10
; %bb.15065:                            ;   in Loop: Header=BB6_13467 Depth=2
	v_mov_b64_e32 v[16:17], v[54:55]
	v_bfe_u32 v1, v54, 23, 1
; %bb.15066:                            ;   in Loop: Header=BB6_13467 Depth=2
	s_or_b32 exec_lo, exec_lo, s10
	s_delay_alu instid0(VALU_DEP_2) | instskip(NEXT) | instid1(VALU_DEP_2)
	v_lshrrev_b64 v[4:5], 20, v[16:17]
	v_cmp_gt_i32_e32 vcc_lo, 16, v1
	v_min_i32_e32 v6, 15, v1
	v_cmp_eq_u32_e64 s10, 0, v1
	s_delay_alu instid0(VALU_DEP_2) | instskip(SKIP_1) | instid1(VALU_DEP_2)
	v_dual_cndmask_b32 v4, 7, v4, vcc_lo :: v_dual_lshlrev_b32 v6, 3, v6
	v_cndmask_b32_e32 v5, 0, v5, vcc_lo
	v_and_b32_e32 v6, 0xf8, v6
	s_delay_alu instid0(VALU_DEP_2) | instskip(NEXT) | instid1(VALU_DEP_2)
	v_cmp_eq_u64_e32 vcc_lo, 0, v[4:5]
	v_and_or_b32 v1, v4, 7, v6
	s_and_b32 s10, s10, vcc_lo
	s_delay_alu instid0(VALU_DEP_1) | instid1(SALU_CYCLE_1)
	v_cndmask_b32_e64 v1, v1, 0, s10
	s_delay_alu instid0(VALU_DEP_1)
	v_or_b32_e32 v36, v1, v0
.LBB6_15067:                            ;   in Loop: Header=BB6_13467 Depth=2
	s_or_b32 exec_lo, exec_lo, s29
                                        ; implicit-def: $vgpr0
.LBB6_15068:                            ;   in Loop: Header=BB6_13467 Depth=2
	s_and_not1_saveexec_b32 s10, s28
; %bb.15069:                            ;   in Loop: Header=BB6_13467 Depth=2
	v_or_b32_e32 v36, 0x7e, v0
; %bb.15070:                            ;   in Loop: Header=BB6_13467 Depth=2
	s_or_b32 exec_lo, exec_lo, s10
                                        ; implicit-def: $vgpr0
.LBB6_15071:                            ;   in Loop: Header=BB6_13467 Depth=2
	s_and_not1_saveexec_b32 s10, s27
; %bb.15072:                            ;   in Loop: Header=BB6_13467 Depth=2
	v_or_b32_e32 v36, 0x7f, v0
; %bb.15073:                            ;   in Loop: Header=BB6_13467 Depth=2
	s_or_b32 exec_lo, exec_lo, s10
	v_and_b32_e32 v1, 0xff, v11
	v_dual_mov_b32 v54, v11 :: v_dual_mov_b32 v0, 0
	s_mov_b32 s10, exec_lo
	s_delay_alu instid0(VALU_DEP_2)
	v_cmpx_ne_u16_e32 0, v1
	s_cbranch_execz .LBB6_15079
; %bb.15074:                            ;   in Loop: Header=BB6_13467 Depth=2
	v_bfrev_b32_e32 v0, 1
	s_mov_b32 s27, exec_lo
	v_cmpx_ne_u16_e32 0x80, v1
	s_cbranch_execz .LBB6_15078
; %bb.15075:                            ;   in Loop: Header=BB6_13467 Depth=2
	v_and_b32_e32 v1, 0x7f, v11
	v_mov_b32_e32 v0, 0x7f800001
	s_mov_b32 s28, exec_lo
	s_delay_alu instid0(VALU_DEP_2)
	v_cmpx_ne_u32_e32 0x7f, v1
	s_cbranch_execz .LBB6_15077
; %bb.15076:                            ;   in Loop: Header=BB6_13467 Depth=2
	v_dual_lshrrev_b32 v4, 3, v1 :: v_dual_bitop2_b32 v0, 7, v11 bitop3:0x40
	v_cmp_gt_u32_e32 vcc_lo, 8, v1
	s_delay_alu instid0(VALU_DEP_2) | instskip(NEXT) | instid1(VALU_DEP_1)
	v_clz_i32_u32_e32 v0, v0
	v_min_u32_e32 v0, 32, v0
	s_delay_alu instid0(VALU_DEP_1) | instskip(SKIP_1) | instid1(VALU_DEP_1)
	v_subrev_nc_u32_e32 v1, 28, v0
	v_sub_nc_u32_e32 v0, 29, v0
	v_dual_cndmask_b32 v4, v4, v0, vcc_lo :: v_dual_cndmask_b32 v0, 0, v1, vcc_lo
	s_delay_alu instid0(VALU_DEP_1) | instskip(NEXT) | instid1(VALU_DEP_2)
	v_lshl_add_u32 v4, v4, 23, 0x3c000000
	v_lshlrev_b64_e32 v[0:1], v0, v[54:55]
	v_lshlrev_b32_e32 v1, 24, v54
	s_delay_alu instid0(VALU_DEP_1) | instskip(NEXT) | instid1(VALU_DEP_3)
	v_and_b32_e32 v1, 0x80000000, v1
	v_lshlrev_b32_e32 v0, 20, v0
	s_delay_alu instid0(VALU_DEP_1) | instskip(NEXT) | instid1(VALU_DEP_1)
	v_and_b32_e32 v0, 0x700000, v0
	v_or3_b32 v0, v0, v1, v4
.LBB6_15077:                            ;   in Loop: Header=BB6_13467 Depth=2
	s_or_b32 exec_lo, exec_lo, s28
.LBB6_15078:                            ;   in Loop: Header=BB6_13467 Depth=2
	s_delay_alu instid0(SALU_CYCLE_1)
	s_or_b32 exec_lo, exec_lo, s27
.LBB6_15079:                            ;   in Loop: Header=BB6_13467 Depth=2
	s_delay_alu instid0(SALU_CYCLE_1) | instskip(NEXT) | instid1(VALU_DEP_1)
	s_or_b32 exec_lo, exec_lo, s10
	v_dual_mul_f32 v1, s26, v0 :: v_dual_mov_b32 v5, v55
                                        ; implicit-def: $vgpr37
	s_mov_b32 s10, exec_lo
	s_delay_alu instid0(VALU_DEP_1) | instskip(SKIP_1) | instid1(VALU_DEP_2)
	v_and_b32_e32 v4, 0x7f800000, v1
	v_lshrrev_b32_e32 v0, 24, v1
	v_cmpx_ne_u64_e32 0x7f800000, v[4:5]
	s_xor_b32 s27, exec_lo, s10
	s_cbranch_execz .LBB6_15093
; %bb.15080:                            ;   in Loop: Header=BB6_13467 Depth=2
	v_and_b32_e32 v4, 0x7fffffff, v1
	v_mov_b32_e32 v5, v55
	v_and_b32_e32 v0, 0x80, v0
                                        ; implicit-def: $vgpr37
	s_mov_b32 s10, exec_lo
	s_delay_alu instid0(VALU_DEP_2)
	v_cmpx_gt_u64_e32 0x43e00001, v[4:5]
	s_xor_b32 s28, exec_lo, s10
	s_cbranch_execz .LBB6_15090
; %bb.15081:                            ;   in Loop: Header=BB6_13467 Depth=2
	v_mov_b32_e32 v37, 0
	s_mov_b32 s29, exec_lo
	v_cmpx_ne_u32_e32 0, v1
	s_cbranch_execz .LBB6_15089
; %bb.15082:                            ;   in Loop: Header=BB6_13467 Depth=2
	v_and_b32_e32 v5, 0x7fffff, v1
	v_bfe_u32 v1, v1, 23, 8
	v_mov_b32_e32 v7, v55
	s_delay_alu instid0(VALU_DEP_3) | instskip(NEXT) | instid1(VALU_DEP_3)
	v_or_b32_e32 v6, 0x800000, v5
	v_cmp_gt_u32_e64 s10, 0x7a, v1
	v_sub_nc_u32_e32 v4, 0x79, v1
	v_cmp_eq_u32_e32 vcc_lo, 0, v1
	s_delay_alu instid0(VALU_DEP_2) | instskip(NEXT) | instid1(VALU_DEP_1)
	v_dual_cndmask_b32 v4, 0, v4, s10 :: v_dual_cndmask_b32 v6, v6, v5, vcc_lo
	v_cndmask_b32_e64 v4, v4, 0x78, vcc_lo
	s_delay_alu instid0(VALU_DEP_1) | instskip(NEXT) | instid1(VALU_DEP_1)
	v_add_nc_u32_e32 v5, 20, v4
	v_lshlrev_b64_e64 v[8:9], v5, -1
	v_add_nc_u32_e32 v5, 19, v4
	s_delay_alu instid0(VALU_DEP_1) | instskip(NEXT) | instid1(VALU_DEP_3)
	v_lshlrev_b64_e64 v[16:17], v5, 1
	v_bfi_b32 v9, v9, 0, 0
	s_delay_alu instid0(VALU_DEP_4) | instskip(NEXT) | instid1(VALU_DEP_1)
	v_bfi_b32 v8, v8, 0, v6
	v_cmp_eq_u64_e64 s10, v[8:9], v[16:17]
	v_lshrrev_b64 v[16:17], v4, v[6:7]
	s_delay_alu instid0(VALU_DEP_1)
	v_mov_b64_e32 v[18:19], v[16:17]
	s_and_saveexec_b32 s40, s10
; %bb.15083:                            ;   in Loop: Header=BB6_13467 Depth=2
	v_bfe_u32 v6, v16, 20, 1
	v_mov_b32_e32 v7, v55
	s_delay_alu instid0(VALU_DEP_1) | instskip(NEXT) | instid1(VALU_DEP_1)
	v_add_nc_u64_e32 v[6:7], v[16:17], v[6:7]
	v_add_nc_u64_e32 v[18:19], -1, v[6:7]
; %bb.15084:                            ;   in Loop: Header=BB6_13467 Depth=2
	s_or_b32 exec_lo, exec_lo, s40
	v_add_nc_u32_e32 v1, 0xffffff81, v1
	v_lshrrev_b32_e32 v5, 23, v16
	s_mov_b32 s10, exec_lo
	v_mov_b32_e32 v17, v55
	s_delay_alu instid0(VALU_DEP_3) | instskip(NEXT) | instid1(VALU_DEP_1)
	v_cndmask_b32_e64 v1, v1, 0xffffff82, vcc_lo
	v_add3_u32 v5, v4, v1, v5
	v_and_b32_e32 v1, 0xfffff, v18
	s_delay_alu instid0(VALU_DEP_1) | instskip(NEXT) | instid1(VALU_DEP_1)
	v_dual_add_nc_u32 v4, 6, v5 :: v_dual_add_nc_u32 v16, v1, v16
                                        ; implicit-def: $vgpr1
	v_cmpx_ne_u32_e32 0, v4
	s_xor_b32 s10, exec_lo, s10
; %bb.15085:                            ;   in Loop: Header=BB6_13467 Depth=2
	s_delay_alu instid0(VALU_DEP_2) | instskip(SKIP_1) | instid1(VALU_DEP_1)
	v_cmp_lt_u64_e32 vcc_lo, 0xffffff, v[16:17]
	v_add_nc_u32_e32 v1, 7, v5
	v_cndmask_b32_e32 v1, v4, v1, vcc_lo
	v_cndmask_b32_e64 v4, 0, 1, vcc_lo
	s_delay_alu instid0(VALU_DEP_1)
	v_lshrrev_b64 v[16:17], v4, v[16:17]
; %bb.15086:                            ;   in Loop: Header=BB6_13467 Depth=2
	s_and_not1_saveexec_b32 s10, s10
; %bb.15087:                            ;   in Loop: Header=BB6_13467 Depth=2
	s_delay_alu instid0(VALU_DEP_1)
	v_bfe_u32 v1, v16, 23, 1
; %bb.15088:                            ;   in Loop: Header=BB6_13467 Depth=2
	s_or_b32 exec_lo, exec_lo, s10
	s_delay_alu instid0(VALU_DEP_2) | instskip(NEXT) | instid1(VALU_DEP_2)
	v_lshrrev_b64 v[4:5], 20, v[16:17]
	v_cmp_gt_i32_e32 vcc_lo, 16, v1
	v_min_i32_e32 v6, 15, v1
	v_cmp_eq_u32_e64 s10, 0, v1
	s_delay_alu instid0(VALU_DEP_2) | instskip(SKIP_1) | instid1(VALU_DEP_2)
	v_dual_cndmask_b32 v4, 7, v4, vcc_lo :: v_dual_lshlrev_b32 v6, 3, v6
	v_cndmask_b32_e32 v5, 0, v5, vcc_lo
	v_and_b32_e32 v6, 0xf8, v6
	s_delay_alu instid0(VALU_DEP_2) | instskip(NEXT) | instid1(VALU_DEP_2)
	v_cmp_eq_u64_e32 vcc_lo, 0, v[4:5]
	v_and_or_b32 v1, v4, 7, v6
	s_and_b32 s10, s10, vcc_lo
	s_delay_alu instid0(VALU_DEP_1) | instid1(SALU_CYCLE_1)
	v_cndmask_b32_e64 v1, v1, 0, s10
	s_delay_alu instid0(VALU_DEP_1)
	v_or_b32_e32 v37, v1, v0
.LBB6_15089:                            ;   in Loop: Header=BB6_13467 Depth=2
	s_or_b32 exec_lo, exec_lo, s29
                                        ; implicit-def: $vgpr0
.LBB6_15090:                            ;   in Loop: Header=BB6_13467 Depth=2
	s_and_not1_saveexec_b32 s10, s28
; %bb.15091:                            ;   in Loop: Header=BB6_13467 Depth=2
	v_or_b32_e32 v37, 0x7e, v0
; %bb.15092:                            ;   in Loop: Header=BB6_13467 Depth=2
	s_or_b32 exec_lo, exec_lo, s10
                                        ; implicit-def: $vgpr0
.LBB6_15093:                            ;   in Loop: Header=BB6_13467 Depth=2
	s_and_not1_saveexec_b32 s10, s27
; %bb.15094:                            ;   in Loop: Header=BB6_13467 Depth=2
	v_or_b32_e32 v37, 0x7f, v0
; %bb.15095:                            ;   in Loop: Header=BB6_13467 Depth=2
	s_or_b32 exec_lo, exec_lo, s10
	v_lshrrev_b16 v1, 8, v54
	v_mov_b32_e32 v0, 0
	s_mov_b32 s10, exec_lo
	s_delay_alu instid0(VALU_DEP_2)
	v_cmpx_ne_u16_e32 0, v1
	s_cbranch_execz .LBB6_15103
; %bb.15096:                            ;   in Loop: Header=BB6_13467 Depth=2
	v_bfrev_b32_e32 v0, 1
	s_mov_b32 s27, exec_lo
	v_cmpx_ne_u16_e32 0x80, v1
	s_cbranch_execz .LBB6_15102
; %bb.15097:                            ;   in Loop: Header=BB6_13467 Depth=2
	v_and_b32_e32 v4, 0xffff, v1
	v_mov_b32_e32 v0, 0x7f800001
	s_mov_b32 s28, exec_lo
	s_delay_alu instid0(VALU_DEP_2) | instskip(NEXT) | instid1(VALU_DEP_1)
	v_and_b32_e32 v1, 0x7f, v4
	v_cmpx_ne_u32_e32 0x7f, v1
	s_cbranch_execz .LBB6_15101
; %bb.15098:                            ;   in Loop: Header=BB6_13467 Depth=2
	v_dual_mov_b32 v17, v55 :: v_dual_bitop2_b32 v16, 7, v4 bitop3:0x40
	v_lshrrev_b32_e32 v0, 3, v1
	s_mov_b32 s29, exec_lo
	v_cmpx_gt_u32_e32 8, v1
; %bb.15099:                            ;   in Loop: Header=BB6_13467 Depth=2
	s_delay_alu instid0(VALU_DEP_3) | instskip(NEXT) | instid1(VALU_DEP_1)
	v_clz_i32_u32_e32 v0, v16
	v_min_u32_e32 v0, 32, v0
	s_delay_alu instid0(VALU_DEP_1) | instskip(SKIP_1) | instid1(VALU_DEP_2)
	v_subrev_nc_u32_e32 v1, 28, v0
	v_sub_nc_u32_e32 v0, 29, v0
	v_lshlrev_b64_e32 v[4:5], v1, v[16:17]
	s_delay_alu instid0(VALU_DEP_1)
	v_and_b32_e32 v16, 7, v4
; %bb.15100:                            ;   in Loop: Header=BB6_13467 Depth=2
	s_or_b32 exec_lo, exec_lo, s29
	s_delay_alu instid0(VALU_DEP_1) | instskip(SKIP_1) | instid1(VALU_DEP_2)
	v_dual_lshlrev_b32 v1, 16, v54 :: v_dual_lshlrev_b32 v4, 20, v16
	v_lshl_add_u32 v0, v0, 23, 0x3c000000
	v_and_b32_e32 v1, 0x80000000, v1
	s_delay_alu instid0(VALU_DEP_1)
	v_or3_b32 v0, v4, v1, v0
.LBB6_15101:                            ;   in Loop: Header=BB6_13467 Depth=2
	s_or_b32 exec_lo, exec_lo, s28
.LBB6_15102:                            ;   in Loop: Header=BB6_13467 Depth=2
	s_delay_alu instid0(SALU_CYCLE_1)
	s_or_b32 exec_lo, exec_lo, s27
.LBB6_15103:                            ;   in Loop: Header=BB6_13467 Depth=2
	s_delay_alu instid0(SALU_CYCLE_1) | instskip(NEXT) | instid1(VALU_DEP_1)
	s_or_b32 exec_lo, exec_lo, s10
	v_mul_f32_e32 v1, s26, v0
                                        ; implicit-def: $vgpr26
	s_mov_b32 s10, exec_lo
	s_delay_alu instid0(VALU_DEP_1) | instskip(SKIP_1) | instid1(VALU_DEP_2)
	v_and_b32_e32 v54, 0x7f800000, v1
	v_lshrrev_b32_e32 v0, 24, v1
	v_cmpx_ne_u64_e32 0x7f800000, v[54:55]
	s_xor_b32 s27, exec_lo, s10
	s_cbranch_execz .LBB6_15117
; %bb.15104:                            ;   in Loop: Header=BB6_13467 Depth=2
	v_and_b32_e32 v54, 0x7fffffff, v1
	v_and_b32_e32 v0, 0x80, v0
                                        ; implicit-def: $vgpr26
	s_mov_b32 s10, exec_lo
	s_delay_alu instid0(VALU_DEP_2)
	v_cmpx_gt_u64_e32 0x43e00001, v[54:55]
	s_xor_b32 s28, exec_lo, s10
	s_cbranch_execz .LBB6_15114
; %bb.15105:                            ;   in Loop: Header=BB6_13467 Depth=2
	v_mov_b32_e32 v26, 0
	s_mov_b32 s29, exec_lo
	v_cmpx_ne_u32_e32 0, v1
	s_cbranch_execz .LBB6_15113
; %bb.15106:                            ;   in Loop: Header=BB6_13467 Depth=2
	v_and_b32_e32 v5, 0x7fffff, v1
	v_bfe_u32 v1, v1, 23, 8
	s_mov_b32 s40, exec_lo
	s_delay_alu instid0(VALU_DEP_2) | instskip(NEXT) | instid1(VALU_DEP_2)
	v_or_b32_e32 v6, 0x800000, v5
	v_cmp_gt_u32_e64 s10, 0x7a, v1
	v_sub_nc_u32_e32 v4, 0x79, v1
	v_cmp_eq_u32_e32 vcc_lo, 0, v1
	s_delay_alu instid0(VALU_DEP_2) | instskip(NEXT) | instid1(VALU_DEP_1)
	v_dual_cndmask_b32 v4, 0, v4, s10 :: v_dual_cndmask_b32 v54, v6, v5, vcc_lo
	v_cndmask_b32_e64 v4, v4, 0x78, vcc_lo
	s_delay_alu instid0(VALU_DEP_1) | instskip(NEXT) | instid1(VALU_DEP_3)
	v_add_nc_u32_e32 v5, 20, v4
	v_lshrrev_b64 v[16:17], v4, v[54:55]
	s_delay_alu instid0(VALU_DEP_2) | instskip(SKIP_1) | instid1(VALU_DEP_3)
	v_lshlrev_b64_e64 v[6:7], v5, -1
	v_add_nc_u32_e32 v5, 19, v4
	v_mov_b64_e32 v[18:19], v[16:17]
	s_delay_alu instid0(VALU_DEP_2) | instskip(NEXT) | instid1(VALU_DEP_4)
	v_lshlrev_b64_e64 v[8:9], v5, 1
	v_bfi_b32 v7, v7, 0, 0
	v_bfi_b32 v6, v6, 0, v54
	s_delay_alu instid0(VALU_DEP_1)
	v_cmpx_eq_u64_e64 v[6:7], v[8:9]
; %bb.15107:                            ;   in Loop: Header=BB6_13467 Depth=2
	v_bfe_u32 v54, v16, 20, 1
	s_delay_alu instid0(VALU_DEP_1) | instskip(NEXT) | instid1(VALU_DEP_1)
	v_add_nc_u64_e32 v[6:7], v[16:17], v[54:55]
	v_add_nc_u64_e32 v[18:19], -1, v[6:7]
; %bb.15108:                            ;   in Loop: Header=BB6_13467 Depth=2
	s_or_b32 exec_lo, exec_lo, s40
	v_add_nc_u32_e32 v1, 0xffffff81, v1
	v_lshrrev_b32_e32 v5, 23, v16
	s_mov_b32 s10, exec_lo
	s_delay_alu instid0(VALU_DEP_2) | instskip(NEXT) | instid1(VALU_DEP_1)
	v_cndmask_b32_e64 v1, v1, 0xffffff82, vcc_lo
	v_add3_u32 v5, v4, v1, v5
	v_and_b32_e32 v1, 0xfffff, v18
	s_delay_alu instid0(VALU_DEP_1) | instskip(NEXT) | instid1(VALU_DEP_1)
	v_dual_add_nc_u32 v4, 6, v5 :: v_dual_add_nc_u32 v54, v1, v16
                                        ; implicit-def: $vgpr16_vgpr17
                                        ; implicit-def: $vgpr1
	v_cmpx_ne_u32_e32 0, v4
	s_xor_b32 s10, exec_lo, s10
; %bb.15109:                            ;   in Loop: Header=BB6_13467 Depth=2
	s_delay_alu instid0(VALU_DEP_2) | instskip(SKIP_1) | instid1(VALU_DEP_1)
	v_cmp_lt_u64_e32 vcc_lo, 0xffffff, v[54:55]
	v_add_nc_u32_e32 v1, 7, v5
	v_cndmask_b32_e32 v1, v4, v1, vcc_lo
	v_cndmask_b32_e64 v4, 0, 1, vcc_lo
	s_delay_alu instid0(VALU_DEP_1)
	v_lshrrev_b64 v[16:17], v4, v[54:55]
; %bb.15110:                            ;   in Loop: Header=BB6_13467 Depth=2
	s_and_not1_saveexec_b32 s10, s10
; %bb.15111:                            ;   in Loop: Header=BB6_13467 Depth=2
	v_mov_b64_e32 v[16:17], v[54:55]
	v_bfe_u32 v1, v54, 23, 1
; %bb.15112:                            ;   in Loop: Header=BB6_13467 Depth=2
	s_or_b32 exec_lo, exec_lo, s10
	s_delay_alu instid0(VALU_DEP_2) | instskip(NEXT) | instid1(VALU_DEP_2)
	v_lshrrev_b64 v[4:5], 20, v[16:17]
	v_cmp_gt_i32_e32 vcc_lo, 16, v1
	v_min_i32_e32 v6, 15, v1
	v_cmp_eq_u32_e64 s10, 0, v1
	s_delay_alu instid0(VALU_DEP_2) | instskip(SKIP_1) | instid1(VALU_DEP_2)
	v_dual_cndmask_b32 v4, 7, v4, vcc_lo :: v_dual_lshlrev_b32 v6, 3, v6
	v_cndmask_b32_e32 v5, 0, v5, vcc_lo
	v_and_b32_e32 v6, 0xf8, v6
	s_delay_alu instid0(VALU_DEP_2) | instskip(NEXT) | instid1(VALU_DEP_2)
	v_cmp_eq_u64_e32 vcc_lo, 0, v[4:5]
	v_and_or_b32 v1, v4, 7, v6
	s_and_b32 s10, s10, vcc_lo
	s_delay_alu instid0(VALU_DEP_1) | instid1(SALU_CYCLE_1)
	v_cndmask_b32_e64 v1, v1, 0, s10
	s_delay_alu instid0(VALU_DEP_1)
	v_or_b32_e32 v26, v1, v0
.LBB6_15113:                            ;   in Loop: Header=BB6_13467 Depth=2
	s_or_b32 exec_lo, exec_lo, s29
                                        ; implicit-def: $vgpr0
.LBB6_15114:                            ;   in Loop: Header=BB6_13467 Depth=2
	s_and_not1_saveexec_b32 s10, s28
; %bb.15115:                            ;   in Loop: Header=BB6_13467 Depth=2
	v_or_b32_e32 v26, 0x7e, v0
; %bb.15116:                            ;   in Loop: Header=BB6_13467 Depth=2
	s_or_b32 exec_lo, exec_lo, s10
                                        ; implicit-def: $vgpr0
.LBB6_15117:                            ;   in Loop: Header=BB6_13467 Depth=2
	s_and_not1_saveexec_b32 s10, s27
; %bb.15118:                            ;   in Loop: Header=BB6_13467 Depth=2
	v_or_b32_e32 v26, 0x7f, v0
; %bb.15119:                            ;   in Loop: Header=BB6_13467 Depth=2
	s_or_b32 exec_lo, exec_lo, s10
	v_dual_mov_b32 v1, 0 :: v_dual_lshrrev_b32 v0, 16, v11
	s_mov_b32 s10, exec_lo
	s_delay_alu instid0(VALU_DEP_1) | instskip(NEXT) | instid1(VALU_DEP_1)
	v_and_b32_e32 v4, 0xff, v0
	v_cmpx_ne_u16_e32 0, v4
	s_cbranch_execz .LBB6_15127
; %bb.15120:                            ;   in Loop: Header=BB6_13467 Depth=2
	v_bfrev_b32_e32 v1, 1
	s_mov_b32 s27, exec_lo
	v_cmpx_ne_u16_e32 0x80, v4
	s_cbranch_execz .LBB6_15126
; %bb.15121:                            ;   in Loop: Header=BB6_13467 Depth=2
	v_bfe_u32 v4, v11, 16, 7
	v_mov_b32_e32 v1, 0x7f800001
	s_mov_b32 s28, exec_lo
	s_delay_alu instid0(VALU_DEP_2)
	v_cmpx_ne_u32_e32 0x7f, v4
	s_cbranch_execz .LBB6_15125
; %bb.15122:                            ;   in Loop: Header=BB6_13467 Depth=2
	v_and_b32_e32 v54, 7, v0
	v_lshrrev_b32_e32 v1, 3, v4
	s_mov_b32 s29, exec_lo
	v_cmpx_gt_u32_e32 8, v4
; %bb.15123:                            ;   in Loop: Header=BB6_13467 Depth=2
	s_delay_alu instid0(VALU_DEP_3) | instskip(NEXT) | instid1(VALU_DEP_1)
	v_clz_i32_u32_e32 v1, v54
	v_min_u32_e32 v1, 32, v1
	s_delay_alu instid0(VALU_DEP_1) | instskip(NEXT) | instid1(VALU_DEP_1)
	v_subrev_nc_u32_e32 v4, 28, v1
	v_lshlrev_b64_e32 v[4:5], v4, v[54:55]
	s_delay_alu instid0(VALU_DEP_1)
	v_dual_sub_nc_u32 v1, 29, v1 :: v_dual_bitop2_b32 v54, 7, v4 bitop3:0x40
; %bb.15124:                            ;   in Loop: Header=BB6_13467 Depth=2
	s_or_b32 exec_lo, exec_lo, s29
	s_delay_alu instid0(VALU_DEP_1) | instskip(NEXT) | instid1(VALU_DEP_2)
	v_dual_lshlrev_b32 v0, 24, v0 :: v_dual_lshlrev_b32 v4, 20, v54
	v_lshl_add_u32 v1, v1, 23, 0x3c000000
	s_delay_alu instid0(VALU_DEP_2) | instskip(NEXT) | instid1(VALU_DEP_1)
	v_and_b32_e32 v0, 0x80000000, v0
	v_or3_b32 v1, v4, v0, v1
.LBB6_15125:                            ;   in Loop: Header=BB6_13467 Depth=2
	s_or_b32 exec_lo, exec_lo, s28
.LBB6_15126:                            ;   in Loop: Header=BB6_13467 Depth=2
	s_delay_alu instid0(SALU_CYCLE_1)
	s_or_b32 exec_lo, exec_lo, s27
.LBB6_15127:                            ;   in Loop: Header=BB6_13467 Depth=2
	s_delay_alu instid0(SALU_CYCLE_1) | instskip(NEXT) | instid1(VALU_DEP_1)
	s_or_b32 exec_lo, exec_lo, s10
	v_mul_f32_e32 v1, s26, v1
                                        ; implicit-def: $vgpr27
	s_mov_b32 s10, exec_lo
	s_delay_alu instid0(VALU_DEP_1) | instskip(SKIP_1) | instid1(VALU_DEP_2)
	v_and_b32_e32 v54, 0x7f800000, v1
	v_lshrrev_b32_e32 v0, 24, v1
	v_cmpx_ne_u64_e32 0x7f800000, v[54:55]
	s_xor_b32 s27, exec_lo, s10
	s_cbranch_execz .LBB6_15141
; %bb.15128:                            ;   in Loop: Header=BB6_13467 Depth=2
	v_and_b32_e32 v54, 0x7fffffff, v1
	v_and_b32_e32 v0, 0x80, v0
                                        ; implicit-def: $vgpr27
	s_mov_b32 s10, exec_lo
	s_delay_alu instid0(VALU_DEP_2)
	v_cmpx_gt_u64_e32 0x43e00001, v[54:55]
	s_xor_b32 s28, exec_lo, s10
	s_cbranch_execz .LBB6_15138
; %bb.15129:                            ;   in Loop: Header=BB6_13467 Depth=2
	v_mov_b32_e32 v27, 0
	s_mov_b32 s29, exec_lo
	v_cmpx_ne_u32_e32 0, v1
	s_cbranch_execz .LBB6_15137
; %bb.15130:                            ;   in Loop: Header=BB6_13467 Depth=2
	v_and_b32_e32 v5, 0x7fffff, v1
	v_bfe_u32 v1, v1, 23, 8
	s_mov_b32 s40, exec_lo
	s_delay_alu instid0(VALU_DEP_2) | instskip(NEXT) | instid1(VALU_DEP_2)
	v_or_b32_e32 v6, 0x800000, v5
	v_cmp_gt_u32_e64 s10, 0x7a, v1
	v_sub_nc_u32_e32 v4, 0x79, v1
	v_cmp_eq_u32_e32 vcc_lo, 0, v1
	s_delay_alu instid0(VALU_DEP_2) | instskip(NEXT) | instid1(VALU_DEP_1)
	v_dual_cndmask_b32 v4, 0, v4, s10 :: v_dual_cndmask_b32 v54, v6, v5, vcc_lo
	v_cndmask_b32_e64 v4, v4, 0x78, vcc_lo
	s_delay_alu instid0(VALU_DEP_1) | instskip(NEXT) | instid1(VALU_DEP_3)
	v_add_nc_u32_e32 v5, 20, v4
	v_lshrrev_b64 v[16:17], v4, v[54:55]
	s_delay_alu instid0(VALU_DEP_2) | instskip(SKIP_1) | instid1(VALU_DEP_3)
	v_lshlrev_b64_e64 v[6:7], v5, -1
	v_add_nc_u32_e32 v5, 19, v4
	v_mov_b64_e32 v[18:19], v[16:17]
	s_delay_alu instid0(VALU_DEP_2) | instskip(NEXT) | instid1(VALU_DEP_4)
	v_lshlrev_b64_e64 v[8:9], v5, 1
	v_bfi_b32 v7, v7, 0, 0
	v_bfi_b32 v6, v6, 0, v54
	s_delay_alu instid0(VALU_DEP_1)
	v_cmpx_eq_u64_e64 v[6:7], v[8:9]
; %bb.15131:                            ;   in Loop: Header=BB6_13467 Depth=2
	v_bfe_u32 v54, v16, 20, 1
	s_delay_alu instid0(VALU_DEP_1) | instskip(NEXT) | instid1(VALU_DEP_1)
	v_add_nc_u64_e32 v[6:7], v[16:17], v[54:55]
	v_add_nc_u64_e32 v[18:19], -1, v[6:7]
; %bb.15132:                            ;   in Loop: Header=BB6_13467 Depth=2
	s_or_b32 exec_lo, exec_lo, s40
	v_add_nc_u32_e32 v1, 0xffffff81, v1
	v_lshrrev_b32_e32 v5, 23, v16
	s_mov_b32 s10, exec_lo
	s_delay_alu instid0(VALU_DEP_2) | instskip(NEXT) | instid1(VALU_DEP_1)
	v_cndmask_b32_e64 v1, v1, 0xffffff82, vcc_lo
	v_add3_u32 v5, v4, v1, v5
	v_and_b32_e32 v1, 0xfffff, v18
	s_delay_alu instid0(VALU_DEP_1) | instskip(NEXT) | instid1(VALU_DEP_1)
	v_dual_add_nc_u32 v4, 6, v5 :: v_dual_add_nc_u32 v54, v1, v16
                                        ; implicit-def: $vgpr16_vgpr17
                                        ; implicit-def: $vgpr1
	v_cmpx_ne_u32_e32 0, v4
	s_xor_b32 s10, exec_lo, s10
; %bb.15133:                            ;   in Loop: Header=BB6_13467 Depth=2
	s_delay_alu instid0(VALU_DEP_2) | instskip(SKIP_1) | instid1(VALU_DEP_1)
	v_cmp_lt_u64_e32 vcc_lo, 0xffffff, v[54:55]
	v_add_nc_u32_e32 v1, 7, v5
	v_cndmask_b32_e32 v1, v4, v1, vcc_lo
	v_cndmask_b32_e64 v4, 0, 1, vcc_lo
	s_delay_alu instid0(VALU_DEP_1)
	v_lshrrev_b64 v[16:17], v4, v[54:55]
; %bb.15134:                            ;   in Loop: Header=BB6_13467 Depth=2
	s_and_not1_saveexec_b32 s10, s10
; %bb.15135:                            ;   in Loop: Header=BB6_13467 Depth=2
	v_mov_b64_e32 v[16:17], v[54:55]
	v_bfe_u32 v1, v54, 23, 1
; %bb.15136:                            ;   in Loop: Header=BB6_13467 Depth=2
	s_or_b32 exec_lo, exec_lo, s10
	s_delay_alu instid0(VALU_DEP_2) | instskip(NEXT) | instid1(VALU_DEP_2)
	v_lshrrev_b64 v[4:5], 20, v[16:17]
	v_cmp_gt_i32_e32 vcc_lo, 16, v1
	v_min_i32_e32 v6, 15, v1
	v_cmp_eq_u32_e64 s10, 0, v1
	s_delay_alu instid0(VALU_DEP_2) | instskip(SKIP_1) | instid1(VALU_DEP_2)
	v_dual_cndmask_b32 v4, 7, v4, vcc_lo :: v_dual_lshlrev_b32 v6, 3, v6
	v_cndmask_b32_e32 v5, 0, v5, vcc_lo
	v_and_b32_e32 v6, 0xf8, v6
	s_delay_alu instid0(VALU_DEP_2) | instskip(NEXT) | instid1(VALU_DEP_2)
	v_cmp_eq_u64_e32 vcc_lo, 0, v[4:5]
	v_and_or_b32 v1, v4, 7, v6
	s_and_b32 s10, s10, vcc_lo
	s_delay_alu instid0(VALU_DEP_1) | instid1(SALU_CYCLE_1)
	v_cndmask_b32_e64 v1, v1, 0, s10
	s_delay_alu instid0(VALU_DEP_1)
	v_or_b32_e32 v27, v1, v0
.LBB6_15137:                            ;   in Loop: Header=BB6_13467 Depth=2
	s_or_b32 exec_lo, exec_lo, s29
                                        ; implicit-def: $vgpr0
.LBB6_15138:                            ;   in Loop: Header=BB6_13467 Depth=2
	s_and_not1_saveexec_b32 s10, s28
; %bb.15139:                            ;   in Loop: Header=BB6_13467 Depth=2
	v_or_b32_e32 v27, 0x7e, v0
; %bb.15140:                            ;   in Loop: Header=BB6_13467 Depth=2
	s_or_b32 exec_lo, exec_lo, s10
                                        ; implicit-def: $vgpr0
.LBB6_15141:                            ;   in Loop: Header=BB6_13467 Depth=2
	s_and_not1_saveexec_b32 s10, s27
; %bb.15142:                            ;   in Loop: Header=BB6_13467 Depth=2
	v_or_b32_e32 v27, 0x7f, v0
; %bb.15143:                            ;   in Loop: Header=BB6_13467 Depth=2
	s_or_b32 exec_lo, exec_lo, s10
	v_mov_b32_e32 v1, 0
	s_mov_b32 s10, exec_lo
	v_cmpx_lt_u64_e64 s[12:13], v[10:11]
	s_cbranch_execz .LBB6_15151
; %bb.15144:                            ;   in Loop: Header=BB6_13467 Depth=2
	v_lshrrev_b32_e32 v0, 24, v11
	v_bfrev_b32_e32 v1, 1
	s_mov_b32 s27, exec_lo
	s_delay_alu instid0(VALU_DEP_2)
	v_cmpx_ne_u32_e32 0x80, v0
	s_cbranch_execz .LBB6_15150
; %bb.15145:                            ;   in Loop: Header=BB6_13467 Depth=2
	v_bfe_u32 v4, v11, 24, 7
	v_mov_b32_e32 v1, 0x7f800001
	s_mov_b32 s28, exec_lo
	s_delay_alu instid0(VALU_DEP_2)
	v_cmpx_ne_u32_e32 0x7f, v4
	s_cbranch_execz .LBB6_15149
; %bb.15146:                            ;   in Loop: Header=BB6_13467 Depth=2
	v_and_b32_e32 v54, 7, v0
	v_lshrrev_b32_e32 v1, 3, v4
	s_mov_b32 s29, exec_lo
	v_cmpx_gt_u32_e32 8, v4
; %bb.15147:                            ;   in Loop: Header=BB6_13467 Depth=2
	s_delay_alu instid0(VALU_DEP_3) | instskip(NEXT) | instid1(VALU_DEP_1)
	v_clz_i32_u32_e32 v1, v54
	v_min_u32_e32 v1, 32, v1
	s_delay_alu instid0(VALU_DEP_1) | instskip(NEXT) | instid1(VALU_DEP_1)
	v_subrev_nc_u32_e32 v4, 28, v1
	v_lshlrev_b64_e32 v[4:5], v4, v[54:55]
	s_delay_alu instid0(VALU_DEP_1)
	v_dual_sub_nc_u32 v1, 29, v1 :: v_dual_bitop2_b32 v54, 7, v4 bitop3:0x40
; %bb.15148:                            ;   in Loop: Header=BB6_13467 Depth=2
	s_or_b32 exec_lo, exec_lo, s29
	s_delay_alu instid0(VALU_DEP_1) | instskip(NEXT) | instid1(VALU_DEP_2)
	v_dual_lshlrev_b32 v0, 24, v0 :: v_dual_lshlrev_b32 v4, 20, v54
	v_lshl_add_u32 v1, v1, 23, 0x3c000000
	s_delay_alu instid0(VALU_DEP_2) | instskip(NEXT) | instid1(VALU_DEP_1)
	v_and_b32_e32 v0, 0x80000000, v0
	v_or3_b32 v1, v4, v0, v1
.LBB6_15149:                            ;   in Loop: Header=BB6_13467 Depth=2
	s_or_b32 exec_lo, exec_lo, s28
.LBB6_15150:                            ;   in Loop: Header=BB6_13467 Depth=2
	s_delay_alu instid0(SALU_CYCLE_1)
	s_or_b32 exec_lo, exec_lo, s27
.LBB6_15151:                            ;   in Loop: Header=BB6_13467 Depth=2
	s_delay_alu instid0(SALU_CYCLE_1) | instskip(NEXT) | instid1(VALU_DEP_1)
	s_or_b32 exec_lo, exec_lo, s10
	v_mul_f32_e32 v4, s26, v1
                                        ; implicit-def: $vgpr0
	s_mov_b32 s10, exec_lo
	s_delay_alu instid0(VALU_DEP_1) | instskip(SKIP_1) | instid1(VALU_DEP_2)
	v_and_b32_e32 v54, 0x7f800000, v4
	v_lshrrev_b32_e32 v1, 24, v4
	v_cmpx_ne_u64_e32 0x7f800000, v[54:55]
	s_xor_b32 s27, exec_lo, s10
	s_cbranch_execz .LBB6_15165
; %bb.15152:                            ;   in Loop: Header=BB6_13467 Depth=2
	v_and_b32_e32 v54, 0x7fffffff, v4
	v_and_b32_e32 v1, 0x80, v1
                                        ; implicit-def: $vgpr0
	s_mov_b32 s10, exec_lo
	s_delay_alu instid0(VALU_DEP_2)
	v_cmpx_gt_u64_e32 0x43e00001, v[54:55]
	s_xor_b32 s28, exec_lo, s10
	s_cbranch_execz .LBB6_15162
; %bb.15153:                            ;   in Loop: Header=BB6_13467 Depth=2
	v_mov_b32_e32 v0, 0
	s_mov_b32 s29, exec_lo
	v_cmpx_ne_u32_e32 0, v4
	s_cbranch_execz .LBB6_15161
; %bb.15154:                            ;   in Loop: Header=BB6_13467 Depth=2
	v_bfe_u32 v0, v4, 23, 8
	v_and_b32_e32 v5, 0x7fffff, v4
	s_mov_b32 s40, exec_lo
	s_delay_alu instid0(VALU_DEP_2) | instskip(SKIP_3) | instid1(VALU_DEP_1)
	v_cmp_gt_u32_e64 s10, 0x7a, v0
	v_sub_nc_u32_e32 v4, 0x79, v0
	v_cmp_eq_u32_e32 vcc_lo, 0, v0
	v_or_b32_e32 v6, 0x800000, v5
	v_dual_cndmask_b32 v4, 0, v4, s10 :: v_dual_cndmask_b32 v54, v6, v5, vcc_lo
	s_delay_alu instid0(VALU_DEP_1) | instskip(NEXT) | instid1(VALU_DEP_1)
	v_cndmask_b32_e64 v4, v4, 0x78, vcc_lo
	v_add_nc_u32_e32 v5, 20, v4
	s_delay_alu instid0(VALU_DEP_3) | instskip(NEXT) | instid1(VALU_DEP_2)
	v_lshrrev_b64 v[10:11], v4, v[54:55]
	v_lshlrev_b64_e64 v[6:7], v5, -1
	v_add_nc_u32_e32 v5, 19, v4
	s_delay_alu instid0(VALU_DEP_3) | instskip(NEXT) | instid1(VALU_DEP_2)
	v_mov_b64_e32 v[16:17], v[10:11]
	v_lshlrev_b64_e64 v[8:9], v5, 1
	s_delay_alu instid0(VALU_DEP_4) | instskip(SKIP_1) | instid1(VALU_DEP_1)
	v_bfi_b32 v7, v7, 0, 0
	v_bfi_b32 v6, v6, 0, v54
	v_cmpx_eq_u64_e64 v[6:7], v[8:9]
; %bb.15155:                            ;   in Loop: Header=BB6_13467 Depth=2
	v_bfe_u32 v54, v10, 20, 1
	s_delay_alu instid0(VALU_DEP_1) | instskip(NEXT) | instid1(VALU_DEP_1)
	v_add_nc_u64_e32 v[6:7], v[10:11], v[54:55]
	v_add_nc_u64_e32 v[16:17], -1, v[6:7]
; %bb.15156:                            ;   in Loop: Header=BB6_13467 Depth=2
	s_or_b32 exec_lo, exec_lo, s40
	v_add_nc_u32_e32 v0, 0xffffff81, v0
	v_lshrrev_b32_e32 v5, 23, v10
	s_mov_b32 s10, exec_lo
	s_delay_alu instid0(VALU_DEP_2) | instskip(NEXT) | instid1(VALU_DEP_1)
	v_cndmask_b32_e64 v0, v0, 0xffffff82, vcc_lo
	v_add3_u32 v5, v4, v0, v5
	v_and_b32_e32 v0, 0xfffff, v16
	s_delay_alu instid0(VALU_DEP_1) | instskip(NEXT) | instid1(VALU_DEP_1)
	v_dual_add_nc_u32 v4, 6, v5 :: v_dual_add_nc_u32 v54, v0, v10
                                        ; implicit-def: $vgpr10_vgpr11
                                        ; implicit-def: $vgpr0
	v_cmpx_ne_u32_e32 0, v4
	s_xor_b32 s10, exec_lo, s10
; %bb.15157:                            ;   in Loop: Header=BB6_13467 Depth=2
	s_delay_alu instid0(VALU_DEP_2) | instskip(SKIP_1) | instid1(VALU_DEP_1)
	v_cmp_lt_u64_e32 vcc_lo, 0xffffff, v[54:55]
	v_add_nc_u32_e32 v0, 7, v5
	v_cndmask_b32_e32 v0, v4, v0, vcc_lo
	v_cndmask_b32_e64 v4, 0, 1, vcc_lo
	s_delay_alu instid0(VALU_DEP_1)
	v_lshrrev_b64 v[10:11], v4, v[54:55]
; %bb.15158:                            ;   in Loop: Header=BB6_13467 Depth=2
	s_and_not1_saveexec_b32 s10, s10
; %bb.15159:                            ;   in Loop: Header=BB6_13467 Depth=2
	v_mov_b64_e32 v[10:11], v[54:55]
	v_bfe_u32 v0, v54, 23, 1
; %bb.15160:                            ;   in Loop: Header=BB6_13467 Depth=2
	s_or_b32 exec_lo, exec_lo, s10
	s_delay_alu instid0(VALU_DEP_2) | instskip(NEXT) | instid1(VALU_DEP_2)
	v_lshrrev_b64 v[4:5], 20, v[10:11]
	v_cmp_gt_i32_e32 vcc_lo, 16, v0
	v_min_i32_e32 v6, 15, v0
	v_cmp_eq_u32_e64 s10, 0, v0
	s_delay_alu instid0(VALU_DEP_2) | instskip(SKIP_1) | instid1(VALU_DEP_2)
	v_dual_cndmask_b32 v5, 0, v5 :: v_dual_lshlrev_b32 v6, 3, v6
	v_cndmask_b32_e32 v4, 7, v4, vcc_lo
	v_and_b32_e32 v6, 0xf8, v6
	s_delay_alu instid0(VALU_DEP_2) | instskip(NEXT) | instid1(VALU_DEP_2)
	v_cmp_eq_u64_e32 vcc_lo, 0, v[4:5]
	v_and_or_b32 v0, v4, 7, v6
	s_and_b32 s10, s10, vcc_lo
	s_delay_alu instid0(VALU_DEP_1) | instid1(SALU_CYCLE_1)
	v_cndmask_b32_e64 v0, v0, 0, s10
	s_delay_alu instid0(VALU_DEP_1)
	v_or_b32_e32 v0, v0, v1
.LBB6_15161:                            ;   in Loop: Header=BB6_13467 Depth=2
	s_or_b32 exec_lo, exec_lo, s29
                                        ; implicit-def: $vgpr1
.LBB6_15162:                            ;   in Loop: Header=BB6_13467 Depth=2
	s_and_not1_saveexec_b32 s10, s28
; %bb.15163:                            ;   in Loop: Header=BB6_13467 Depth=2
	v_or_b32_e32 v0, 0x7e, v1
; %bb.15164:                            ;   in Loop: Header=BB6_13467 Depth=2
	s_or_b32 exec_lo, exec_lo, s10
                                        ; implicit-def: $vgpr1
.LBB6_15165:                            ;   in Loop: Header=BB6_13467 Depth=2
	s_and_not1_saveexec_b32 s10, s27
; %bb.15166:                            ;   in Loop: Header=BB6_13467 Depth=2
	v_or_b32_e32 v0, 0x7f, v1
; %bb.15167:                            ;   in Loop: Header=BB6_13467 Depth=2
	s_or_b32 exec_lo, exec_lo, s10
	v_and_b32_e32 v4, 0xff, v12
	v_mov_b32_e32 v1, 0
	s_mov_b32 s10, exec_lo
	s_delay_alu instid0(VALU_DEP_2)
	v_cmpx_ne_u16_e32 0, v4
	s_cbranch_execz .LBB6_15173
; %bb.15168:                            ;   in Loop: Header=BB6_13467 Depth=2
	v_bfrev_b32_e32 v1, 1
	s_mov_b32 s27, exec_lo
	v_cmpx_ne_u16_e32 0x80, v4
	s_cbranch_execz .LBB6_15172
; %bb.15169:                            ;   in Loop: Header=BB6_13467 Depth=2
	v_and_b32_e32 v4, 0x7f, v12
	v_mov_b32_e32 v1, 0x7f800001
	s_mov_b32 s28, exec_lo
	s_delay_alu instid0(VALU_DEP_2)
	v_cmpx_ne_u32_e32 0x7f, v4
	s_cbranch_execz .LBB6_15171
; %bb.15170:                            ;   in Loop: Header=BB6_13467 Depth=2
	v_and_b32_e32 v1, 7, v12
	v_cmp_gt_u32_e32 vcc_lo, 8, v4
	s_delay_alu instid0(VALU_DEP_2) | instskip(NEXT) | instid1(VALU_DEP_1)
	v_clz_i32_u32_e32 v1, v1
	v_min_u32_e32 v1, 32, v1
	v_lshrrev_b32_e32 v5, 3, v4
	s_delay_alu instid0(VALU_DEP_2) | instskip(NEXT) | instid1(VALU_DEP_1)
	v_subrev_nc_u32_e32 v4, 28, v1
	v_dual_cndmask_b32 v4, 0, v4 :: v_dual_sub_nc_u32 v1, 29, v1
	s_delay_alu instid0(VALU_DEP_1) | instskip(NEXT) | instid1(VALU_DEP_2)
	v_cndmask_b32_e32 v1, v5, v1, vcc_lo
	v_lshlrev_b64_e32 v[4:5], v4, v[12:13]
	v_lshlrev_b32_e32 v5, 24, v12
	s_delay_alu instid0(VALU_DEP_3) | instskip(NEXT) | instid1(VALU_DEP_2)
	v_lshl_add_u32 v1, v1, 23, 0x3c000000
	v_and_b32_e32 v5, 0x80000000, v5
	s_delay_alu instid0(VALU_DEP_4) | instskip(NEXT) | instid1(VALU_DEP_1)
	v_lshlrev_b32_e32 v4, 20, v4
	v_and_b32_e32 v4, 0x700000, v4
	s_delay_alu instid0(VALU_DEP_1)
	v_or3_b32 v1, v4, v5, v1
.LBB6_15171:                            ;   in Loop: Header=BB6_13467 Depth=2
	s_or_b32 exec_lo, exec_lo, s28
.LBB6_15172:                            ;   in Loop: Header=BB6_13467 Depth=2
	s_delay_alu instid0(SALU_CYCLE_1)
	s_or_b32 exec_lo, exec_lo, s27
.LBB6_15173:                            ;   in Loop: Header=BB6_13467 Depth=2
	s_delay_alu instid0(SALU_CYCLE_1) | instskip(NEXT) | instid1(VALU_DEP_1)
	s_or_b32 exec_lo, exec_lo, s10
	v_mul_f32_e32 v5, s26, v1
                                        ; implicit-def: $vgpr1
	s_mov_b32 s10, exec_lo
	s_delay_alu instid0(VALU_DEP_1) | instskip(SKIP_1) | instid1(VALU_DEP_2)
	v_and_b32_e32 v54, 0x7f800000, v5
	v_lshrrev_b32_e32 v4, 24, v5
	v_cmpx_ne_u64_e32 0x7f800000, v[54:55]
	s_xor_b32 s27, exec_lo, s10
	s_cbranch_execz .LBB6_15187
; %bb.15174:                            ;   in Loop: Header=BB6_13467 Depth=2
	v_and_b32_e32 v54, 0x7fffffff, v5
	v_and_b32_e32 v4, 0x80, v4
                                        ; implicit-def: $vgpr1
	s_mov_b32 s10, exec_lo
	s_delay_alu instid0(VALU_DEP_2)
	v_cmpx_gt_u64_e32 0x43e00001, v[54:55]
	s_xor_b32 s28, exec_lo, s10
	s_cbranch_execz .LBB6_15184
; %bb.15175:                            ;   in Loop: Header=BB6_13467 Depth=2
	v_mov_b32_e32 v1, 0
	s_mov_b32 s29, exec_lo
	v_cmpx_ne_u32_e32 0, v5
	s_cbranch_execz .LBB6_15183
; %bb.15176:                            ;   in Loop: Header=BB6_13467 Depth=2
	v_and_b32_e32 v6, 0x7fffff, v5
	v_bfe_u32 v1, v5, 23, 8
	s_mov_b32 s40, exec_lo
	s_delay_alu instid0(VALU_DEP_2) | instskip(NEXT) | instid1(VALU_DEP_2)
	v_or_b32_e32 v7, 0x800000, v6
	v_cmp_eq_u32_e32 vcc_lo, 0, v1
	v_cmp_gt_u32_e64 s10, 0x7a, v1
	s_delay_alu instid0(VALU_DEP_3) | instskip(NEXT) | instid1(VALU_DEP_1)
	v_dual_cndmask_b32 v54, v7, v6 :: v_dual_sub_nc_u32 v5, 0x79, v1
	v_cndmask_b32_e64 v5, 0, v5, s10
	s_delay_alu instid0(VALU_DEP_1) | instskip(NEXT) | instid1(VALU_DEP_1)
	v_cndmask_b32_e64 v5, v5, 0x78, vcc_lo
	v_dual_add_nc_u32 v6, 20, v5 :: v_dual_add_nc_u32 v8, 19, v5
	s_delay_alu instid0(VALU_DEP_4) | instskip(NEXT) | instid1(VALU_DEP_2)
	v_lshrrev_b64 v[10:11], v5, v[54:55]
	v_lshlrev_b64_e64 v[6:7], v6, -1
	s_delay_alu instid0(VALU_DEP_3) | instskip(NEXT) | instid1(VALU_DEP_3)
	v_lshlrev_b64_e64 v[8:9], v8, 1
	v_mov_b64_e32 v[16:17], v[10:11]
	s_delay_alu instid0(VALU_DEP_3) | instskip(NEXT) | instid1(VALU_DEP_4)
	v_bfi_b32 v7, v7, 0, 0
	v_bfi_b32 v6, v6, 0, v54
	s_delay_alu instid0(VALU_DEP_1)
	v_cmpx_eq_u64_e64 v[6:7], v[8:9]
; %bb.15177:                            ;   in Loop: Header=BB6_13467 Depth=2
	v_bfe_u32 v54, v10, 20, 1
	s_delay_alu instid0(VALU_DEP_1) | instskip(NEXT) | instid1(VALU_DEP_1)
	v_add_nc_u64_e32 v[6:7], v[10:11], v[54:55]
	v_add_nc_u64_e32 v[16:17], -1, v[6:7]
; %bb.15178:                            ;   in Loop: Header=BB6_13467 Depth=2
	s_or_b32 exec_lo, exec_lo, s40
	v_add_nc_u32_e32 v1, 0xffffff81, v1
	v_lshrrev_b32_e32 v6, 23, v10
	s_mov_b32 s10, exec_lo
	s_delay_alu instid0(VALU_DEP_2) | instskip(NEXT) | instid1(VALU_DEP_1)
	v_cndmask_b32_e64 v1, v1, 0xffffff82, vcc_lo
	v_add3_u32 v6, v5, v1, v6
	v_and_b32_e32 v1, 0xfffff, v16
	s_delay_alu instid0(VALU_DEP_2) | instskip(NEXT) | instid1(VALU_DEP_2)
	v_add_nc_u32_e32 v5, 6, v6
	v_add_nc_u32_e32 v54, v1, v10
                                        ; implicit-def: $vgpr10_vgpr11
                                        ; implicit-def: $vgpr1
	s_delay_alu instid0(VALU_DEP_2)
	v_cmpx_ne_u32_e32 0, v5
	s_xor_b32 s10, exec_lo, s10
; %bb.15179:                            ;   in Loop: Header=BB6_13467 Depth=2
	s_delay_alu instid0(VALU_DEP_2) | instskip(SKIP_1) | instid1(VALU_DEP_1)
	v_cmp_lt_u64_e32 vcc_lo, 0xffffff, v[54:55]
	v_add_nc_u32_e32 v1, 7, v6
	v_cndmask_b32_e32 v1, v5, v1, vcc_lo
	v_cndmask_b32_e64 v5, 0, 1, vcc_lo
	s_delay_alu instid0(VALU_DEP_1)
	v_lshrrev_b64 v[10:11], v5, v[54:55]
; %bb.15180:                            ;   in Loop: Header=BB6_13467 Depth=2
	s_and_not1_saveexec_b32 s10, s10
; %bb.15181:                            ;   in Loop: Header=BB6_13467 Depth=2
	v_mov_b64_e32 v[10:11], v[54:55]
	v_bfe_u32 v1, v54, 23, 1
; %bb.15182:                            ;   in Loop: Header=BB6_13467 Depth=2
	s_or_b32 exec_lo, exec_lo, s10
	s_delay_alu instid0(VALU_DEP_2) | instskip(NEXT) | instid1(VALU_DEP_2)
	v_lshrrev_b64 v[6:7], 20, v[10:11]
	v_cmp_gt_i32_e32 vcc_lo, 16, v1
	v_min_i32_e32 v5, 15, v1
	v_cmp_eq_u32_e64 s10, 0, v1
	s_delay_alu instid0(VALU_DEP_2) | instskip(SKIP_1) | instid1(VALU_DEP_2)
	v_dual_cndmask_b32 v7, 0, v7, vcc_lo :: v_dual_lshlrev_b32 v5, 3, v5
	v_cndmask_b32_e32 v6, 7, v6, vcc_lo
	v_and_b32_e32 v5, 0xf8, v5
	s_delay_alu instid0(VALU_DEP_2) | instskip(NEXT) | instid1(VALU_DEP_2)
	v_cmp_eq_u64_e32 vcc_lo, 0, v[6:7]
	v_and_or_b32 v1, v6, 7, v5
	s_and_b32 s10, s10, vcc_lo
	s_delay_alu instid0(VALU_DEP_1) | instid1(SALU_CYCLE_1)
	v_cndmask_b32_e64 v1, v1, 0, s10
	s_delay_alu instid0(VALU_DEP_1)
	v_or_b32_e32 v1, v1, v4
.LBB6_15183:                            ;   in Loop: Header=BB6_13467 Depth=2
	s_or_b32 exec_lo, exec_lo, s29
                                        ; implicit-def: $vgpr4
.LBB6_15184:                            ;   in Loop: Header=BB6_13467 Depth=2
	s_and_not1_saveexec_b32 s10, s28
; %bb.15185:                            ;   in Loop: Header=BB6_13467 Depth=2
	v_or_b32_e32 v1, 0x7e, v4
; %bb.15186:                            ;   in Loop: Header=BB6_13467 Depth=2
	s_or_b32 exec_lo, exec_lo, s10
                                        ; implicit-def: $vgpr4
.LBB6_15187:                            ;   in Loop: Header=BB6_13467 Depth=2
	s_and_not1_saveexec_b32 s10, s27
; %bb.15188:                            ;   in Loop: Header=BB6_13467 Depth=2
	v_or_b32_e32 v1, 0x7f, v4
; %bb.15189:                            ;   in Loop: Header=BB6_13467 Depth=2
	s_or_b32 exec_lo, exec_lo, s10
	v_lshrrev_b16 v5, 8, v12
	v_mov_b32_e32 v4, 0
	s_mov_b32 s10, exec_lo
	s_delay_alu instid0(VALU_DEP_2)
	v_cmpx_ne_u16_e32 0, v5
	s_cbranch_execz .LBB6_15197
; %bb.15190:                            ;   in Loop: Header=BB6_13467 Depth=2
	v_bfrev_b32_e32 v4, 1
	s_mov_b32 s27, exec_lo
	v_cmpx_ne_u16_e32 0x80, v5
	s_cbranch_execz .LBB6_15196
; %bb.15191:                            ;   in Loop: Header=BB6_13467 Depth=2
	v_and_b32_e32 v6, 0xffff, v5
	v_mov_b32_e32 v4, 0x7f800001
	s_mov_b32 s28, exec_lo
	s_delay_alu instid0(VALU_DEP_2) | instskip(NEXT) | instid1(VALU_DEP_1)
	v_and_b32_e32 v5, 0x7f, v6
	v_cmpx_ne_u32_e32 0x7f, v5
	s_cbranch_execz .LBB6_15195
; %bb.15192:                            ;   in Loop: Header=BB6_13467 Depth=2
	v_dual_lshrrev_b32 v4, 3, v5 :: v_dual_bitop2_b32 v54, 7, v6 bitop3:0x40
	s_mov_b32 s29, exec_lo
	v_cmpx_gt_u32_e32 8, v5
; %bb.15193:                            ;   in Loop: Header=BB6_13467 Depth=2
	s_delay_alu instid0(VALU_DEP_2) | instskip(NEXT) | instid1(VALU_DEP_1)
	v_clz_i32_u32_e32 v4, v54
	v_min_u32_e32 v4, 32, v4
	s_delay_alu instid0(VALU_DEP_1) | instskip(NEXT) | instid1(VALU_DEP_1)
	v_subrev_nc_u32_e32 v5, 28, v4
	v_lshlrev_b64_e32 v[6:7], v5, v[54:55]
	s_delay_alu instid0(VALU_DEP_1)
	v_dual_sub_nc_u32 v4, 29, v4 :: v_dual_bitop2_b32 v54, 7, v6 bitop3:0x40
; %bb.15194:                            ;   in Loop: Header=BB6_13467 Depth=2
	s_or_b32 exec_lo, exec_lo, s29
	s_delay_alu instid0(VALU_DEP_1) | instskip(NEXT) | instid1(VALU_DEP_2)
	v_dual_lshlrev_b32 v5, 16, v12 :: v_dual_lshlrev_b32 v6, 20, v54
	v_lshl_add_u32 v4, v4, 23, 0x3c000000
	s_delay_alu instid0(VALU_DEP_2) | instskip(NEXT) | instid1(VALU_DEP_1)
	v_and_b32_e32 v5, 0x80000000, v5
	v_or3_b32 v4, v6, v5, v4
.LBB6_15195:                            ;   in Loop: Header=BB6_13467 Depth=2
	s_or_b32 exec_lo, exec_lo, s28
.LBB6_15196:                            ;   in Loop: Header=BB6_13467 Depth=2
	s_delay_alu instid0(SALU_CYCLE_1)
	s_or_b32 exec_lo, exec_lo, s27
.LBB6_15197:                            ;   in Loop: Header=BB6_13467 Depth=2
	s_delay_alu instid0(SALU_CYCLE_1) | instskip(NEXT) | instid1(VALU_DEP_1)
	s_or_b32 exec_lo, exec_lo, s10
	v_mul_f32_e32 v5, s26, v4
                                        ; implicit-def: $vgpr53
	s_mov_b32 s10, exec_lo
	s_delay_alu instid0(VALU_DEP_1) | instskip(SKIP_1) | instid1(VALU_DEP_2)
	v_and_b32_e32 v54, 0x7f800000, v5
	v_lshrrev_b32_e32 v4, 24, v5
	v_cmpx_ne_u64_e32 0x7f800000, v[54:55]
	s_xor_b32 s27, exec_lo, s10
	s_cbranch_execz .LBB6_15211
; %bb.15198:                            ;   in Loop: Header=BB6_13467 Depth=2
	v_and_b32_e32 v54, 0x7fffffff, v5
	v_and_b32_e32 v4, 0x80, v4
                                        ; implicit-def: $vgpr53
	s_mov_b32 s10, exec_lo
	s_delay_alu instid0(VALU_DEP_2)
	v_cmpx_gt_u64_e32 0x43e00001, v[54:55]
	s_xor_b32 s28, exec_lo, s10
	s_cbranch_execz .LBB6_15208
; %bb.15199:                            ;   in Loop: Header=BB6_13467 Depth=2
	v_mov_b32_e32 v53, 0
	s_mov_b32 s29, exec_lo
	v_cmpx_ne_u32_e32 0, v5
	s_cbranch_execz .LBB6_15207
; %bb.15200:                            ;   in Loop: Header=BB6_13467 Depth=2
	v_and_b32_e32 v7, 0x7fffff, v5
	v_bfe_u32 v5, v5, 23, 8
	s_delay_alu instid0(VALU_DEP_2) | instskip(NEXT) | instid1(VALU_DEP_2)
	v_or_b32_e32 v8, 0x800000, v7
	v_cmp_gt_u32_e64 s10, 0x7a, v5
	v_sub_nc_u32_e32 v6, 0x79, v5
	v_cmp_eq_u32_e32 vcc_lo, 0, v5
	s_delay_alu instid0(VALU_DEP_2) | instskip(NEXT) | instid1(VALU_DEP_1)
	v_dual_cndmask_b32 v6, 0, v6, s10 :: v_dual_cndmask_b32 v54, v8, v7, vcc_lo
	v_cndmask_b32_e64 v6, v6, 0x78, vcc_lo
	s_delay_alu instid0(VALU_DEP_1) | instskip(NEXT) | instid1(VALU_DEP_1)
	v_add_nc_u32_e32 v7, 20, v6
	v_lshlrev_b64_e64 v[8:9], v7, -1
	v_add_nc_u32_e32 v7, 19, v6
	s_delay_alu instid0(VALU_DEP_1) | instskip(NEXT) | instid1(VALU_DEP_3)
	v_lshlrev_b64_e64 v[10:11], v7, 1
	v_bfi_b32 v9, v9, 0, 0
	s_delay_alu instid0(VALU_DEP_4) | instskip(NEXT) | instid1(VALU_DEP_1)
	v_bfi_b32 v8, v8, 0, v54
	v_cmp_eq_u64_e64 s10, v[8:9], v[10:11]
	v_lshrrev_b64 v[10:11], v6, v[54:55]
	s_delay_alu instid0(VALU_DEP_1)
	v_mov_b64_e32 v[16:17], v[10:11]
	s_and_saveexec_b32 s40, s10
; %bb.15201:                            ;   in Loop: Header=BB6_13467 Depth=2
	v_bfe_u32 v54, v10, 20, 1
	s_delay_alu instid0(VALU_DEP_1) | instskip(NEXT) | instid1(VALU_DEP_1)
	v_add_nc_u64_e32 v[8:9], v[10:11], v[54:55]
	v_add_nc_u64_e32 v[16:17], -1, v[8:9]
; %bb.15202:                            ;   in Loop: Header=BB6_13467 Depth=2
	s_or_b32 exec_lo, exec_lo, s40
	v_add_nc_u32_e32 v5, 0xffffff81, v5
	v_lshrrev_b32_e32 v7, 23, v10
	s_mov_b32 s10, exec_lo
	s_delay_alu instid0(VALU_DEP_2) | instskip(NEXT) | instid1(VALU_DEP_1)
	v_cndmask_b32_e64 v5, v5, 0xffffff82, vcc_lo
	v_add3_u32 v7, v6, v5, v7
	v_and_b32_e32 v5, 0xfffff, v16
	s_delay_alu instid0(VALU_DEP_1) | instskip(NEXT) | instid1(VALU_DEP_1)
	v_dual_add_nc_u32 v6, 6, v7 :: v_dual_add_nc_u32 v54, v5, v10
                                        ; implicit-def: $vgpr10_vgpr11
                                        ; implicit-def: $vgpr5
	v_cmpx_ne_u32_e32 0, v6
	s_xor_b32 s10, exec_lo, s10
; %bb.15203:                            ;   in Loop: Header=BB6_13467 Depth=2
	s_delay_alu instid0(VALU_DEP_2) | instskip(SKIP_1) | instid1(VALU_DEP_1)
	v_cmp_lt_u64_e32 vcc_lo, 0xffffff, v[54:55]
	v_add_nc_u32_e32 v5, 7, v7
	v_cndmask_b32_e32 v5, v6, v5, vcc_lo
	v_cndmask_b32_e64 v6, 0, 1, vcc_lo
	s_delay_alu instid0(VALU_DEP_1)
	v_lshrrev_b64 v[10:11], v6, v[54:55]
; %bb.15204:                            ;   in Loop: Header=BB6_13467 Depth=2
	s_and_not1_saveexec_b32 s10, s10
; %bb.15205:                            ;   in Loop: Header=BB6_13467 Depth=2
	v_mov_b64_e32 v[10:11], v[54:55]
	v_bfe_u32 v5, v54, 23, 1
; %bb.15206:                            ;   in Loop: Header=BB6_13467 Depth=2
	s_or_b32 exec_lo, exec_lo, s10
	s_delay_alu instid0(VALU_DEP_2) | instskip(NEXT) | instid1(VALU_DEP_2)
	v_lshrrev_b64 v[6:7], 20, v[10:11]
	v_cmp_gt_i32_e32 vcc_lo, 16, v5
	v_min_i32_e32 v8, 15, v5
	v_cmp_eq_u32_e64 s10, 0, v5
	s_delay_alu instid0(VALU_DEP_2) | instskip(SKIP_1) | instid1(VALU_DEP_2)
	v_dual_cndmask_b32 v7, 0, v7 :: v_dual_lshlrev_b32 v8, 3, v8
	v_cndmask_b32_e32 v6, 7, v6, vcc_lo
	v_and_b32_e32 v8, 0xf8, v8
	s_delay_alu instid0(VALU_DEP_2) | instskip(NEXT) | instid1(VALU_DEP_2)
	v_cmp_eq_u64_e32 vcc_lo, 0, v[6:7]
	v_and_or_b32 v5, v6, 7, v8
	s_and_b32 s10, s10, vcc_lo
	s_delay_alu instid0(VALU_DEP_1) | instid1(SALU_CYCLE_1)
	v_cndmask_b32_e64 v5, v5, 0, s10
	s_delay_alu instid0(VALU_DEP_1)
	v_or_b32_e32 v53, v5, v4
.LBB6_15207:                            ;   in Loop: Header=BB6_13467 Depth=2
	s_or_b32 exec_lo, exec_lo, s29
                                        ; implicit-def: $vgpr4
.LBB6_15208:                            ;   in Loop: Header=BB6_13467 Depth=2
	s_and_not1_saveexec_b32 s10, s28
; %bb.15209:                            ;   in Loop: Header=BB6_13467 Depth=2
	v_or_b32_e32 v53, 0x7e, v4
; %bb.15210:                            ;   in Loop: Header=BB6_13467 Depth=2
	s_or_b32 exec_lo, exec_lo, s10
                                        ; implicit-def: $vgpr4
.LBB6_15211:                            ;   in Loop: Header=BB6_13467 Depth=2
	s_and_not1_saveexec_b32 s10, s27
; %bb.15212:                            ;   in Loop: Header=BB6_13467 Depth=2
	v_or_b32_e32 v53, 0x7f, v4
; %bb.15213:                            ;   in Loop: Header=BB6_13467 Depth=2
	s_or_b32 exec_lo, exec_lo, s10
	v_dual_mov_b32 v5, 0 :: v_dual_lshrrev_b32 v4, 16, v12
	s_mov_b32 s10, exec_lo
	s_delay_alu instid0(VALU_DEP_1) | instskip(NEXT) | instid1(VALU_DEP_1)
	v_and_b32_e32 v6, 0xff, v4
	v_cmpx_ne_u16_e32 0, v6
	s_cbranch_execz .LBB6_15221
; %bb.15214:                            ;   in Loop: Header=BB6_13467 Depth=2
	v_bfrev_b32_e32 v5, 1
	s_mov_b32 s27, exec_lo
	v_cmpx_ne_u16_e32 0x80, v6
	s_cbranch_execz .LBB6_15220
; %bb.15215:                            ;   in Loop: Header=BB6_13467 Depth=2
	v_bfe_u32 v6, v12, 16, 7
	v_mov_b32_e32 v5, 0x7f800001
	s_mov_b32 s28, exec_lo
	s_delay_alu instid0(VALU_DEP_2)
	v_cmpx_ne_u32_e32 0x7f, v6
	s_cbranch_execz .LBB6_15219
; %bb.15216:                            ;   in Loop: Header=BB6_13467 Depth=2
	v_dual_lshrrev_b32 v5, 3, v6 :: v_dual_bitop2_b32 v54, 7, v4 bitop3:0x40
	s_mov_b32 s29, exec_lo
	v_cmpx_gt_u32_e32 8, v6
; %bb.15217:                            ;   in Loop: Header=BB6_13467 Depth=2
	s_delay_alu instid0(VALU_DEP_2) | instskip(NEXT) | instid1(VALU_DEP_1)
	v_clz_i32_u32_e32 v5, v54
	v_min_u32_e32 v5, 32, v5
	s_delay_alu instid0(VALU_DEP_1) | instskip(NEXT) | instid1(VALU_DEP_1)
	v_subrev_nc_u32_e32 v6, 28, v5
	v_lshlrev_b64_e32 v[6:7], v6, v[54:55]
	s_delay_alu instid0(VALU_DEP_1)
	v_dual_sub_nc_u32 v5, 29, v5 :: v_dual_bitop2_b32 v54, 7, v6 bitop3:0x40
; %bb.15218:                            ;   in Loop: Header=BB6_13467 Depth=2
	s_or_b32 exec_lo, exec_lo, s29
	s_delay_alu instid0(VALU_DEP_1) | instskip(NEXT) | instid1(VALU_DEP_2)
	v_dual_lshlrev_b32 v4, 24, v4 :: v_dual_lshlrev_b32 v6, 20, v54
	v_lshl_add_u32 v5, v5, 23, 0x3c000000
	s_delay_alu instid0(VALU_DEP_2) | instskip(NEXT) | instid1(VALU_DEP_1)
	v_and_b32_e32 v4, 0x80000000, v4
	v_or3_b32 v5, v6, v4, v5
.LBB6_15219:                            ;   in Loop: Header=BB6_13467 Depth=2
	s_or_b32 exec_lo, exec_lo, s28
.LBB6_15220:                            ;   in Loop: Header=BB6_13467 Depth=2
	s_delay_alu instid0(SALU_CYCLE_1)
	s_or_b32 exec_lo, exec_lo, s27
.LBB6_15221:                            ;   in Loop: Header=BB6_13467 Depth=2
	s_delay_alu instid0(SALU_CYCLE_1) | instskip(NEXT) | instid1(VALU_DEP_1)
	s_or_b32 exec_lo, exec_lo, s10
	v_mul_f32_e32 v5, s26, v5
                                        ; implicit-def: $vgpr87
	s_mov_b32 s10, exec_lo
	s_delay_alu instid0(VALU_DEP_1) | instskip(SKIP_1) | instid1(VALU_DEP_2)
	v_and_b32_e32 v54, 0x7f800000, v5
	v_lshrrev_b32_e32 v4, 24, v5
	v_cmpx_ne_u64_e32 0x7f800000, v[54:55]
	s_xor_b32 s27, exec_lo, s10
	s_cbranch_execz .LBB6_15235
; %bb.15222:                            ;   in Loop: Header=BB6_13467 Depth=2
	v_and_b32_e32 v54, 0x7fffffff, v5
	v_and_b32_e32 v4, 0x80, v4
                                        ; implicit-def: $vgpr87
	s_mov_b32 s10, exec_lo
	s_delay_alu instid0(VALU_DEP_2)
	v_cmpx_gt_u64_e32 0x43e00001, v[54:55]
	s_xor_b32 s28, exec_lo, s10
	s_cbranch_execz .LBB6_15232
; %bb.15223:                            ;   in Loop: Header=BB6_13467 Depth=2
	v_mov_b32_e32 v87, 0
	s_mov_b32 s29, exec_lo
	v_cmpx_ne_u32_e32 0, v5
	s_cbranch_execz .LBB6_15231
; %bb.15224:                            ;   in Loop: Header=BB6_13467 Depth=2
	v_and_b32_e32 v7, 0x7fffff, v5
	v_bfe_u32 v5, v5, 23, 8
	s_delay_alu instid0(VALU_DEP_2) | instskip(NEXT) | instid1(VALU_DEP_2)
	v_or_b32_e32 v8, 0x800000, v7
	v_cmp_gt_u32_e64 s10, 0x7a, v5
	v_sub_nc_u32_e32 v6, 0x79, v5
	v_cmp_eq_u32_e32 vcc_lo, 0, v5
	s_delay_alu instid0(VALU_DEP_2) | instskip(NEXT) | instid1(VALU_DEP_1)
	v_dual_cndmask_b32 v6, 0, v6, s10 :: v_dual_cndmask_b32 v54, v8, v7, vcc_lo
	v_cndmask_b32_e64 v6, v6, 0x78, vcc_lo
	s_delay_alu instid0(VALU_DEP_1) | instskip(NEXT) | instid1(VALU_DEP_1)
	v_add_nc_u32_e32 v7, 20, v6
	v_lshlrev_b64_e64 v[8:9], v7, -1
	v_add_nc_u32_e32 v7, 19, v6
	s_delay_alu instid0(VALU_DEP_1) | instskip(NEXT) | instid1(VALU_DEP_3)
	v_lshlrev_b64_e64 v[10:11], v7, 1
	v_bfi_b32 v9, v9, 0, 0
	s_delay_alu instid0(VALU_DEP_4) | instskip(NEXT) | instid1(VALU_DEP_1)
	v_bfi_b32 v8, v8, 0, v54
	v_cmp_eq_u64_e64 s10, v[8:9], v[10:11]
	v_lshrrev_b64 v[10:11], v6, v[54:55]
	s_delay_alu instid0(VALU_DEP_1)
	v_mov_b64_e32 v[16:17], v[10:11]
	s_and_saveexec_b32 s40, s10
; %bb.15225:                            ;   in Loop: Header=BB6_13467 Depth=2
	v_bfe_u32 v54, v10, 20, 1
	s_delay_alu instid0(VALU_DEP_1) | instskip(NEXT) | instid1(VALU_DEP_1)
	v_add_nc_u64_e32 v[8:9], v[10:11], v[54:55]
	v_add_nc_u64_e32 v[16:17], -1, v[8:9]
; %bb.15226:                            ;   in Loop: Header=BB6_13467 Depth=2
	s_or_b32 exec_lo, exec_lo, s40
	v_add_nc_u32_e32 v5, 0xffffff81, v5
	v_lshrrev_b32_e32 v7, 23, v10
	s_mov_b32 s10, exec_lo
	s_delay_alu instid0(VALU_DEP_2) | instskip(NEXT) | instid1(VALU_DEP_1)
	v_cndmask_b32_e64 v5, v5, 0xffffff82, vcc_lo
	v_add3_u32 v7, v6, v5, v7
	v_and_b32_e32 v5, 0xfffff, v16
	s_delay_alu instid0(VALU_DEP_1) | instskip(NEXT) | instid1(VALU_DEP_1)
	v_dual_add_nc_u32 v6, 6, v7 :: v_dual_add_nc_u32 v54, v5, v10
                                        ; implicit-def: $vgpr10_vgpr11
                                        ; implicit-def: $vgpr5
	v_cmpx_ne_u32_e32 0, v6
	s_xor_b32 s10, exec_lo, s10
; %bb.15227:                            ;   in Loop: Header=BB6_13467 Depth=2
	s_delay_alu instid0(VALU_DEP_2) | instskip(SKIP_1) | instid1(VALU_DEP_1)
	v_cmp_lt_u64_e32 vcc_lo, 0xffffff, v[54:55]
	v_add_nc_u32_e32 v5, 7, v7
	v_cndmask_b32_e32 v5, v6, v5, vcc_lo
	v_cndmask_b32_e64 v6, 0, 1, vcc_lo
	s_delay_alu instid0(VALU_DEP_1)
	v_lshrrev_b64 v[10:11], v6, v[54:55]
; %bb.15228:                            ;   in Loop: Header=BB6_13467 Depth=2
	s_and_not1_saveexec_b32 s10, s10
; %bb.15229:                            ;   in Loop: Header=BB6_13467 Depth=2
	v_mov_b64_e32 v[10:11], v[54:55]
	v_bfe_u32 v5, v54, 23, 1
; %bb.15230:                            ;   in Loop: Header=BB6_13467 Depth=2
	s_or_b32 exec_lo, exec_lo, s10
	s_delay_alu instid0(VALU_DEP_2) | instskip(NEXT) | instid1(VALU_DEP_2)
	v_lshrrev_b64 v[6:7], 20, v[10:11]
	v_cmp_gt_i32_e32 vcc_lo, 16, v5
	v_min_i32_e32 v8, 15, v5
	v_cmp_eq_u32_e64 s10, 0, v5
	s_delay_alu instid0(VALU_DEP_2) | instskip(SKIP_1) | instid1(VALU_DEP_2)
	v_dual_cndmask_b32 v7, 0, v7 :: v_dual_lshlrev_b32 v8, 3, v8
	v_cndmask_b32_e32 v6, 7, v6, vcc_lo
	v_and_b32_e32 v8, 0xf8, v8
	s_delay_alu instid0(VALU_DEP_2) | instskip(NEXT) | instid1(VALU_DEP_2)
	v_cmp_eq_u64_e32 vcc_lo, 0, v[6:7]
	v_and_or_b32 v5, v6, 7, v8
	s_and_b32 s10, s10, vcc_lo
	s_delay_alu instid0(VALU_DEP_1) | instid1(SALU_CYCLE_1)
	v_cndmask_b32_e64 v5, v5, 0, s10
	s_delay_alu instid0(VALU_DEP_1)
	v_or_b32_e32 v87, v5, v4
.LBB6_15231:                            ;   in Loop: Header=BB6_13467 Depth=2
	s_or_b32 exec_lo, exec_lo, s29
                                        ; implicit-def: $vgpr4
.LBB6_15232:                            ;   in Loop: Header=BB6_13467 Depth=2
	s_and_not1_saveexec_b32 s10, s28
; %bb.15233:                            ;   in Loop: Header=BB6_13467 Depth=2
	v_or_b32_e32 v87, 0x7e, v4
; %bb.15234:                            ;   in Loop: Header=BB6_13467 Depth=2
	s_or_b32 exec_lo, exec_lo, s10
                                        ; implicit-def: $vgpr4
.LBB6_15235:                            ;   in Loop: Header=BB6_13467 Depth=2
	s_and_not1_saveexec_b32 s10, s27
; %bb.15236:                            ;   in Loop: Header=BB6_13467 Depth=2
	v_or_b32_e32 v87, 0x7f, v4
; %bb.15237:                            ;   in Loop: Header=BB6_13467 Depth=2
	s_or_b32 exec_lo, exec_lo, s10
	v_mov_b32_e32 v5, 0
	s_mov_b32 s10, exec_lo
	v_cmpx_lt_u32_e32 0xffffff, v12
	s_cbranch_execz .LBB6_15245
; %bb.15238:                            ;   in Loop: Header=BB6_13467 Depth=2
	v_lshrrev_b32_e32 v4, 24, v12
	v_bfrev_b32_e32 v5, 1
	s_mov_b32 s27, exec_lo
	s_delay_alu instid0(VALU_DEP_2)
	v_cmpx_ne_u32_e32 0x80, v4
	s_cbranch_execz .LBB6_15244
; %bb.15239:                            ;   in Loop: Header=BB6_13467 Depth=2
	v_bfe_u32 v6, v12, 24, 7
	v_mov_b32_e32 v5, 0x7f800001
	s_mov_b32 s28, exec_lo
	s_delay_alu instid0(VALU_DEP_2)
	v_cmpx_ne_u32_e32 0x7f, v6
	s_cbranch_execz .LBB6_15243
; %bb.15240:                            ;   in Loop: Header=BB6_13467 Depth=2
	v_dual_lshrrev_b32 v5, 3, v6 :: v_dual_bitop2_b32 v54, 7, v4 bitop3:0x40
	s_mov_b32 s29, exec_lo
	v_cmpx_gt_u32_e32 8, v6
; %bb.15241:                            ;   in Loop: Header=BB6_13467 Depth=2
	s_delay_alu instid0(VALU_DEP_2) | instskip(NEXT) | instid1(VALU_DEP_1)
	v_clz_i32_u32_e32 v5, v54
	v_min_u32_e32 v5, 32, v5
	s_delay_alu instid0(VALU_DEP_1) | instskip(NEXT) | instid1(VALU_DEP_1)
	v_subrev_nc_u32_e32 v6, 28, v5
	v_lshlrev_b64_e32 v[6:7], v6, v[54:55]
	s_delay_alu instid0(VALU_DEP_1)
	v_dual_sub_nc_u32 v5, 29, v5 :: v_dual_bitop2_b32 v54, 7, v6 bitop3:0x40
; %bb.15242:                            ;   in Loop: Header=BB6_13467 Depth=2
	s_or_b32 exec_lo, exec_lo, s29
	s_delay_alu instid0(VALU_DEP_1) | instskip(NEXT) | instid1(VALU_DEP_2)
	v_dual_lshlrev_b32 v4, 24, v4 :: v_dual_lshlrev_b32 v6, 20, v54
	v_lshl_add_u32 v5, v5, 23, 0x3c000000
	s_delay_alu instid0(VALU_DEP_2) | instskip(NEXT) | instid1(VALU_DEP_1)
	v_and_b32_e32 v4, 0x80000000, v4
	v_or3_b32 v5, v6, v4, v5
.LBB6_15243:                            ;   in Loop: Header=BB6_13467 Depth=2
	s_or_b32 exec_lo, exec_lo, s28
.LBB6_15244:                            ;   in Loop: Header=BB6_13467 Depth=2
	s_delay_alu instid0(SALU_CYCLE_1)
	s_or_b32 exec_lo, exec_lo, s27
.LBB6_15245:                            ;   in Loop: Header=BB6_13467 Depth=2
	s_delay_alu instid0(SALU_CYCLE_1) | instskip(NEXT) | instid1(VALU_DEP_1)
	s_or_b32 exec_lo, exec_lo, s10
	v_mul_f32_e32 v5, s26, v5
                                        ; implicit-def: $vgpr50
	s_mov_b32 s10, exec_lo
	s_delay_alu instid0(VALU_DEP_1) | instskip(SKIP_1) | instid1(VALU_DEP_2)
	v_and_b32_e32 v54, 0x7f800000, v5
	v_lshrrev_b32_e32 v4, 24, v5
	v_cmpx_ne_u64_e32 0x7f800000, v[54:55]
	s_xor_b32 s27, exec_lo, s10
	s_cbranch_execz .LBB6_15259
; %bb.15246:                            ;   in Loop: Header=BB6_13467 Depth=2
	v_and_b32_e32 v54, 0x7fffffff, v5
	v_and_b32_e32 v4, 0x80, v4
                                        ; implicit-def: $vgpr50
	s_mov_b32 s10, exec_lo
	s_delay_alu instid0(VALU_DEP_2)
	v_cmpx_gt_u64_e32 0x43e00001, v[54:55]
	s_xor_b32 s28, exec_lo, s10
	s_cbranch_execz .LBB6_15256
; %bb.15247:                            ;   in Loop: Header=BB6_13467 Depth=2
	v_mov_b32_e32 v50, 0
	s_mov_b32 s29, exec_lo
	v_cmpx_ne_u32_e32 0, v5
	s_cbranch_execz .LBB6_15255
; %bb.15248:                            ;   in Loop: Header=BB6_13467 Depth=2
	v_and_b32_e32 v7, 0x7fffff, v5
	v_bfe_u32 v5, v5, 23, 8
	s_delay_alu instid0(VALU_DEP_2) | instskip(NEXT) | instid1(VALU_DEP_2)
	v_or_b32_e32 v8, 0x800000, v7
	v_cmp_gt_u32_e64 s10, 0x7a, v5
	v_sub_nc_u32_e32 v6, 0x79, v5
	v_cmp_eq_u32_e32 vcc_lo, 0, v5
	s_delay_alu instid0(VALU_DEP_2) | instskip(NEXT) | instid1(VALU_DEP_1)
	v_dual_cndmask_b32 v6, 0, v6, s10 :: v_dual_cndmask_b32 v54, v8, v7, vcc_lo
	v_cndmask_b32_e64 v6, v6, 0x78, vcc_lo
	s_delay_alu instid0(VALU_DEP_1) | instskip(NEXT) | instid1(VALU_DEP_1)
	v_add_nc_u32_e32 v7, 20, v6
	v_lshlrev_b64_e64 v[8:9], v7, -1
	v_add_nc_u32_e32 v7, 19, v6
	s_delay_alu instid0(VALU_DEP_1) | instskip(NEXT) | instid1(VALU_DEP_3)
	v_lshlrev_b64_e64 v[10:11], v7, 1
	v_bfi_b32 v9, v9, 0, 0
	s_delay_alu instid0(VALU_DEP_4) | instskip(NEXT) | instid1(VALU_DEP_1)
	v_bfi_b32 v8, v8, 0, v54
	v_cmp_eq_u64_e64 s10, v[8:9], v[10:11]
	v_lshrrev_b64 v[10:11], v6, v[54:55]
	s_delay_alu instid0(VALU_DEP_1)
	v_mov_b64_e32 v[16:17], v[10:11]
	s_and_saveexec_b32 s40, s10
; %bb.15249:                            ;   in Loop: Header=BB6_13467 Depth=2
	v_bfe_u32 v54, v10, 20, 1
	s_delay_alu instid0(VALU_DEP_1) | instskip(NEXT) | instid1(VALU_DEP_1)
	v_add_nc_u64_e32 v[8:9], v[10:11], v[54:55]
	v_add_nc_u64_e32 v[16:17], -1, v[8:9]
; %bb.15250:                            ;   in Loop: Header=BB6_13467 Depth=2
	s_or_b32 exec_lo, exec_lo, s40
	v_add_nc_u32_e32 v5, 0xffffff81, v5
	v_lshrrev_b32_e32 v7, 23, v10
	s_mov_b32 s10, exec_lo
	s_delay_alu instid0(VALU_DEP_2) | instskip(NEXT) | instid1(VALU_DEP_1)
	v_cndmask_b32_e64 v5, v5, 0xffffff82, vcc_lo
	v_add3_u32 v7, v6, v5, v7
	v_and_b32_e32 v5, 0xfffff, v16
	s_delay_alu instid0(VALU_DEP_1) | instskip(NEXT) | instid1(VALU_DEP_1)
	v_dual_add_nc_u32 v6, 6, v7 :: v_dual_add_nc_u32 v54, v5, v10
                                        ; implicit-def: $vgpr10_vgpr11
                                        ; implicit-def: $vgpr5
	v_cmpx_ne_u32_e32 0, v6
	s_xor_b32 s10, exec_lo, s10
; %bb.15251:                            ;   in Loop: Header=BB6_13467 Depth=2
	s_delay_alu instid0(VALU_DEP_2) | instskip(SKIP_1) | instid1(VALU_DEP_1)
	v_cmp_lt_u64_e32 vcc_lo, 0xffffff, v[54:55]
	v_add_nc_u32_e32 v5, 7, v7
	v_cndmask_b32_e32 v5, v6, v5, vcc_lo
	v_cndmask_b32_e64 v6, 0, 1, vcc_lo
	s_delay_alu instid0(VALU_DEP_1)
	v_lshrrev_b64 v[10:11], v6, v[54:55]
; %bb.15252:                            ;   in Loop: Header=BB6_13467 Depth=2
	s_and_not1_saveexec_b32 s10, s10
; %bb.15253:                            ;   in Loop: Header=BB6_13467 Depth=2
	v_mov_b64_e32 v[10:11], v[54:55]
	v_bfe_u32 v5, v54, 23, 1
; %bb.15254:                            ;   in Loop: Header=BB6_13467 Depth=2
	s_or_b32 exec_lo, exec_lo, s10
	s_delay_alu instid0(VALU_DEP_2) | instskip(NEXT) | instid1(VALU_DEP_2)
	v_lshrrev_b64 v[6:7], 20, v[10:11]
	v_cmp_gt_i32_e32 vcc_lo, 16, v5
	v_min_i32_e32 v8, 15, v5
	v_cmp_eq_u32_e64 s10, 0, v5
	s_delay_alu instid0(VALU_DEP_2) | instskip(SKIP_1) | instid1(VALU_DEP_2)
	v_dual_cndmask_b32 v7, 0, v7 :: v_dual_lshlrev_b32 v8, 3, v8
	v_cndmask_b32_e32 v6, 7, v6, vcc_lo
	v_and_b32_e32 v8, 0xf8, v8
	s_delay_alu instid0(VALU_DEP_2) | instskip(NEXT) | instid1(VALU_DEP_2)
	v_cmp_eq_u64_e32 vcc_lo, 0, v[6:7]
	v_and_or_b32 v5, v6, 7, v8
	s_and_b32 s10, s10, vcc_lo
	s_delay_alu instid0(VALU_DEP_1) | instid1(SALU_CYCLE_1)
	v_cndmask_b32_e64 v5, v5, 0, s10
	s_delay_alu instid0(VALU_DEP_1)
	v_or_b32_e32 v50, v5, v4
.LBB6_15255:                            ;   in Loop: Header=BB6_13467 Depth=2
	s_or_b32 exec_lo, exec_lo, s29
                                        ; implicit-def: $vgpr4
.LBB6_15256:                            ;   in Loop: Header=BB6_13467 Depth=2
	s_and_not1_saveexec_b32 s10, s28
; %bb.15257:                            ;   in Loop: Header=BB6_13467 Depth=2
	v_or_b32_e32 v50, 0x7e, v4
; %bb.15258:                            ;   in Loop: Header=BB6_13467 Depth=2
	s_or_b32 exec_lo, exec_lo, s10
                                        ; implicit-def: $vgpr4
.LBB6_15259:                            ;   in Loop: Header=BB6_13467 Depth=2
	s_and_not1_saveexec_b32 s10, s27
; %bb.15260:                            ;   in Loop: Header=BB6_13467 Depth=2
	v_or_b32_e32 v50, 0x7f, v4
; %bb.15261:                            ;   in Loop: Header=BB6_13467 Depth=2
	s_or_b32 exec_lo, exec_lo, s10
	v_and_b32_e32 v5, 0xff, v13
	v_dual_mov_b32 v54, v13 :: v_dual_mov_b32 v4, 0
	s_mov_b32 s10, exec_lo
	s_delay_alu instid0(VALU_DEP_2)
	v_cmpx_ne_u16_e32 0, v5
	s_cbranch_execz .LBB6_15267
; %bb.15262:                            ;   in Loop: Header=BB6_13467 Depth=2
	v_bfrev_b32_e32 v4, 1
	s_mov_b32 s27, exec_lo
	v_cmpx_ne_u16_e32 0x80, v5
	s_cbranch_execz .LBB6_15266
; %bb.15263:                            ;   in Loop: Header=BB6_13467 Depth=2
	v_and_b32_e32 v5, 0x7f, v13
	v_mov_b32_e32 v4, 0x7f800001
	s_mov_b32 s28, exec_lo
	s_delay_alu instid0(VALU_DEP_2)
	v_cmpx_ne_u32_e32 0x7f, v5
	s_cbranch_execz .LBB6_15265
; %bb.15264:                            ;   in Loop: Header=BB6_13467 Depth=2
	v_and_b32_e32 v4, 7, v13
	v_cmp_gt_u32_e32 vcc_lo, 8, v5
	s_delay_alu instid0(VALU_DEP_2) | instskip(NEXT) | instid1(VALU_DEP_1)
	v_clz_i32_u32_e32 v4, v4
	v_min_u32_e32 v4, 32, v4
	v_lshrrev_b32_e32 v6, 3, v5
	s_delay_alu instid0(VALU_DEP_2) | instskip(SKIP_1) | instid1(VALU_DEP_1)
	v_subrev_nc_u32_e32 v5, 28, v4
	v_sub_nc_u32_e32 v4, 29, v4
	v_dual_cndmask_b32 v6, v6, v4, vcc_lo :: v_dual_cndmask_b32 v4, 0, v5, vcc_lo
	s_delay_alu instid0(VALU_DEP_1) | instskip(NEXT) | instid1(VALU_DEP_2)
	v_lshl_add_u32 v6, v6, 23, 0x3c000000
	v_lshlrev_b64_e32 v[4:5], v4, v[54:55]
	v_lshlrev_b32_e32 v5, 24, v54
	s_delay_alu instid0(VALU_DEP_1) | instskip(NEXT) | instid1(VALU_DEP_3)
	v_and_b32_e32 v5, 0x80000000, v5
	v_lshlrev_b32_e32 v4, 20, v4
	s_delay_alu instid0(VALU_DEP_1) | instskip(NEXT) | instid1(VALU_DEP_1)
	v_and_b32_e32 v4, 0x700000, v4
	v_or3_b32 v4, v4, v5, v6
.LBB6_15265:                            ;   in Loop: Header=BB6_13467 Depth=2
	s_or_b32 exec_lo, exec_lo, s28
.LBB6_15266:                            ;   in Loop: Header=BB6_13467 Depth=2
	s_delay_alu instid0(SALU_CYCLE_1)
	s_or_b32 exec_lo, exec_lo, s27
.LBB6_15267:                            ;   in Loop: Header=BB6_13467 Depth=2
	s_delay_alu instid0(SALU_CYCLE_1) | instskip(NEXT) | instid1(VALU_DEP_1)
	s_or_b32 exec_lo, exec_lo, s10
	v_dual_mul_f32 v5, s26, v4 :: v_dual_mov_b32 v7, v55
                                        ; implicit-def: $vgpr51
	s_mov_b32 s10, exec_lo
	s_delay_alu instid0(VALU_DEP_1) | instskip(SKIP_1) | instid1(VALU_DEP_2)
	v_and_b32_e32 v6, 0x7f800000, v5
	v_lshrrev_b32_e32 v4, 24, v5
	v_cmpx_ne_u64_e32 0x7f800000, v[6:7]
	s_xor_b32 s27, exec_lo, s10
	s_cbranch_execz .LBB6_15281
; %bb.15268:                            ;   in Loop: Header=BB6_13467 Depth=2
	v_and_b32_e32 v6, 0x7fffffff, v5
	v_mov_b32_e32 v7, v55
	v_and_b32_e32 v4, 0x80, v4
                                        ; implicit-def: $vgpr51
	s_mov_b32 s10, exec_lo
	s_delay_alu instid0(VALU_DEP_2)
	v_cmpx_gt_u64_e32 0x43e00001, v[6:7]
	s_xor_b32 s28, exec_lo, s10
	s_cbranch_execz .LBB6_15278
; %bb.15269:                            ;   in Loop: Header=BB6_13467 Depth=2
	v_mov_b32_e32 v51, 0
	s_mov_b32 s29, exec_lo
	v_cmpx_ne_u32_e32 0, v5
	s_cbranch_execz .LBB6_15277
; %bb.15270:                            ;   in Loop: Header=BB6_13467 Depth=2
	v_and_b32_e32 v7, 0x7fffff, v5
	v_bfe_u32 v5, v5, 23, 8
	v_mov_b32_e32 v9, v55
	s_delay_alu instid0(VALU_DEP_3) | instskip(NEXT) | instid1(VALU_DEP_3)
	v_or_b32_e32 v8, 0x800000, v7
	v_cmp_gt_u32_e64 s10, 0x7a, v5
	v_sub_nc_u32_e32 v6, 0x79, v5
	v_cmp_eq_u32_e32 vcc_lo, 0, v5
	s_delay_alu instid0(VALU_DEP_2) | instskip(NEXT) | instid1(VALU_DEP_1)
	v_dual_cndmask_b32 v6, 0, v6, s10 :: v_dual_cndmask_b32 v8, v8, v7, vcc_lo
	v_cndmask_b32_e64 v6, v6, 0x78, vcc_lo
	s_delay_alu instid0(VALU_DEP_1) | instskip(NEXT) | instid1(VALU_DEP_1)
	v_add_nc_u32_e32 v7, 20, v6
	v_lshlrev_b64_e64 v[10:11], v7, -1
	v_add_nc_u32_e32 v7, 19, v6
	s_delay_alu instid0(VALU_DEP_1) | instskip(NEXT) | instid1(VALU_DEP_3)
	v_lshlrev_b64_e64 v[16:17], v7, 1
	v_bfi_b32 v11, v11, 0, 0
	s_delay_alu instid0(VALU_DEP_4) | instskip(NEXT) | instid1(VALU_DEP_1)
	v_bfi_b32 v10, v10, 0, v8
	v_cmp_eq_u64_e64 s10, v[10:11], v[16:17]
	v_lshrrev_b64 v[10:11], v6, v[8:9]
	s_delay_alu instid0(VALU_DEP_1)
	v_mov_b64_e32 v[16:17], v[10:11]
	s_and_saveexec_b32 s40, s10
; %bb.15271:                            ;   in Loop: Header=BB6_13467 Depth=2
	v_bfe_u32 v8, v10, 20, 1
	v_mov_b32_e32 v9, v55
	s_delay_alu instid0(VALU_DEP_1) | instskip(NEXT) | instid1(VALU_DEP_1)
	v_add_nc_u64_e32 v[8:9], v[10:11], v[8:9]
	v_add_nc_u64_e32 v[16:17], -1, v[8:9]
; %bb.15272:                            ;   in Loop: Header=BB6_13467 Depth=2
	s_or_b32 exec_lo, exec_lo, s40
	v_add_nc_u32_e32 v5, 0xffffff81, v5
	v_lshrrev_b32_e32 v7, 23, v10
	s_mov_b32 s10, exec_lo
	v_mov_b32_e32 v11, v55
	s_delay_alu instid0(VALU_DEP_3) | instskip(NEXT) | instid1(VALU_DEP_1)
	v_cndmask_b32_e64 v5, v5, 0xffffff82, vcc_lo
	v_add3_u32 v7, v6, v5, v7
	v_and_b32_e32 v5, 0xfffff, v16
	s_delay_alu instid0(VALU_DEP_1) | instskip(NEXT) | instid1(VALU_DEP_1)
	v_dual_add_nc_u32 v6, 6, v7 :: v_dual_add_nc_u32 v10, v5, v10
                                        ; implicit-def: $vgpr5
	v_cmpx_ne_u32_e32 0, v6
	s_xor_b32 s10, exec_lo, s10
; %bb.15273:                            ;   in Loop: Header=BB6_13467 Depth=2
	s_delay_alu instid0(VALU_DEP_2) | instskip(SKIP_1) | instid1(VALU_DEP_1)
	v_cmp_lt_u64_e32 vcc_lo, 0xffffff, v[10:11]
	v_add_nc_u32_e32 v5, 7, v7
	v_cndmask_b32_e32 v5, v6, v5, vcc_lo
	v_cndmask_b32_e64 v6, 0, 1, vcc_lo
	s_delay_alu instid0(VALU_DEP_1)
	v_lshrrev_b64 v[10:11], v6, v[10:11]
; %bb.15274:                            ;   in Loop: Header=BB6_13467 Depth=2
	s_and_not1_saveexec_b32 s10, s10
; %bb.15275:                            ;   in Loop: Header=BB6_13467 Depth=2
	s_delay_alu instid0(VALU_DEP_1)
	v_bfe_u32 v5, v10, 23, 1
; %bb.15276:                            ;   in Loop: Header=BB6_13467 Depth=2
	s_or_b32 exec_lo, exec_lo, s10
	s_delay_alu instid0(VALU_DEP_2) | instskip(NEXT) | instid1(VALU_DEP_2)
	v_lshrrev_b64 v[6:7], 20, v[10:11]
	v_cmp_gt_i32_e32 vcc_lo, 16, v5
	v_min_i32_e32 v8, 15, v5
	v_cmp_eq_u32_e64 s10, 0, v5
	s_delay_alu instid0(VALU_DEP_2) | instskip(SKIP_1) | instid1(VALU_DEP_2)
	v_dual_cndmask_b32 v7, 0, v7 :: v_dual_lshlrev_b32 v8, 3, v8
	v_cndmask_b32_e32 v6, 7, v6, vcc_lo
	v_and_b32_e32 v8, 0xf8, v8
	s_delay_alu instid0(VALU_DEP_2) | instskip(NEXT) | instid1(VALU_DEP_2)
	v_cmp_eq_u64_e32 vcc_lo, 0, v[6:7]
	v_and_or_b32 v5, v6, 7, v8
	s_and_b32 s10, s10, vcc_lo
	s_delay_alu instid0(VALU_DEP_1) | instid1(SALU_CYCLE_1)
	v_cndmask_b32_e64 v5, v5, 0, s10
	s_delay_alu instid0(VALU_DEP_1)
	v_or_b32_e32 v51, v5, v4
.LBB6_15277:                            ;   in Loop: Header=BB6_13467 Depth=2
	s_or_b32 exec_lo, exec_lo, s29
                                        ; implicit-def: $vgpr4
.LBB6_15278:                            ;   in Loop: Header=BB6_13467 Depth=2
	s_and_not1_saveexec_b32 s10, s28
; %bb.15279:                            ;   in Loop: Header=BB6_13467 Depth=2
	v_or_b32_e32 v51, 0x7e, v4
; %bb.15280:                            ;   in Loop: Header=BB6_13467 Depth=2
	s_or_b32 exec_lo, exec_lo, s10
                                        ; implicit-def: $vgpr4
.LBB6_15281:                            ;   in Loop: Header=BB6_13467 Depth=2
	s_and_not1_saveexec_b32 s10, s27
; %bb.15282:                            ;   in Loop: Header=BB6_13467 Depth=2
	v_or_b32_e32 v51, 0x7f, v4
; %bb.15283:                            ;   in Loop: Header=BB6_13467 Depth=2
	s_or_b32 exec_lo, exec_lo, s10
	v_lshrrev_b16 v5, 8, v54
	v_mov_b32_e32 v4, 0
	s_mov_b32 s10, exec_lo
	s_delay_alu instid0(VALU_DEP_2)
	v_cmpx_ne_u16_e32 0, v5
	s_cbranch_execz .LBB6_15291
; %bb.15284:                            ;   in Loop: Header=BB6_13467 Depth=2
	v_bfrev_b32_e32 v4, 1
	s_mov_b32 s27, exec_lo
	v_cmpx_ne_u16_e32 0x80, v5
	s_cbranch_execz .LBB6_15290
; %bb.15285:                            ;   in Loop: Header=BB6_13467 Depth=2
	v_and_b32_e32 v6, 0xffff, v5
	v_mov_b32_e32 v4, 0x7f800001
	s_mov_b32 s28, exec_lo
	s_delay_alu instid0(VALU_DEP_2) | instskip(NEXT) | instid1(VALU_DEP_1)
	v_and_b32_e32 v5, 0x7f, v6
	v_cmpx_ne_u32_e32 0x7f, v5
	s_cbranch_execz .LBB6_15289
; %bb.15286:                            ;   in Loop: Header=BB6_13467 Depth=2
	v_dual_mov_b32 v11, v55 :: v_dual_bitop2_b32 v10, 7, v6 bitop3:0x40
	v_lshrrev_b32_e32 v4, 3, v5
	s_mov_b32 s29, exec_lo
	v_cmpx_gt_u32_e32 8, v5
; %bb.15287:                            ;   in Loop: Header=BB6_13467 Depth=2
	s_delay_alu instid0(VALU_DEP_3) | instskip(NEXT) | instid1(VALU_DEP_1)
	v_clz_i32_u32_e32 v4, v10
	v_min_u32_e32 v4, 32, v4
	s_delay_alu instid0(VALU_DEP_1) | instskip(NEXT) | instid1(VALU_DEP_1)
	v_subrev_nc_u32_e32 v5, 28, v4
	v_lshlrev_b64_e32 v[6:7], v5, v[10:11]
	s_delay_alu instid0(VALU_DEP_1)
	v_dual_sub_nc_u32 v4, 29, v4 :: v_dual_bitop2_b32 v10, 7, v6 bitop3:0x40
; %bb.15288:                            ;   in Loop: Header=BB6_13467 Depth=2
	s_or_b32 exec_lo, exec_lo, s29
	v_lshlrev_b32_e32 v5, 16, v54
	s_delay_alu instid0(VALU_DEP_2) | instskip(NEXT) | instid1(VALU_DEP_3)
	v_lshlrev_b32_e32 v6, 20, v10
	v_lshl_add_u32 v4, v4, 23, 0x3c000000
	s_delay_alu instid0(VALU_DEP_3) | instskip(NEXT) | instid1(VALU_DEP_1)
	v_and_b32_e32 v5, 0x80000000, v5
	v_or3_b32 v4, v6, v5, v4
.LBB6_15289:                            ;   in Loop: Header=BB6_13467 Depth=2
	s_or_b32 exec_lo, exec_lo, s28
.LBB6_15290:                            ;   in Loop: Header=BB6_13467 Depth=2
	s_delay_alu instid0(SALU_CYCLE_1)
	s_or_b32 exec_lo, exec_lo, s27
.LBB6_15291:                            ;   in Loop: Header=BB6_13467 Depth=2
	s_delay_alu instid0(SALU_CYCLE_1) | instskip(NEXT) | instid1(VALU_DEP_1)
	s_or_b32 exec_lo, exec_lo, s10
	v_mul_f32_e32 v6, s26, v4
                                        ; implicit-def: $vgpr4
	s_mov_b32 s10, exec_lo
	s_delay_alu instid0(VALU_DEP_1) | instskip(SKIP_1) | instid1(VALU_DEP_2)
	v_and_b32_e32 v54, 0x7f800000, v6
	v_lshrrev_b32_e32 v5, 24, v6
	v_cmpx_ne_u64_e32 0x7f800000, v[54:55]
	s_xor_b32 s27, exec_lo, s10
	s_cbranch_execz .LBB6_15305
; %bb.15292:                            ;   in Loop: Header=BB6_13467 Depth=2
	v_and_b32_e32 v54, 0x7fffffff, v6
	v_and_b32_e32 v5, 0x80, v5
                                        ; implicit-def: $vgpr4
	s_mov_b32 s10, exec_lo
	s_delay_alu instid0(VALU_DEP_2)
	v_cmpx_gt_u64_e32 0x43e00001, v[54:55]
	s_xor_b32 s28, exec_lo, s10
	s_cbranch_execz .LBB6_15302
; %bb.15293:                            ;   in Loop: Header=BB6_13467 Depth=2
	v_mov_b32_e32 v4, 0
	s_mov_b32 s29, exec_lo
	v_cmpx_ne_u32_e32 0, v6
	s_cbranch_execz .LBB6_15301
; %bb.15294:                            ;   in Loop: Header=BB6_13467 Depth=2
	v_bfe_u32 v4, v6, 23, 8
	v_and_b32_e32 v7, 0x7fffff, v6
	s_delay_alu instid0(VALU_DEP_2) | instskip(SKIP_2) | instid1(VALU_DEP_4)
	v_cmp_gt_u32_e64 s10, 0x7a, v4
	v_sub_nc_u32_e32 v6, 0x79, v4
	v_cmp_eq_u32_e32 vcc_lo, 0, v4
	v_or_b32_e32 v8, 0x800000, v7
	s_delay_alu instid0(VALU_DEP_1) | instskip(NEXT) | instid1(VALU_DEP_1)
	v_dual_cndmask_b32 v6, 0, v6, s10 :: v_dual_cndmask_b32 v54, v8, v7, vcc_lo
	v_cndmask_b32_e64 v6, v6, 0x78, vcc_lo
	s_delay_alu instid0(VALU_DEP_1) | instskip(NEXT) | instid1(VALU_DEP_1)
	v_add_nc_u32_e32 v7, 20, v6
	v_lshlrev_b64_e64 v[8:9], v7, -1
	v_add_nc_u32_e32 v7, 19, v6
	s_delay_alu instid0(VALU_DEP_1) | instskip(NEXT) | instid1(VALU_DEP_3)
	v_lshlrev_b64_e64 v[10:11], v7, 1
	v_bfi_b32 v9, v9, 0, 0
	s_delay_alu instid0(VALU_DEP_4) | instskip(NEXT) | instid1(VALU_DEP_1)
	v_bfi_b32 v8, v8, 0, v54
	v_cmp_eq_u64_e64 s10, v[8:9], v[10:11]
	v_lshrrev_b64 v[10:11], v6, v[54:55]
	s_delay_alu instid0(VALU_DEP_1)
	v_mov_b64_e32 v[16:17], v[10:11]
	s_and_saveexec_b32 s40, s10
; %bb.15295:                            ;   in Loop: Header=BB6_13467 Depth=2
	v_bfe_u32 v54, v10, 20, 1
	s_delay_alu instid0(VALU_DEP_1) | instskip(NEXT) | instid1(VALU_DEP_1)
	v_add_nc_u64_e32 v[8:9], v[10:11], v[54:55]
	v_add_nc_u64_e32 v[16:17], -1, v[8:9]
; %bb.15296:                            ;   in Loop: Header=BB6_13467 Depth=2
	s_or_b32 exec_lo, exec_lo, s40
	v_add_nc_u32_e32 v4, 0xffffff81, v4
	v_lshrrev_b32_e32 v7, 23, v10
	s_mov_b32 s10, exec_lo
	s_delay_alu instid0(VALU_DEP_2) | instskip(NEXT) | instid1(VALU_DEP_1)
	v_cndmask_b32_e64 v4, v4, 0xffffff82, vcc_lo
	v_add3_u32 v7, v6, v4, v7
	v_and_b32_e32 v4, 0xfffff, v16
	s_delay_alu instid0(VALU_DEP_1) | instskip(NEXT) | instid1(VALU_DEP_1)
	v_dual_add_nc_u32 v6, 6, v7 :: v_dual_add_nc_u32 v54, v4, v10
                                        ; implicit-def: $vgpr10_vgpr11
                                        ; implicit-def: $vgpr4
	v_cmpx_ne_u32_e32 0, v6
	s_xor_b32 s10, exec_lo, s10
; %bb.15297:                            ;   in Loop: Header=BB6_13467 Depth=2
	s_delay_alu instid0(VALU_DEP_2) | instskip(SKIP_1) | instid1(VALU_DEP_1)
	v_cmp_lt_u64_e32 vcc_lo, 0xffffff, v[54:55]
	v_add_nc_u32_e32 v4, 7, v7
	v_cndmask_b32_e32 v4, v6, v4, vcc_lo
	v_cndmask_b32_e64 v6, 0, 1, vcc_lo
	s_delay_alu instid0(VALU_DEP_1)
	v_lshrrev_b64 v[10:11], v6, v[54:55]
; %bb.15298:                            ;   in Loop: Header=BB6_13467 Depth=2
	s_and_not1_saveexec_b32 s10, s10
; %bb.15299:                            ;   in Loop: Header=BB6_13467 Depth=2
	v_mov_b64_e32 v[10:11], v[54:55]
	v_bfe_u32 v4, v54, 23, 1
; %bb.15300:                            ;   in Loop: Header=BB6_13467 Depth=2
	s_or_b32 exec_lo, exec_lo, s10
	s_delay_alu instid0(VALU_DEP_2) | instskip(NEXT) | instid1(VALU_DEP_2)
	v_lshrrev_b64 v[6:7], 20, v[10:11]
	v_cmp_gt_i32_e32 vcc_lo, 16, v4
	v_min_i32_e32 v8, 15, v4
	v_cmp_eq_u32_e64 s10, 0, v4
	s_delay_alu instid0(VALU_DEP_2) | instskip(SKIP_1) | instid1(VALU_DEP_2)
	v_dual_cndmask_b32 v7, 0, v7 :: v_dual_lshlrev_b32 v8, 3, v8
	v_cndmask_b32_e32 v6, 7, v6, vcc_lo
	v_and_b32_e32 v8, 0xf8, v8
	s_delay_alu instid0(VALU_DEP_2) | instskip(NEXT) | instid1(VALU_DEP_2)
	v_cmp_eq_u64_e32 vcc_lo, 0, v[6:7]
	v_and_or_b32 v4, v6, 7, v8
	s_and_b32 s10, s10, vcc_lo
	s_delay_alu instid0(VALU_DEP_1) | instid1(SALU_CYCLE_1)
	v_cndmask_b32_e64 v4, v4, 0, s10
	s_delay_alu instid0(VALU_DEP_1)
	v_or_b32_e32 v4, v4, v5
.LBB6_15301:                            ;   in Loop: Header=BB6_13467 Depth=2
	s_or_b32 exec_lo, exec_lo, s29
                                        ; implicit-def: $vgpr5
.LBB6_15302:                            ;   in Loop: Header=BB6_13467 Depth=2
	s_and_not1_saveexec_b32 s10, s28
; %bb.15303:                            ;   in Loop: Header=BB6_13467 Depth=2
	v_or_b32_e32 v4, 0x7e, v5
; %bb.15304:                            ;   in Loop: Header=BB6_13467 Depth=2
	s_or_b32 exec_lo, exec_lo, s10
                                        ; implicit-def: $vgpr5
.LBB6_15305:                            ;   in Loop: Header=BB6_13467 Depth=2
	s_and_not1_saveexec_b32 s10, s27
; %bb.15306:                            ;   in Loop: Header=BB6_13467 Depth=2
	v_or_b32_e32 v4, 0x7f, v5
; %bb.15307:                            ;   in Loop: Header=BB6_13467 Depth=2
	s_or_b32 exec_lo, exec_lo, s10
	v_dual_mov_b32 v6, 0 :: v_dual_lshrrev_b32 v5, 16, v13
	s_mov_b32 s10, exec_lo
	s_delay_alu instid0(VALU_DEP_1) | instskip(NEXT) | instid1(VALU_DEP_1)
	v_and_b32_e32 v7, 0xff, v5
	v_cmpx_ne_u16_e32 0, v7
	s_cbranch_execz .LBB6_15315
; %bb.15308:                            ;   in Loop: Header=BB6_13467 Depth=2
	v_bfrev_b32_e32 v6, 1
	s_mov_b32 s27, exec_lo
	v_cmpx_ne_u16_e32 0x80, v7
	s_cbranch_execz .LBB6_15314
; %bb.15309:                            ;   in Loop: Header=BB6_13467 Depth=2
	v_bfe_u32 v7, v13, 16, 7
	v_mov_b32_e32 v6, 0x7f800001
	s_mov_b32 s28, exec_lo
	s_delay_alu instid0(VALU_DEP_2)
	v_cmpx_ne_u32_e32 0x7f, v7
	s_cbranch_execz .LBB6_15313
; %bb.15310:                            ;   in Loop: Header=BB6_13467 Depth=2
	v_dual_lshrrev_b32 v6, 3, v7 :: v_dual_bitop2_b32 v54, 7, v5 bitop3:0x40
	s_mov_b32 s29, exec_lo
	v_cmpx_gt_u32_e32 8, v7
; %bb.15311:                            ;   in Loop: Header=BB6_13467 Depth=2
	s_delay_alu instid0(VALU_DEP_2) | instskip(NEXT) | instid1(VALU_DEP_1)
	v_clz_i32_u32_e32 v6, v54
	v_min_u32_e32 v6, 32, v6
	s_delay_alu instid0(VALU_DEP_1) | instskip(NEXT) | instid1(VALU_DEP_1)
	v_subrev_nc_u32_e32 v7, 28, v6
	v_lshlrev_b64_e32 v[8:9], v7, v[54:55]
	s_delay_alu instid0(VALU_DEP_1)
	v_dual_sub_nc_u32 v6, 29, v6 :: v_dual_bitop2_b32 v54, 7, v8 bitop3:0x40
; %bb.15312:                            ;   in Loop: Header=BB6_13467 Depth=2
	s_or_b32 exec_lo, exec_lo, s29
	s_delay_alu instid0(VALU_DEP_1) | instskip(NEXT) | instid1(VALU_DEP_2)
	v_dual_lshlrev_b32 v5, 24, v5 :: v_dual_lshlrev_b32 v7, 20, v54
	v_lshl_add_u32 v6, v6, 23, 0x3c000000
	s_delay_alu instid0(VALU_DEP_2) | instskip(NEXT) | instid1(VALU_DEP_1)
	v_and_b32_e32 v5, 0x80000000, v5
	v_or3_b32 v6, v7, v5, v6
.LBB6_15313:                            ;   in Loop: Header=BB6_13467 Depth=2
	s_or_b32 exec_lo, exec_lo, s28
.LBB6_15314:                            ;   in Loop: Header=BB6_13467 Depth=2
	s_delay_alu instid0(SALU_CYCLE_1)
	s_or_b32 exec_lo, exec_lo, s27
.LBB6_15315:                            ;   in Loop: Header=BB6_13467 Depth=2
	s_delay_alu instid0(SALU_CYCLE_1) | instskip(NEXT) | instid1(VALU_DEP_1)
	s_or_b32 exec_lo, exec_lo, s10
	v_mul_f32_e32 v7, s26, v6
                                        ; implicit-def: $vgpr5
	s_mov_b32 s10, exec_lo
	s_delay_alu instid0(VALU_DEP_1) | instskip(SKIP_1) | instid1(VALU_DEP_2)
	v_and_b32_e32 v54, 0x7f800000, v7
	v_lshrrev_b32_e32 v6, 24, v7
	v_cmpx_ne_u64_e32 0x7f800000, v[54:55]
	s_xor_b32 s27, exec_lo, s10
	s_cbranch_execz .LBB6_15329
; %bb.15316:                            ;   in Loop: Header=BB6_13467 Depth=2
	v_and_b32_e32 v54, 0x7fffffff, v7
	v_and_b32_e32 v6, 0x80, v6
                                        ; implicit-def: $vgpr5
	s_mov_b32 s10, exec_lo
	s_delay_alu instid0(VALU_DEP_2)
	v_cmpx_gt_u64_e32 0x43e00001, v[54:55]
	s_xor_b32 s28, exec_lo, s10
	s_cbranch_execz .LBB6_15326
; %bb.15317:                            ;   in Loop: Header=BB6_13467 Depth=2
	v_mov_b32_e32 v5, 0
	s_mov_b32 s29, exec_lo
	v_cmpx_ne_u32_e32 0, v7
	s_cbranch_execz .LBB6_15325
; %bb.15318:                            ;   in Loop: Header=BB6_13467 Depth=2
	v_and_b32_e32 v8, 0x7fffff, v7
	v_bfe_u32 v5, v7, 23, 8
	s_delay_alu instid0(VALU_DEP_2) | instskip(NEXT) | instid1(VALU_DEP_2)
	v_or_b32_e32 v9, 0x800000, v8
	v_cmp_eq_u32_e32 vcc_lo, 0, v5
	v_cmp_gt_u32_e64 s10, 0x7a, v5
	s_delay_alu instid0(VALU_DEP_3) | instskip(NEXT) | instid1(VALU_DEP_1)
	v_dual_cndmask_b32 v54, v9, v8 :: v_dual_sub_nc_u32 v7, 0x79, v5
	v_cndmask_b32_e64 v7, 0, v7, s10
	s_delay_alu instid0(VALU_DEP_1) | instskip(NEXT) | instid1(VALU_DEP_1)
	v_cndmask_b32_e64 v7, v7, 0x78, vcc_lo
	v_dual_add_nc_u32 v8, 20, v7 :: v_dual_add_nc_u32 v10, 19, v7
	s_delay_alu instid0(VALU_DEP_1) | instskip(NEXT) | instid1(VALU_DEP_2)
	v_lshlrev_b64_e64 v[8:9], v8, -1
	v_lshlrev_b64_e64 v[10:11], v10, 1
	s_delay_alu instid0(VALU_DEP_2) | instskip(NEXT) | instid1(VALU_DEP_3)
	v_bfi_b32 v9, v9, 0, 0
	v_bfi_b32 v8, v8, 0, v54
	s_delay_alu instid0(VALU_DEP_1) | instskip(SKIP_1) | instid1(VALU_DEP_1)
	v_cmp_eq_u64_e64 s10, v[8:9], v[10:11]
	v_lshrrev_b64 v[10:11], v7, v[54:55]
	v_mov_b64_e32 v[16:17], v[10:11]
	s_and_saveexec_b32 s40, s10
; %bb.15319:                            ;   in Loop: Header=BB6_13467 Depth=2
	v_bfe_u32 v54, v10, 20, 1
	s_delay_alu instid0(VALU_DEP_1) | instskip(NEXT) | instid1(VALU_DEP_1)
	v_add_nc_u64_e32 v[8:9], v[10:11], v[54:55]
	v_add_nc_u64_e32 v[16:17], -1, v[8:9]
; %bb.15320:                            ;   in Loop: Header=BB6_13467 Depth=2
	s_or_b32 exec_lo, exec_lo, s40
	v_add_nc_u32_e32 v5, 0xffffff81, v5
	v_lshrrev_b32_e32 v8, 23, v10
	s_mov_b32 s10, exec_lo
	s_delay_alu instid0(VALU_DEP_2) | instskip(NEXT) | instid1(VALU_DEP_1)
	v_cndmask_b32_e64 v5, v5, 0xffffff82, vcc_lo
	v_add3_u32 v8, v7, v5, v8
	v_and_b32_e32 v5, 0xfffff, v16
	s_delay_alu instid0(VALU_DEP_1) | instskip(NEXT) | instid1(VALU_DEP_1)
	v_dual_add_nc_u32 v7, 6, v8 :: v_dual_add_nc_u32 v54, v5, v10
                                        ; implicit-def: $vgpr10_vgpr11
                                        ; implicit-def: $vgpr5
	v_cmpx_ne_u32_e32 0, v7
	s_xor_b32 s10, exec_lo, s10
; %bb.15321:                            ;   in Loop: Header=BB6_13467 Depth=2
	s_delay_alu instid0(VALU_DEP_2) | instskip(SKIP_1) | instid1(VALU_DEP_1)
	v_cmp_lt_u64_e32 vcc_lo, 0xffffff, v[54:55]
	v_add_nc_u32_e32 v5, 7, v8
	v_cndmask_b32_e32 v5, v7, v5, vcc_lo
	v_cndmask_b32_e64 v7, 0, 1, vcc_lo
	s_delay_alu instid0(VALU_DEP_1)
	v_lshrrev_b64 v[10:11], v7, v[54:55]
; %bb.15322:                            ;   in Loop: Header=BB6_13467 Depth=2
	s_and_not1_saveexec_b32 s10, s10
; %bb.15323:                            ;   in Loop: Header=BB6_13467 Depth=2
	v_mov_b64_e32 v[10:11], v[54:55]
	v_bfe_u32 v5, v54, 23, 1
; %bb.15324:                            ;   in Loop: Header=BB6_13467 Depth=2
	s_or_b32 exec_lo, exec_lo, s10
	s_delay_alu instid0(VALU_DEP_2) | instskip(NEXT) | instid1(VALU_DEP_2)
	v_lshrrev_b64 v[8:9], 20, v[10:11]
	v_cmp_gt_i32_e32 vcc_lo, 16, v5
	v_min_i32_e32 v7, 15, v5
	v_cmp_eq_u32_e64 s10, 0, v5
	s_delay_alu instid0(VALU_DEP_2) | instskip(SKIP_1) | instid1(VALU_DEP_2)
	v_dual_cndmask_b32 v8, 7, v8 :: v_dual_lshlrev_b32 v7, 3, v7
	v_cndmask_b32_e32 v9, 0, v9, vcc_lo
	v_and_b32_e32 v7, 0xf8, v7
	s_delay_alu instid0(VALU_DEP_2) | instskip(NEXT) | instid1(VALU_DEP_2)
	v_cmp_eq_u64_e32 vcc_lo, 0, v[8:9]
	v_and_or_b32 v5, v8, 7, v7
	s_and_b32 s10, s10, vcc_lo
	s_delay_alu instid0(VALU_DEP_1) | instid1(SALU_CYCLE_1)
	v_cndmask_b32_e64 v5, v5, 0, s10
	s_delay_alu instid0(VALU_DEP_1)
	v_or_b32_e32 v5, v5, v6
.LBB6_15325:                            ;   in Loop: Header=BB6_13467 Depth=2
	s_or_b32 exec_lo, exec_lo, s29
                                        ; implicit-def: $vgpr6
.LBB6_15326:                            ;   in Loop: Header=BB6_13467 Depth=2
	s_and_not1_saveexec_b32 s10, s28
; %bb.15327:                            ;   in Loop: Header=BB6_13467 Depth=2
	v_or_b32_e32 v5, 0x7e, v6
; %bb.15328:                            ;   in Loop: Header=BB6_13467 Depth=2
	s_or_b32 exec_lo, exec_lo, s10
                                        ; implicit-def: $vgpr6
.LBB6_15329:                            ;   in Loop: Header=BB6_13467 Depth=2
	s_and_not1_saveexec_b32 s10, s27
; %bb.15330:                            ;   in Loop: Header=BB6_13467 Depth=2
	v_or_b32_e32 v5, 0x7f, v6
; %bb.15331:                            ;   in Loop: Header=BB6_13467 Depth=2
	s_or_b32 exec_lo, exec_lo, s10
	v_mov_b32_e32 v7, 0
	s_mov_b32 s10, exec_lo
	v_cmpx_lt_u64_e64 s[12:13], v[12:13]
	s_cbranch_execz .LBB6_15339
; %bb.15332:                            ;   in Loop: Header=BB6_13467 Depth=2
	v_lshrrev_b32_e32 v6, 24, v13
	v_bfrev_b32_e32 v7, 1
	s_mov_b32 s27, exec_lo
	s_delay_alu instid0(VALU_DEP_2)
	v_cmpx_ne_u32_e32 0x80, v6
	s_cbranch_execz .LBB6_15338
; %bb.15333:                            ;   in Loop: Header=BB6_13467 Depth=2
	v_bfe_u32 v8, v13, 24, 7
	v_mov_b32_e32 v7, 0x7f800001
	s_mov_b32 s28, exec_lo
	s_delay_alu instid0(VALU_DEP_2)
	v_cmpx_ne_u32_e32 0x7f, v8
	s_cbranch_execz .LBB6_15337
; %bb.15334:                            ;   in Loop: Header=BB6_13467 Depth=2
	v_dual_lshrrev_b32 v7, 3, v8 :: v_dual_bitop2_b32 v54, 7, v6 bitop3:0x40
	s_mov_b32 s29, exec_lo
	v_cmpx_gt_u32_e32 8, v8
; %bb.15335:                            ;   in Loop: Header=BB6_13467 Depth=2
	s_delay_alu instid0(VALU_DEP_2) | instskip(NEXT) | instid1(VALU_DEP_1)
	v_clz_i32_u32_e32 v7, v54
	v_min_u32_e32 v7, 32, v7
	s_delay_alu instid0(VALU_DEP_1) | instskip(NEXT) | instid1(VALU_DEP_1)
	v_subrev_nc_u32_e32 v8, 28, v7
	v_lshlrev_b64_e32 v[8:9], v8, v[54:55]
	s_delay_alu instid0(VALU_DEP_1)
	v_dual_sub_nc_u32 v7, 29, v7 :: v_dual_bitop2_b32 v54, 7, v8 bitop3:0x40
; %bb.15336:                            ;   in Loop: Header=BB6_13467 Depth=2
	s_or_b32 exec_lo, exec_lo, s29
	v_lshlrev_b32_e32 v6, 24, v6
	s_delay_alu instid0(VALU_DEP_2) | instskip(NEXT) | instid1(VALU_DEP_3)
	v_lshlrev_b32_e32 v8, 20, v54
	v_lshl_add_u32 v7, v7, 23, 0x3c000000
	s_delay_alu instid0(VALU_DEP_3) | instskip(NEXT) | instid1(VALU_DEP_1)
	v_and_b32_e32 v6, 0x80000000, v6
	v_or3_b32 v7, v8, v6, v7
.LBB6_15337:                            ;   in Loop: Header=BB6_13467 Depth=2
	s_or_b32 exec_lo, exec_lo, s28
.LBB6_15338:                            ;   in Loop: Header=BB6_13467 Depth=2
	s_delay_alu instid0(SALU_CYCLE_1)
	s_or_b32 exec_lo, exec_lo, s27
.LBB6_15339:                            ;   in Loop: Header=BB6_13467 Depth=2
	s_delay_alu instid0(SALU_CYCLE_1) | instskip(NEXT) | instid1(VALU_DEP_1)
	s_or_b32 exec_lo, exec_lo, s10
	v_mul_f32_e32 v7, s26, v7
                                        ; implicit-def: $vgpr68
	s_mov_b32 s10, exec_lo
	s_delay_alu instid0(VALU_DEP_1) | instskip(SKIP_1) | instid1(VALU_DEP_2)
	v_and_b32_e32 v54, 0x7f800000, v7
	v_lshrrev_b32_e32 v6, 24, v7
	v_cmpx_ne_u64_e32 0x7f800000, v[54:55]
	s_xor_b32 s27, exec_lo, s10
	s_cbranch_execz .LBB6_15353
; %bb.15340:                            ;   in Loop: Header=BB6_13467 Depth=2
	v_and_b32_e32 v54, 0x7fffffff, v7
	v_and_b32_e32 v6, 0x80, v6
                                        ; implicit-def: $vgpr68
	s_mov_b32 s10, exec_lo
	s_delay_alu instid0(VALU_DEP_2)
	v_cmpx_gt_u64_e32 0x43e00001, v[54:55]
	s_xor_b32 s28, exec_lo, s10
	s_cbranch_execz .LBB6_15350
; %bb.15341:                            ;   in Loop: Header=BB6_13467 Depth=2
	v_mov_b32_e32 v68, 0
	s_mov_b32 s29, exec_lo
	v_cmpx_ne_u32_e32 0, v7
	s_cbranch_execz .LBB6_15349
; %bb.15342:                            ;   in Loop: Header=BB6_13467 Depth=2
	v_and_b32_e32 v9, 0x7fffff, v7
	v_bfe_u32 v7, v7, 23, 8
	s_delay_alu instid0(VALU_DEP_2) | instskip(NEXT) | instid1(VALU_DEP_2)
	v_or_b32_e32 v10, 0x800000, v9
	v_cmp_gt_u32_e64 s10, 0x7a, v7
	v_sub_nc_u32_e32 v8, 0x79, v7
	v_cmp_eq_u32_e32 vcc_lo, 0, v7
	s_delay_alu instid0(VALU_DEP_2) | instskip(NEXT) | instid1(VALU_DEP_1)
	v_dual_cndmask_b32 v8, 0, v8, s10 :: v_dual_cndmask_b32 v54, v10, v9, vcc_lo
	v_cndmask_b32_e64 v8, v8, 0x78, vcc_lo
	s_delay_alu instid0(VALU_DEP_1) | instskip(NEXT) | instid1(VALU_DEP_1)
	v_add_nc_u32_e32 v9, 20, v8
	v_lshlrev_b64_e64 v[10:11], v9, -1
	v_add_nc_u32_e32 v9, 19, v8
	s_delay_alu instid0(VALU_DEP_1) | instskip(NEXT) | instid1(VALU_DEP_3)
	v_lshlrev_b64_e64 v[12:13], v9, 1
	v_bfi_b32 v11, v11, 0, 0
	s_delay_alu instid0(VALU_DEP_4) | instskip(NEXT) | instid1(VALU_DEP_1)
	v_bfi_b32 v10, v10, 0, v54
	v_cmp_eq_u64_e64 s10, v[10:11], v[12:13]
	v_lshrrev_b64 v[10:11], v8, v[54:55]
	s_delay_alu instid0(VALU_DEP_1)
	v_mov_b64_e32 v[12:13], v[10:11]
	s_and_saveexec_b32 s40, s10
; %bb.15343:                            ;   in Loop: Header=BB6_13467 Depth=2
	v_bfe_u32 v54, v10, 20, 1
	s_delay_alu instid0(VALU_DEP_1) | instskip(NEXT) | instid1(VALU_DEP_1)
	v_add_nc_u64_e32 v[12:13], v[10:11], v[54:55]
	v_add_nc_u64_e32 v[12:13], -1, v[12:13]
; %bb.15344:                            ;   in Loop: Header=BB6_13467 Depth=2
	s_or_b32 exec_lo, exec_lo, s40
	v_add_nc_u32_e32 v7, 0xffffff81, v7
	v_lshrrev_b32_e32 v9, 23, v10
	s_mov_b32 s10, exec_lo
	s_delay_alu instid0(VALU_DEP_2) | instskip(NEXT) | instid1(VALU_DEP_1)
	v_cndmask_b32_e64 v7, v7, 0xffffff82, vcc_lo
	v_add3_u32 v9, v8, v7, v9
	v_and_b32_e32 v7, 0xfffff, v12
	s_delay_alu instid0(VALU_DEP_1) | instskip(NEXT) | instid1(VALU_DEP_1)
	v_dual_add_nc_u32 v8, 6, v9 :: v_dual_add_nc_u32 v54, v7, v10
                                        ; implicit-def: $vgpr10_vgpr11
                                        ; implicit-def: $vgpr7
	v_cmpx_ne_u32_e32 0, v8
	s_xor_b32 s10, exec_lo, s10
; %bb.15345:                            ;   in Loop: Header=BB6_13467 Depth=2
	s_delay_alu instid0(VALU_DEP_2) | instskip(SKIP_1) | instid1(VALU_DEP_1)
	v_cmp_lt_u64_e32 vcc_lo, 0xffffff, v[54:55]
	v_add_nc_u32_e32 v7, 7, v9
	v_cndmask_b32_e32 v7, v8, v7, vcc_lo
	v_cndmask_b32_e64 v8, 0, 1, vcc_lo
	s_delay_alu instid0(VALU_DEP_1)
	v_lshrrev_b64 v[10:11], v8, v[54:55]
; %bb.15346:                            ;   in Loop: Header=BB6_13467 Depth=2
	s_and_not1_saveexec_b32 s10, s10
; %bb.15347:                            ;   in Loop: Header=BB6_13467 Depth=2
	v_mov_b64_e32 v[10:11], v[54:55]
	v_bfe_u32 v7, v54, 23, 1
; %bb.15348:                            ;   in Loop: Header=BB6_13467 Depth=2
	s_or_b32 exec_lo, exec_lo, s10
	s_delay_alu instid0(VALU_DEP_2) | instskip(NEXT) | instid1(VALU_DEP_2)
	v_lshrrev_b64 v[8:9], 20, v[10:11]
	v_cmp_gt_i32_e32 vcc_lo, 16, v7
	v_min_i32_e32 v10, 15, v7
	v_cmp_eq_u32_e64 s10, 0, v7
	s_delay_alu instid0(VALU_DEP_2) | instskip(SKIP_1) | instid1(VALU_DEP_2)
	v_dual_cndmask_b32 v9, 0, v9 :: v_dual_lshlrev_b32 v10, 3, v10
	v_cndmask_b32_e32 v8, 7, v8, vcc_lo
	v_and_b32_e32 v10, 0xf8, v10
	s_delay_alu instid0(VALU_DEP_2) | instskip(NEXT) | instid1(VALU_DEP_2)
	v_cmp_eq_u64_e32 vcc_lo, 0, v[8:9]
	v_and_or_b32 v7, v8, 7, v10
	s_and_b32 s10, s10, vcc_lo
	s_delay_alu instid0(VALU_DEP_1) | instid1(SALU_CYCLE_1)
	v_cndmask_b32_e64 v7, v7, 0, s10
	s_delay_alu instid0(VALU_DEP_1)
	v_or_b32_e32 v68, v7, v6
.LBB6_15349:                            ;   in Loop: Header=BB6_13467 Depth=2
	s_or_b32 exec_lo, exec_lo, s29
                                        ; implicit-def: $vgpr6
.LBB6_15350:                            ;   in Loop: Header=BB6_13467 Depth=2
	s_and_not1_saveexec_b32 s10, s28
; %bb.15351:                            ;   in Loop: Header=BB6_13467 Depth=2
	v_or_b32_e32 v68, 0x7e, v6
; %bb.15352:                            ;   in Loop: Header=BB6_13467 Depth=2
	s_or_b32 exec_lo, exec_lo, s10
                                        ; implicit-def: $vgpr6
.LBB6_15353:                            ;   in Loop: Header=BB6_13467 Depth=2
	s_and_not1_saveexec_b32 s10, s27
; %bb.15354:                            ;   in Loop: Header=BB6_13467 Depth=2
	v_or_b32_e32 v68, 0x7f, v6
; %bb.15355:                            ;   in Loop: Header=BB6_13467 Depth=2
	s_or_b32 exec_lo, exec_lo, s10
	global_load_b128 v[10:13], v[14:15], off offset:2560 th:TH_LOAD_NT
	v_mov_b32_e32 v6, 0
	s_mov_b32 s10, exec_lo
	s_wait_loadcnt 0x0
	v_and_b32_e32 v7, 0xff, v10
	s_wait_xcnt 0x0
	s_delay_alu instid0(VALU_DEP_1)
	v_cmpx_ne_u16_e32 0, v7
	s_cbranch_execz .LBB6_15361
; %bb.15356:                            ;   in Loop: Header=BB6_13467 Depth=2
	v_bfrev_b32_e32 v6, 1
	s_mov_b32 s27, exec_lo
	v_cmpx_ne_u16_e32 0x80, v7
	s_cbranch_execz .LBB6_15360
; %bb.15357:                            ;   in Loop: Header=BB6_13467 Depth=2
	v_and_b32_e32 v7, 0x7f, v10
	v_mov_b32_e32 v6, 0x7f800001
	s_mov_b32 s28, exec_lo
	s_delay_alu instid0(VALU_DEP_2)
	v_cmpx_ne_u32_e32 0x7f, v7
	s_cbranch_execz .LBB6_15359
; %bb.15358:                            ;   in Loop: Header=BB6_13467 Depth=2
	v_dual_lshrrev_b32 v8, 3, v7 :: v_dual_bitop2_b32 v6, 7, v10 bitop3:0x40
	v_cmp_gt_u32_e32 vcc_lo, 8, v7
	s_delay_alu instid0(VALU_DEP_2) | instskip(NEXT) | instid1(VALU_DEP_1)
	v_clz_i32_u32_e32 v6, v6
	v_min_u32_e32 v6, 32, v6
	s_delay_alu instid0(VALU_DEP_1) | instskip(SKIP_1) | instid1(VALU_DEP_1)
	v_subrev_nc_u32_e32 v7, 28, v6
	v_sub_nc_u32_e32 v6, 29, v6
	v_dual_cndmask_b32 v8, v8, v6, vcc_lo :: v_dual_cndmask_b32 v6, 0, v7, vcc_lo
	s_delay_alu instid0(VALU_DEP_1) | instskip(NEXT) | instid1(VALU_DEP_2)
	v_lshl_add_u32 v8, v8, 23, 0x3c000000
	v_lshlrev_b64_e32 v[6:7], v6, v[10:11]
	v_lshlrev_b32_e32 v7, 24, v10
	s_delay_alu instid0(VALU_DEP_1) | instskip(NEXT) | instid1(VALU_DEP_3)
	v_and_b32_e32 v7, 0x80000000, v7
	v_lshlrev_b32_e32 v6, 20, v6
	s_delay_alu instid0(VALU_DEP_1) | instskip(NEXT) | instid1(VALU_DEP_1)
	v_and_b32_e32 v6, 0x700000, v6
	v_or3_b32 v6, v6, v7, v8
.LBB6_15359:                            ;   in Loop: Header=BB6_13467 Depth=2
	s_or_b32 exec_lo, exec_lo, s28
.LBB6_15360:                            ;   in Loop: Header=BB6_13467 Depth=2
	s_delay_alu instid0(SALU_CYCLE_1)
	s_or_b32 exec_lo, exec_lo, s27
.LBB6_15361:                            ;   in Loop: Header=BB6_13467 Depth=2
	s_delay_alu instid0(SALU_CYCLE_1) | instskip(NEXT) | instid1(VALU_DEP_1)
	s_or_b32 exec_lo, exec_lo, s10
	v_mul_f32_e32 v7, s26, v6
                                        ; implicit-def: $vgpr69
	s_mov_b32 s10, exec_lo
	s_delay_alu instid0(VALU_DEP_1) | instskip(SKIP_1) | instid1(VALU_DEP_2)
	v_and_b32_e32 v54, 0x7f800000, v7
	v_lshrrev_b32_e32 v6, 24, v7
	v_cmpx_ne_u64_e32 0x7f800000, v[54:55]
	s_xor_b32 s27, exec_lo, s10
	s_cbranch_execz .LBB6_15375
; %bb.15362:                            ;   in Loop: Header=BB6_13467 Depth=2
	v_and_b32_e32 v54, 0x7fffffff, v7
	v_and_b32_e32 v6, 0x80, v6
                                        ; implicit-def: $vgpr69
	s_mov_b32 s10, exec_lo
	s_delay_alu instid0(VALU_DEP_2)
	v_cmpx_gt_u64_e32 0x43e00001, v[54:55]
	s_xor_b32 s28, exec_lo, s10
	s_cbranch_execz .LBB6_15372
; %bb.15363:                            ;   in Loop: Header=BB6_13467 Depth=2
	v_mov_b32_e32 v69, 0
	s_mov_b32 s29, exec_lo
	v_cmpx_ne_u32_e32 0, v7
	s_cbranch_execz .LBB6_15371
; %bb.15364:                            ;   in Loop: Header=BB6_13467 Depth=2
	v_and_b32_e32 v9, 0x7fffff, v7
	v_bfe_u32 v7, v7, 23, 8
	s_delay_alu instid0(VALU_DEP_2) | instskip(NEXT) | instid1(VALU_DEP_2)
	v_or_b32_e32 v16, 0x800000, v9
	v_cmp_gt_u32_e64 s10, 0x7a, v7
	v_sub_nc_u32_e32 v8, 0x79, v7
	v_cmp_eq_u32_e32 vcc_lo, 0, v7
	s_delay_alu instid0(VALU_DEP_2) | instskip(NEXT) | instid1(VALU_DEP_1)
	v_dual_cndmask_b32 v8, 0, v8, s10 :: v_dual_cndmask_b32 v54, v16, v9, vcc_lo
	v_cndmask_b32_e64 v8, v8, 0x78, vcc_lo
	s_delay_alu instid0(VALU_DEP_1) | instskip(NEXT) | instid1(VALU_DEP_1)
	v_add_nc_u32_e32 v9, 20, v8
	v_lshlrev_b64_e64 v[16:17], v9, -1
	v_add_nc_u32_e32 v9, 19, v8
	s_delay_alu instid0(VALU_DEP_1) | instskip(NEXT) | instid1(VALU_DEP_3)
	v_lshlrev_b64_e64 v[18:19], v9, 1
	v_bfi_b32 v17, v17, 0, 0
	s_delay_alu instid0(VALU_DEP_4) | instskip(NEXT) | instid1(VALU_DEP_1)
	v_bfi_b32 v16, v16, 0, v54
	v_cmp_eq_u64_e64 s10, v[16:17], v[18:19]
	v_lshrrev_b64 v[16:17], v8, v[54:55]
	s_delay_alu instid0(VALU_DEP_1)
	v_mov_b64_e32 v[18:19], v[16:17]
	s_and_saveexec_b32 s40, s10
; %bb.15365:                            ;   in Loop: Header=BB6_13467 Depth=2
	v_bfe_u32 v54, v16, 20, 1
	s_delay_alu instid0(VALU_DEP_1) | instskip(NEXT) | instid1(VALU_DEP_1)
	v_add_nc_u64_e32 v[18:19], v[16:17], v[54:55]
	v_add_nc_u64_e32 v[18:19], -1, v[18:19]
; %bb.15366:                            ;   in Loop: Header=BB6_13467 Depth=2
	s_or_b32 exec_lo, exec_lo, s40
	v_add_nc_u32_e32 v7, 0xffffff81, v7
	v_lshrrev_b32_e32 v9, 23, v16
	s_mov_b32 s10, exec_lo
	s_delay_alu instid0(VALU_DEP_2) | instskip(NEXT) | instid1(VALU_DEP_1)
	v_cndmask_b32_e64 v7, v7, 0xffffff82, vcc_lo
	v_add3_u32 v9, v8, v7, v9
	v_and_b32_e32 v7, 0xfffff, v18
	s_delay_alu instid0(VALU_DEP_1) | instskip(NEXT) | instid1(VALU_DEP_1)
	v_dual_add_nc_u32 v8, 6, v9 :: v_dual_add_nc_u32 v54, v7, v16
                                        ; implicit-def: $vgpr16_vgpr17
                                        ; implicit-def: $vgpr7
	v_cmpx_ne_u32_e32 0, v8
	s_xor_b32 s10, exec_lo, s10
; %bb.15367:                            ;   in Loop: Header=BB6_13467 Depth=2
	s_delay_alu instid0(VALU_DEP_2) | instskip(SKIP_1) | instid1(VALU_DEP_1)
	v_cmp_lt_u64_e32 vcc_lo, 0xffffff, v[54:55]
	v_add_nc_u32_e32 v7, 7, v9
	v_cndmask_b32_e32 v7, v8, v7, vcc_lo
	v_cndmask_b32_e64 v8, 0, 1, vcc_lo
	s_delay_alu instid0(VALU_DEP_1)
	v_lshrrev_b64 v[16:17], v8, v[54:55]
; %bb.15368:                            ;   in Loop: Header=BB6_13467 Depth=2
	s_and_not1_saveexec_b32 s10, s10
; %bb.15369:                            ;   in Loop: Header=BB6_13467 Depth=2
	v_mov_b64_e32 v[16:17], v[54:55]
	v_bfe_u32 v7, v54, 23, 1
; %bb.15370:                            ;   in Loop: Header=BB6_13467 Depth=2
	s_or_b32 exec_lo, exec_lo, s10
	s_delay_alu instid0(VALU_DEP_2) | instskip(NEXT) | instid1(VALU_DEP_2)
	v_lshrrev_b64 v[8:9], 20, v[16:17]
	v_cmp_gt_i32_e32 vcc_lo, 16, v7
	v_min_i32_e32 v16, 15, v7
	v_cmp_eq_u32_e64 s10, 0, v7
	s_delay_alu instid0(VALU_DEP_2) | instskip(SKIP_1) | instid1(VALU_DEP_2)
	v_dual_cndmask_b32 v9, 0, v9 :: v_dual_lshlrev_b32 v16, 3, v16
	v_cndmask_b32_e32 v8, 7, v8, vcc_lo
	v_and_b32_e32 v16, 0xf8, v16
	s_delay_alu instid0(VALU_DEP_2) | instskip(NEXT) | instid1(VALU_DEP_2)
	v_cmp_eq_u64_e32 vcc_lo, 0, v[8:9]
	v_and_or_b32 v7, v8, 7, v16
	s_and_b32 s10, s10, vcc_lo
	s_delay_alu instid0(VALU_DEP_1) | instid1(SALU_CYCLE_1)
	v_cndmask_b32_e64 v7, v7, 0, s10
	s_delay_alu instid0(VALU_DEP_1)
	v_or_b32_e32 v69, v7, v6
.LBB6_15371:                            ;   in Loop: Header=BB6_13467 Depth=2
	s_or_b32 exec_lo, exec_lo, s29
                                        ; implicit-def: $vgpr6
.LBB6_15372:                            ;   in Loop: Header=BB6_13467 Depth=2
	s_and_not1_saveexec_b32 s10, s28
; %bb.15373:                            ;   in Loop: Header=BB6_13467 Depth=2
	v_or_b32_e32 v69, 0x7e, v6
; %bb.15374:                            ;   in Loop: Header=BB6_13467 Depth=2
	s_or_b32 exec_lo, exec_lo, s10
                                        ; implicit-def: $vgpr6
.LBB6_15375:                            ;   in Loop: Header=BB6_13467 Depth=2
	s_and_not1_saveexec_b32 s10, s27
; %bb.15376:                            ;   in Loop: Header=BB6_13467 Depth=2
	v_or_b32_e32 v69, 0x7f, v6
; %bb.15377:                            ;   in Loop: Header=BB6_13467 Depth=2
	s_or_b32 exec_lo, exec_lo, s10
	v_lshrrev_b16 v7, 8, v10
	v_mov_b32_e32 v6, 0
	s_mov_b32 s10, exec_lo
	s_delay_alu instid0(VALU_DEP_2)
	v_cmpx_ne_u16_e32 0, v7
	s_cbranch_execz .LBB6_15385
; %bb.15378:                            ;   in Loop: Header=BB6_13467 Depth=2
	v_bfrev_b32_e32 v6, 1
	s_mov_b32 s27, exec_lo
	v_cmpx_ne_u16_e32 0x80, v7
	s_cbranch_execz .LBB6_15384
; %bb.15379:                            ;   in Loop: Header=BB6_13467 Depth=2
	v_and_b32_e32 v8, 0xffff, v7
	v_mov_b32_e32 v6, 0x7f800001
	s_mov_b32 s28, exec_lo
	s_delay_alu instid0(VALU_DEP_2) | instskip(NEXT) | instid1(VALU_DEP_1)
	v_and_b32_e32 v7, 0x7f, v8
	v_cmpx_ne_u32_e32 0x7f, v7
	s_cbranch_execz .LBB6_15383
; %bb.15380:                            ;   in Loop: Header=BB6_13467 Depth=2
	v_dual_lshrrev_b32 v6, 3, v7 :: v_dual_bitop2_b32 v54, 7, v8 bitop3:0x40
	s_mov_b32 s29, exec_lo
	v_cmpx_gt_u32_e32 8, v7
; %bb.15381:                            ;   in Loop: Header=BB6_13467 Depth=2
	s_delay_alu instid0(VALU_DEP_2) | instskip(NEXT) | instid1(VALU_DEP_1)
	v_clz_i32_u32_e32 v6, v54
	v_min_u32_e32 v6, 32, v6
	s_delay_alu instid0(VALU_DEP_1) | instskip(NEXT) | instid1(VALU_DEP_1)
	v_subrev_nc_u32_e32 v7, 28, v6
	v_lshlrev_b64_e32 v[8:9], v7, v[54:55]
	s_delay_alu instid0(VALU_DEP_1)
	v_dual_sub_nc_u32 v6, 29, v6 :: v_dual_bitop2_b32 v54, 7, v8 bitop3:0x40
; %bb.15382:                            ;   in Loop: Header=BB6_13467 Depth=2
	s_or_b32 exec_lo, exec_lo, s29
	v_lshlrev_b32_e32 v7, 16, v10
	s_delay_alu instid0(VALU_DEP_2) | instskip(NEXT) | instid1(VALU_DEP_3)
	v_lshlrev_b32_e32 v8, 20, v54
	v_lshl_add_u32 v6, v6, 23, 0x3c000000
	s_delay_alu instid0(VALU_DEP_3) | instskip(NEXT) | instid1(VALU_DEP_1)
	v_and_b32_e32 v7, 0x80000000, v7
	v_or3_b32 v6, v8, v7, v6
.LBB6_15383:                            ;   in Loop: Header=BB6_13467 Depth=2
	s_or_b32 exec_lo, exec_lo, s28
.LBB6_15384:                            ;   in Loop: Header=BB6_13467 Depth=2
	s_delay_alu instid0(SALU_CYCLE_1)
	s_or_b32 exec_lo, exec_lo, s27
.LBB6_15385:                            ;   in Loop: Header=BB6_13467 Depth=2
	s_delay_alu instid0(SALU_CYCLE_1) | instskip(NEXT) | instid1(VALU_DEP_1)
	s_or_b32 exec_lo, exec_lo, s10
	v_mul_f32_e32 v7, s26, v6
                                        ; implicit-def: $vgpr38
	s_mov_b32 s10, exec_lo
	s_delay_alu instid0(VALU_DEP_1) | instskip(SKIP_1) | instid1(VALU_DEP_2)
	v_and_b32_e32 v54, 0x7f800000, v7
	v_lshrrev_b32_e32 v6, 24, v7
	v_cmpx_ne_u64_e32 0x7f800000, v[54:55]
	s_xor_b32 s27, exec_lo, s10
	s_cbranch_execz .LBB6_15399
; %bb.15386:                            ;   in Loop: Header=BB6_13467 Depth=2
	v_and_b32_e32 v54, 0x7fffffff, v7
	v_and_b32_e32 v6, 0x80, v6
                                        ; implicit-def: $vgpr38
	s_mov_b32 s10, exec_lo
	s_delay_alu instid0(VALU_DEP_2)
	v_cmpx_gt_u64_e32 0x43e00001, v[54:55]
	s_xor_b32 s28, exec_lo, s10
	s_cbranch_execz .LBB6_15396
; %bb.15387:                            ;   in Loop: Header=BB6_13467 Depth=2
	v_mov_b32_e32 v38, 0
	s_mov_b32 s29, exec_lo
	v_cmpx_ne_u32_e32 0, v7
	s_cbranch_execz .LBB6_15395
; %bb.15388:                            ;   in Loop: Header=BB6_13467 Depth=2
	v_and_b32_e32 v9, 0x7fffff, v7
	v_bfe_u32 v7, v7, 23, 8
	s_delay_alu instid0(VALU_DEP_2) | instskip(NEXT) | instid1(VALU_DEP_2)
	v_or_b32_e32 v16, 0x800000, v9
	v_cmp_gt_u32_e64 s10, 0x7a, v7
	v_sub_nc_u32_e32 v8, 0x79, v7
	v_cmp_eq_u32_e32 vcc_lo, 0, v7
	s_delay_alu instid0(VALU_DEP_2) | instskip(NEXT) | instid1(VALU_DEP_1)
	v_dual_cndmask_b32 v8, 0, v8, s10 :: v_dual_cndmask_b32 v54, v16, v9, vcc_lo
	v_cndmask_b32_e64 v8, v8, 0x78, vcc_lo
	s_delay_alu instid0(VALU_DEP_1) | instskip(NEXT) | instid1(VALU_DEP_1)
	v_add_nc_u32_e32 v9, 20, v8
	v_lshlrev_b64_e64 v[16:17], v9, -1
	v_add_nc_u32_e32 v9, 19, v8
	s_delay_alu instid0(VALU_DEP_1) | instskip(NEXT) | instid1(VALU_DEP_3)
	v_lshlrev_b64_e64 v[18:19], v9, 1
	v_bfi_b32 v17, v17, 0, 0
	s_delay_alu instid0(VALU_DEP_4) | instskip(NEXT) | instid1(VALU_DEP_1)
	v_bfi_b32 v16, v16, 0, v54
	v_cmp_eq_u64_e64 s10, v[16:17], v[18:19]
	v_lshrrev_b64 v[16:17], v8, v[54:55]
	s_delay_alu instid0(VALU_DEP_1)
	v_mov_b64_e32 v[18:19], v[16:17]
	s_and_saveexec_b32 s40, s10
; %bb.15389:                            ;   in Loop: Header=BB6_13467 Depth=2
	v_bfe_u32 v54, v16, 20, 1
	s_delay_alu instid0(VALU_DEP_1) | instskip(NEXT) | instid1(VALU_DEP_1)
	v_add_nc_u64_e32 v[18:19], v[16:17], v[54:55]
	v_add_nc_u64_e32 v[18:19], -1, v[18:19]
; %bb.15390:                            ;   in Loop: Header=BB6_13467 Depth=2
	s_or_b32 exec_lo, exec_lo, s40
	v_add_nc_u32_e32 v7, 0xffffff81, v7
	v_lshrrev_b32_e32 v9, 23, v16
	s_mov_b32 s10, exec_lo
	s_delay_alu instid0(VALU_DEP_2) | instskip(NEXT) | instid1(VALU_DEP_1)
	v_cndmask_b32_e64 v7, v7, 0xffffff82, vcc_lo
	v_add3_u32 v9, v8, v7, v9
	v_and_b32_e32 v7, 0xfffff, v18
	s_delay_alu instid0(VALU_DEP_1) | instskip(NEXT) | instid1(VALU_DEP_1)
	v_dual_add_nc_u32 v8, 6, v9 :: v_dual_add_nc_u32 v54, v7, v16
                                        ; implicit-def: $vgpr16_vgpr17
                                        ; implicit-def: $vgpr7
	v_cmpx_ne_u32_e32 0, v8
	s_xor_b32 s10, exec_lo, s10
; %bb.15391:                            ;   in Loop: Header=BB6_13467 Depth=2
	s_delay_alu instid0(VALU_DEP_2) | instskip(SKIP_1) | instid1(VALU_DEP_1)
	v_cmp_lt_u64_e32 vcc_lo, 0xffffff, v[54:55]
	v_add_nc_u32_e32 v7, 7, v9
	v_cndmask_b32_e32 v7, v8, v7, vcc_lo
	v_cndmask_b32_e64 v8, 0, 1, vcc_lo
	s_delay_alu instid0(VALU_DEP_1)
	v_lshrrev_b64 v[16:17], v8, v[54:55]
; %bb.15392:                            ;   in Loop: Header=BB6_13467 Depth=2
	s_and_not1_saveexec_b32 s10, s10
; %bb.15393:                            ;   in Loop: Header=BB6_13467 Depth=2
	v_mov_b64_e32 v[16:17], v[54:55]
	v_bfe_u32 v7, v54, 23, 1
; %bb.15394:                            ;   in Loop: Header=BB6_13467 Depth=2
	s_or_b32 exec_lo, exec_lo, s10
	s_delay_alu instid0(VALU_DEP_2) | instskip(NEXT) | instid1(VALU_DEP_2)
	v_lshrrev_b64 v[8:9], 20, v[16:17]
	v_cmp_gt_i32_e32 vcc_lo, 16, v7
	v_min_i32_e32 v16, 15, v7
	v_cmp_eq_u32_e64 s10, 0, v7
	s_delay_alu instid0(VALU_DEP_2) | instskip(SKIP_1) | instid1(VALU_DEP_2)
	v_dual_cndmask_b32 v9, 0, v9 :: v_dual_lshlrev_b32 v16, 3, v16
	v_cndmask_b32_e32 v8, 7, v8, vcc_lo
	v_and_b32_e32 v16, 0xf8, v16
	s_delay_alu instid0(VALU_DEP_2) | instskip(NEXT) | instid1(VALU_DEP_2)
	v_cmp_eq_u64_e32 vcc_lo, 0, v[8:9]
	v_and_or_b32 v7, v8, 7, v16
	s_and_b32 s10, s10, vcc_lo
	s_delay_alu instid0(VALU_DEP_1) | instid1(SALU_CYCLE_1)
	v_cndmask_b32_e64 v7, v7, 0, s10
	s_delay_alu instid0(VALU_DEP_1)
	v_or_b32_e32 v38, v7, v6
.LBB6_15395:                            ;   in Loop: Header=BB6_13467 Depth=2
	s_or_b32 exec_lo, exec_lo, s29
                                        ; implicit-def: $vgpr6
.LBB6_15396:                            ;   in Loop: Header=BB6_13467 Depth=2
	s_and_not1_saveexec_b32 s10, s28
; %bb.15397:                            ;   in Loop: Header=BB6_13467 Depth=2
	v_or_b32_e32 v38, 0x7e, v6
; %bb.15398:                            ;   in Loop: Header=BB6_13467 Depth=2
	s_or_b32 exec_lo, exec_lo, s10
                                        ; implicit-def: $vgpr6
.LBB6_15399:                            ;   in Loop: Header=BB6_13467 Depth=2
	s_and_not1_saveexec_b32 s10, s27
; %bb.15400:                            ;   in Loop: Header=BB6_13467 Depth=2
	v_or_b32_e32 v38, 0x7f, v6
; %bb.15401:                            ;   in Loop: Header=BB6_13467 Depth=2
	s_or_b32 exec_lo, exec_lo, s10
	v_dual_mov_b32 v7, 0 :: v_dual_lshrrev_b32 v6, 16, v10
	s_mov_b32 s10, exec_lo
	s_delay_alu instid0(VALU_DEP_1) | instskip(NEXT) | instid1(VALU_DEP_1)
	v_and_b32_e32 v8, 0xff, v6
	v_cmpx_ne_u16_e32 0, v8
	s_cbranch_execz .LBB6_15409
; %bb.15402:                            ;   in Loop: Header=BB6_13467 Depth=2
	v_bfrev_b32_e32 v7, 1
	s_mov_b32 s27, exec_lo
	v_cmpx_ne_u16_e32 0x80, v8
	s_cbranch_execz .LBB6_15408
; %bb.15403:                            ;   in Loop: Header=BB6_13467 Depth=2
	v_bfe_u32 v8, v10, 16, 7
	v_mov_b32_e32 v7, 0x7f800001
	s_mov_b32 s28, exec_lo
	s_delay_alu instid0(VALU_DEP_2)
	v_cmpx_ne_u32_e32 0x7f, v8
	s_cbranch_execz .LBB6_15407
; %bb.15404:                            ;   in Loop: Header=BB6_13467 Depth=2
	v_dual_lshrrev_b32 v7, 3, v8 :: v_dual_bitop2_b32 v54, 7, v6 bitop3:0x40
	s_mov_b32 s29, exec_lo
	v_cmpx_gt_u32_e32 8, v8
; %bb.15405:                            ;   in Loop: Header=BB6_13467 Depth=2
	s_delay_alu instid0(VALU_DEP_2) | instskip(NEXT) | instid1(VALU_DEP_1)
	v_clz_i32_u32_e32 v7, v54
	v_min_u32_e32 v7, 32, v7
	s_delay_alu instid0(VALU_DEP_1) | instskip(NEXT) | instid1(VALU_DEP_1)
	v_subrev_nc_u32_e32 v8, 28, v7
	v_lshlrev_b64_e32 v[8:9], v8, v[54:55]
	s_delay_alu instid0(VALU_DEP_1)
	v_dual_sub_nc_u32 v7, 29, v7 :: v_dual_bitop2_b32 v54, 7, v8 bitop3:0x40
; %bb.15406:                            ;   in Loop: Header=BB6_13467 Depth=2
	s_or_b32 exec_lo, exec_lo, s29
	v_lshlrev_b32_e32 v6, 24, v6
	s_delay_alu instid0(VALU_DEP_2) | instskip(NEXT) | instid1(VALU_DEP_3)
	v_lshlrev_b32_e32 v8, 20, v54
	v_lshl_add_u32 v7, v7, 23, 0x3c000000
	s_delay_alu instid0(VALU_DEP_3) | instskip(NEXT) | instid1(VALU_DEP_1)
	v_and_b32_e32 v6, 0x80000000, v6
	v_or3_b32 v7, v8, v6, v7
.LBB6_15407:                            ;   in Loop: Header=BB6_13467 Depth=2
	s_or_b32 exec_lo, exec_lo, s28
.LBB6_15408:                            ;   in Loop: Header=BB6_13467 Depth=2
	s_delay_alu instid0(SALU_CYCLE_1)
	s_or_b32 exec_lo, exec_lo, s27
.LBB6_15409:                            ;   in Loop: Header=BB6_13467 Depth=2
	s_delay_alu instid0(SALU_CYCLE_1) | instskip(NEXT) | instid1(VALU_DEP_1)
	s_or_b32 exec_lo, exec_lo, s10
	v_mul_f32_e32 v7, s26, v7
                                        ; implicit-def: $vgpr39
	s_mov_b32 s10, exec_lo
	s_delay_alu instid0(VALU_DEP_1) | instskip(SKIP_1) | instid1(VALU_DEP_2)
	v_and_b32_e32 v54, 0x7f800000, v7
	v_lshrrev_b32_e32 v6, 24, v7
	v_cmpx_ne_u64_e32 0x7f800000, v[54:55]
	s_xor_b32 s27, exec_lo, s10
	s_cbranch_execz .LBB6_15423
; %bb.15410:                            ;   in Loop: Header=BB6_13467 Depth=2
	v_and_b32_e32 v54, 0x7fffffff, v7
	v_and_b32_e32 v6, 0x80, v6
                                        ; implicit-def: $vgpr39
	s_mov_b32 s10, exec_lo
	s_delay_alu instid0(VALU_DEP_2)
	v_cmpx_gt_u64_e32 0x43e00001, v[54:55]
	s_xor_b32 s28, exec_lo, s10
	s_cbranch_execz .LBB6_15420
; %bb.15411:                            ;   in Loop: Header=BB6_13467 Depth=2
	v_mov_b32_e32 v39, 0
	s_mov_b32 s29, exec_lo
	v_cmpx_ne_u32_e32 0, v7
	s_cbranch_execz .LBB6_15419
; %bb.15412:                            ;   in Loop: Header=BB6_13467 Depth=2
	v_and_b32_e32 v9, 0x7fffff, v7
	v_bfe_u32 v7, v7, 23, 8
	s_delay_alu instid0(VALU_DEP_2) | instskip(NEXT) | instid1(VALU_DEP_2)
	v_or_b32_e32 v16, 0x800000, v9
	v_cmp_gt_u32_e64 s10, 0x7a, v7
	v_sub_nc_u32_e32 v8, 0x79, v7
	v_cmp_eq_u32_e32 vcc_lo, 0, v7
	s_delay_alu instid0(VALU_DEP_2) | instskip(NEXT) | instid1(VALU_DEP_1)
	v_dual_cndmask_b32 v8, 0, v8, s10 :: v_dual_cndmask_b32 v54, v16, v9, vcc_lo
	v_cndmask_b32_e64 v8, v8, 0x78, vcc_lo
	s_delay_alu instid0(VALU_DEP_1) | instskip(NEXT) | instid1(VALU_DEP_1)
	v_add_nc_u32_e32 v9, 20, v8
	v_lshlrev_b64_e64 v[16:17], v9, -1
	v_add_nc_u32_e32 v9, 19, v8
	s_delay_alu instid0(VALU_DEP_1) | instskip(NEXT) | instid1(VALU_DEP_3)
	v_lshlrev_b64_e64 v[18:19], v9, 1
	v_bfi_b32 v17, v17, 0, 0
	s_delay_alu instid0(VALU_DEP_4) | instskip(NEXT) | instid1(VALU_DEP_1)
	v_bfi_b32 v16, v16, 0, v54
	v_cmp_eq_u64_e64 s10, v[16:17], v[18:19]
	v_lshrrev_b64 v[16:17], v8, v[54:55]
	s_delay_alu instid0(VALU_DEP_1)
	v_mov_b64_e32 v[18:19], v[16:17]
	s_and_saveexec_b32 s40, s10
; %bb.15413:                            ;   in Loop: Header=BB6_13467 Depth=2
	v_bfe_u32 v54, v16, 20, 1
	s_delay_alu instid0(VALU_DEP_1) | instskip(NEXT) | instid1(VALU_DEP_1)
	v_add_nc_u64_e32 v[18:19], v[16:17], v[54:55]
	v_add_nc_u64_e32 v[18:19], -1, v[18:19]
; %bb.15414:                            ;   in Loop: Header=BB6_13467 Depth=2
	s_or_b32 exec_lo, exec_lo, s40
	v_add_nc_u32_e32 v7, 0xffffff81, v7
	v_lshrrev_b32_e32 v9, 23, v16
	s_mov_b32 s10, exec_lo
	s_delay_alu instid0(VALU_DEP_2) | instskip(NEXT) | instid1(VALU_DEP_1)
	v_cndmask_b32_e64 v7, v7, 0xffffff82, vcc_lo
	v_add3_u32 v9, v8, v7, v9
	v_and_b32_e32 v7, 0xfffff, v18
	s_delay_alu instid0(VALU_DEP_1) | instskip(NEXT) | instid1(VALU_DEP_1)
	v_dual_add_nc_u32 v8, 6, v9 :: v_dual_add_nc_u32 v54, v7, v16
                                        ; implicit-def: $vgpr16_vgpr17
                                        ; implicit-def: $vgpr7
	v_cmpx_ne_u32_e32 0, v8
	s_xor_b32 s10, exec_lo, s10
; %bb.15415:                            ;   in Loop: Header=BB6_13467 Depth=2
	s_delay_alu instid0(VALU_DEP_2) | instskip(SKIP_1) | instid1(VALU_DEP_1)
	v_cmp_lt_u64_e32 vcc_lo, 0xffffff, v[54:55]
	v_add_nc_u32_e32 v7, 7, v9
	v_cndmask_b32_e32 v7, v8, v7, vcc_lo
	v_cndmask_b32_e64 v8, 0, 1, vcc_lo
	s_delay_alu instid0(VALU_DEP_1)
	v_lshrrev_b64 v[16:17], v8, v[54:55]
; %bb.15416:                            ;   in Loop: Header=BB6_13467 Depth=2
	s_and_not1_saveexec_b32 s10, s10
; %bb.15417:                            ;   in Loop: Header=BB6_13467 Depth=2
	v_mov_b64_e32 v[16:17], v[54:55]
	v_bfe_u32 v7, v54, 23, 1
; %bb.15418:                            ;   in Loop: Header=BB6_13467 Depth=2
	s_or_b32 exec_lo, exec_lo, s10
	s_delay_alu instid0(VALU_DEP_2) | instskip(NEXT) | instid1(VALU_DEP_2)
	v_lshrrev_b64 v[8:9], 20, v[16:17]
	v_cmp_gt_i32_e32 vcc_lo, 16, v7
	v_min_i32_e32 v16, 15, v7
	v_cmp_eq_u32_e64 s10, 0, v7
	s_delay_alu instid0(VALU_DEP_2) | instskip(SKIP_1) | instid1(VALU_DEP_2)
	v_dual_cndmask_b32 v9, 0, v9 :: v_dual_lshlrev_b32 v16, 3, v16
	v_cndmask_b32_e32 v8, 7, v8, vcc_lo
	v_and_b32_e32 v16, 0xf8, v16
	s_delay_alu instid0(VALU_DEP_2) | instskip(NEXT) | instid1(VALU_DEP_2)
	v_cmp_eq_u64_e32 vcc_lo, 0, v[8:9]
	v_and_or_b32 v7, v8, 7, v16
	s_and_b32 s10, s10, vcc_lo
	s_delay_alu instid0(VALU_DEP_1) | instid1(SALU_CYCLE_1)
	v_cndmask_b32_e64 v7, v7, 0, s10
	s_delay_alu instid0(VALU_DEP_1)
	v_or_b32_e32 v39, v7, v6
.LBB6_15419:                            ;   in Loop: Header=BB6_13467 Depth=2
	s_or_b32 exec_lo, exec_lo, s29
                                        ; implicit-def: $vgpr6
.LBB6_15420:                            ;   in Loop: Header=BB6_13467 Depth=2
	s_and_not1_saveexec_b32 s10, s28
; %bb.15421:                            ;   in Loop: Header=BB6_13467 Depth=2
	v_or_b32_e32 v39, 0x7e, v6
; %bb.15422:                            ;   in Loop: Header=BB6_13467 Depth=2
	s_or_b32 exec_lo, exec_lo, s10
                                        ; implicit-def: $vgpr6
.LBB6_15423:                            ;   in Loop: Header=BB6_13467 Depth=2
	s_and_not1_saveexec_b32 s10, s27
; %bb.15424:                            ;   in Loop: Header=BB6_13467 Depth=2
	v_or_b32_e32 v39, 0x7f, v6
; %bb.15425:                            ;   in Loop: Header=BB6_13467 Depth=2
	s_or_b32 exec_lo, exec_lo, s10
	v_mov_b32_e32 v7, 0
	s_mov_b32 s10, exec_lo
	v_cmpx_lt_u32_e32 0xffffff, v10
	s_cbranch_execz .LBB6_15433
; %bb.15426:                            ;   in Loop: Header=BB6_13467 Depth=2
	v_lshrrev_b32_e32 v6, 24, v10
	v_bfrev_b32_e32 v7, 1
	s_mov_b32 s27, exec_lo
	s_delay_alu instid0(VALU_DEP_2)
	v_cmpx_ne_u32_e32 0x80, v6
	s_cbranch_execz .LBB6_15432
; %bb.15427:                            ;   in Loop: Header=BB6_13467 Depth=2
	v_bfe_u32 v8, v10, 24, 7
	v_mov_b32_e32 v7, 0x7f800001
	s_mov_b32 s28, exec_lo
	s_delay_alu instid0(VALU_DEP_2)
	v_cmpx_ne_u32_e32 0x7f, v8
	s_cbranch_execz .LBB6_15431
; %bb.15428:                            ;   in Loop: Header=BB6_13467 Depth=2
	v_dual_lshrrev_b32 v7, 3, v8 :: v_dual_bitop2_b32 v54, 7, v6 bitop3:0x40
	s_mov_b32 s29, exec_lo
	v_cmpx_gt_u32_e32 8, v8
; %bb.15429:                            ;   in Loop: Header=BB6_13467 Depth=2
	s_delay_alu instid0(VALU_DEP_2) | instskip(NEXT) | instid1(VALU_DEP_1)
	v_clz_i32_u32_e32 v7, v54
	v_min_u32_e32 v7, 32, v7
	s_delay_alu instid0(VALU_DEP_1) | instskip(NEXT) | instid1(VALU_DEP_1)
	v_subrev_nc_u32_e32 v8, 28, v7
	v_lshlrev_b64_e32 v[8:9], v8, v[54:55]
	s_delay_alu instid0(VALU_DEP_1)
	v_dual_sub_nc_u32 v7, 29, v7 :: v_dual_bitop2_b32 v54, 7, v8 bitop3:0x40
; %bb.15430:                            ;   in Loop: Header=BB6_13467 Depth=2
	s_or_b32 exec_lo, exec_lo, s29
	v_lshlrev_b32_e32 v6, 24, v6
	s_delay_alu instid0(VALU_DEP_2) | instskip(NEXT) | instid1(VALU_DEP_3)
	v_lshlrev_b32_e32 v8, 20, v54
	v_lshl_add_u32 v7, v7, 23, 0x3c000000
	s_delay_alu instid0(VALU_DEP_3) | instskip(NEXT) | instid1(VALU_DEP_1)
	v_and_b32_e32 v6, 0x80000000, v6
	v_or3_b32 v7, v8, v6, v7
.LBB6_15431:                            ;   in Loop: Header=BB6_13467 Depth=2
	s_or_b32 exec_lo, exec_lo, s28
.LBB6_15432:                            ;   in Loop: Header=BB6_13467 Depth=2
	s_delay_alu instid0(SALU_CYCLE_1)
	s_or_b32 exec_lo, exec_lo, s27
.LBB6_15433:                            ;   in Loop: Header=BB6_13467 Depth=2
	s_delay_alu instid0(SALU_CYCLE_1) | instskip(NEXT) | instid1(VALU_DEP_1)
	s_or_b32 exec_lo, exec_lo, s10
	v_mul_f32_e32 v7, s26, v7
                                        ; implicit-def: $vgpr80
	s_mov_b32 s10, exec_lo
	s_delay_alu instid0(VALU_DEP_1) | instskip(SKIP_1) | instid1(VALU_DEP_2)
	v_and_b32_e32 v54, 0x7f800000, v7
	v_lshrrev_b32_e32 v6, 24, v7
	v_cmpx_ne_u64_e32 0x7f800000, v[54:55]
	s_xor_b32 s27, exec_lo, s10
	s_cbranch_execz .LBB6_15447
; %bb.15434:                            ;   in Loop: Header=BB6_13467 Depth=2
	v_and_b32_e32 v54, 0x7fffffff, v7
	v_and_b32_e32 v6, 0x80, v6
                                        ; implicit-def: $vgpr80
	s_mov_b32 s10, exec_lo
	s_delay_alu instid0(VALU_DEP_2)
	v_cmpx_gt_u64_e32 0x43e00001, v[54:55]
	s_xor_b32 s28, exec_lo, s10
	s_cbranch_execz .LBB6_15444
; %bb.15435:                            ;   in Loop: Header=BB6_13467 Depth=2
	v_mov_b32_e32 v80, 0
	s_mov_b32 s29, exec_lo
	v_cmpx_ne_u32_e32 0, v7
	s_cbranch_execz .LBB6_15443
; %bb.15436:                            ;   in Loop: Header=BB6_13467 Depth=2
	v_and_b32_e32 v9, 0x7fffff, v7
	v_bfe_u32 v7, v7, 23, 8
	s_delay_alu instid0(VALU_DEP_2) | instskip(NEXT) | instid1(VALU_DEP_2)
	v_or_b32_e32 v16, 0x800000, v9
	v_cmp_gt_u32_e64 s10, 0x7a, v7
	v_sub_nc_u32_e32 v8, 0x79, v7
	v_cmp_eq_u32_e32 vcc_lo, 0, v7
	s_delay_alu instid0(VALU_DEP_2) | instskip(NEXT) | instid1(VALU_DEP_1)
	v_dual_cndmask_b32 v8, 0, v8, s10 :: v_dual_cndmask_b32 v54, v16, v9, vcc_lo
	v_cndmask_b32_e64 v8, v8, 0x78, vcc_lo
	s_delay_alu instid0(VALU_DEP_1) | instskip(NEXT) | instid1(VALU_DEP_1)
	v_add_nc_u32_e32 v9, 20, v8
	v_lshlrev_b64_e64 v[16:17], v9, -1
	v_add_nc_u32_e32 v9, 19, v8
	s_delay_alu instid0(VALU_DEP_1) | instskip(NEXT) | instid1(VALU_DEP_3)
	v_lshlrev_b64_e64 v[18:19], v9, 1
	v_bfi_b32 v17, v17, 0, 0
	s_delay_alu instid0(VALU_DEP_4) | instskip(NEXT) | instid1(VALU_DEP_1)
	v_bfi_b32 v16, v16, 0, v54
	v_cmp_eq_u64_e64 s10, v[16:17], v[18:19]
	v_lshrrev_b64 v[16:17], v8, v[54:55]
	s_delay_alu instid0(VALU_DEP_1)
	v_mov_b64_e32 v[18:19], v[16:17]
	s_and_saveexec_b32 s40, s10
; %bb.15437:                            ;   in Loop: Header=BB6_13467 Depth=2
	v_bfe_u32 v54, v16, 20, 1
	s_delay_alu instid0(VALU_DEP_1) | instskip(NEXT) | instid1(VALU_DEP_1)
	v_add_nc_u64_e32 v[18:19], v[16:17], v[54:55]
	v_add_nc_u64_e32 v[18:19], -1, v[18:19]
; %bb.15438:                            ;   in Loop: Header=BB6_13467 Depth=2
	s_or_b32 exec_lo, exec_lo, s40
	v_add_nc_u32_e32 v7, 0xffffff81, v7
	v_lshrrev_b32_e32 v9, 23, v16
	s_mov_b32 s10, exec_lo
	s_delay_alu instid0(VALU_DEP_2) | instskip(NEXT) | instid1(VALU_DEP_1)
	v_cndmask_b32_e64 v7, v7, 0xffffff82, vcc_lo
	v_add3_u32 v9, v8, v7, v9
	v_and_b32_e32 v7, 0xfffff, v18
	s_delay_alu instid0(VALU_DEP_1) | instskip(NEXT) | instid1(VALU_DEP_1)
	v_dual_add_nc_u32 v8, 6, v9 :: v_dual_add_nc_u32 v54, v7, v16
                                        ; implicit-def: $vgpr16_vgpr17
                                        ; implicit-def: $vgpr7
	v_cmpx_ne_u32_e32 0, v8
	s_xor_b32 s10, exec_lo, s10
; %bb.15439:                            ;   in Loop: Header=BB6_13467 Depth=2
	s_delay_alu instid0(VALU_DEP_2) | instskip(SKIP_1) | instid1(VALU_DEP_1)
	v_cmp_lt_u64_e32 vcc_lo, 0xffffff, v[54:55]
	v_add_nc_u32_e32 v7, 7, v9
	v_cndmask_b32_e32 v7, v8, v7, vcc_lo
	v_cndmask_b32_e64 v8, 0, 1, vcc_lo
	s_delay_alu instid0(VALU_DEP_1)
	v_lshrrev_b64 v[16:17], v8, v[54:55]
; %bb.15440:                            ;   in Loop: Header=BB6_13467 Depth=2
	s_and_not1_saveexec_b32 s10, s10
; %bb.15441:                            ;   in Loop: Header=BB6_13467 Depth=2
	v_mov_b64_e32 v[16:17], v[54:55]
	v_bfe_u32 v7, v54, 23, 1
; %bb.15442:                            ;   in Loop: Header=BB6_13467 Depth=2
	s_or_b32 exec_lo, exec_lo, s10
	s_delay_alu instid0(VALU_DEP_2) | instskip(NEXT) | instid1(VALU_DEP_2)
	v_lshrrev_b64 v[8:9], 20, v[16:17]
	v_cmp_gt_i32_e32 vcc_lo, 16, v7
	v_min_i32_e32 v16, 15, v7
	v_cmp_eq_u32_e64 s10, 0, v7
	s_delay_alu instid0(VALU_DEP_2) | instskip(SKIP_1) | instid1(VALU_DEP_2)
	v_dual_cndmask_b32 v9, 0, v9 :: v_dual_lshlrev_b32 v16, 3, v16
	v_cndmask_b32_e32 v8, 7, v8, vcc_lo
	v_and_b32_e32 v16, 0xf8, v16
	s_delay_alu instid0(VALU_DEP_2) | instskip(NEXT) | instid1(VALU_DEP_2)
	v_cmp_eq_u64_e32 vcc_lo, 0, v[8:9]
	v_and_or_b32 v7, v8, 7, v16
	s_and_b32 s10, s10, vcc_lo
	s_delay_alu instid0(VALU_DEP_1) | instid1(SALU_CYCLE_1)
	v_cndmask_b32_e64 v7, v7, 0, s10
	s_delay_alu instid0(VALU_DEP_1)
	v_or_b32_e32 v80, v7, v6
.LBB6_15443:                            ;   in Loop: Header=BB6_13467 Depth=2
	s_or_b32 exec_lo, exec_lo, s29
                                        ; implicit-def: $vgpr6
.LBB6_15444:                            ;   in Loop: Header=BB6_13467 Depth=2
	s_and_not1_saveexec_b32 s10, s28
; %bb.15445:                            ;   in Loop: Header=BB6_13467 Depth=2
	v_or_b32_e32 v80, 0x7e, v6
; %bb.15446:                            ;   in Loop: Header=BB6_13467 Depth=2
	s_or_b32 exec_lo, exec_lo, s10
                                        ; implicit-def: $vgpr6
.LBB6_15447:                            ;   in Loop: Header=BB6_13467 Depth=2
	s_and_not1_saveexec_b32 s10, s27
; %bb.15448:                            ;   in Loop: Header=BB6_13467 Depth=2
	v_or_b32_e32 v80, 0x7f, v6
; %bb.15449:                            ;   in Loop: Header=BB6_13467 Depth=2
	s_or_b32 exec_lo, exec_lo, s10
	v_and_b32_e32 v7, 0xff, v11
	v_dual_mov_b32 v54, v11 :: v_dual_mov_b32 v6, 0
	s_mov_b32 s10, exec_lo
	s_delay_alu instid0(VALU_DEP_2)
	v_cmpx_ne_u16_e32 0, v7
	s_cbranch_execz .LBB6_15455
; %bb.15450:                            ;   in Loop: Header=BB6_13467 Depth=2
	v_bfrev_b32_e32 v6, 1
	s_mov_b32 s27, exec_lo
	v_cmpx_ne_u16_e32 0x80, v7
	s_cbranch_execz .LBB6_15454
; %bb.15451:                            ;   in Loop: Header=BB6_13467 Depth=2
	v_and_b32_e32 v7, 0x7f, v11
	v_mov_b32_e32 v6, 0x7f800001
	s_mov_b32 s28, exec_lo
	s_delay_alu instid0(VALU_DEP_2)
	v_cmpx_ne_u32_e32 0x7f, v7
	s_cbranch_execz .LBB6_15453
; %bb.15452:                            ;   in Loop: Header=BB6_13467 Depth=2
	v_and_b32_e32 v6, 7, v11
	v_cmp_gt_u32_e32 vcc_lo, 8, v7
	s_delay_alu instid0(VALU_DEP_2) | instskip(NEXT) | instid1(VALU_DEP_1)
	v_clz_i32_u32_e32 v6, v6
	v_min_u32_e32 v6, 32, v6
	v_lshrrev_b32_e32 v8, 3, v7
	s_delay_alu instid0(VALU_DEP_2) | instskip(SKIP_1) | instid1(VALU_DEP_1)
	v_subrev_nc_u32_e32 v7, 28, v6
	v_sub_nc_u32_e32 v6, 29, v6
	v_dual_cndmask_b32 v8, v8, v6, vcc_lo :: v_dual_cndmask_b32 v6, 0, v7, vcc_lo
	s_delay_alu instid0(VALU_DEP_1) | instskip(NEXT) | instid1(VALU_DEP_2)
	v_lshl_add_u32 v8, v8, 23, 0x3c000000
	v_lshlrev_b64_e32 v[6:7], v6, v[54:55]
	v_lshlrev_b32_e32 v7, 24, v54
	s_delay_alu instid0(VALU_DEP_1) | instskip(NEXT) | instid1(VALU_DEP_3)
	v_and_b32_e32 v7, 0x80000000, v7
	v_lshlrev_b32_e32 v6, 20, v6
	s_delay_alu instid0(VALU_DEP_1) | instskip(NEXT) | instid1(VALU_DEP_1)
	v_and_b32_e32 v6, 0x700000, v6
	v_or3_b32 v6, v6, v7, v8
.LBB6_15453:                            ;   in Loop: Header=BB6_13467 Depth=2
	s_or_b32 exec_lo, exec_lo, s28
.LBB6_15454:                            ;   in Loop: Header=BB6_13467 Depth=2
	s_delay_alu instid0(SALU_CYCLE_1)
	s_or_b32 exec_lo, exec_lo, s27
.LBB6_15455:                            ;   in Loop: Header=BB6_13467 Depth=2
	s_delay_alu instid0(SALU_CYCLE_1) | instskip(NEXT) | instid1(VALU_DEP_1)
	s_or_b32 exec_lo, exec_lo, s10
	v_dual_mul_f32 v7, s26, v6 :: v_dual_mov_b32 v9, v55
                                        ; implicit-def: $vgpr81
	s_mov_b32 s10, exec_lo
	s_delay_alu instid0(VALU_DEP_1) | instskip(SKIP_1) | instid1(VALU_DEP_2)
	v_and_b32_e32 v8, 0x7f800000, v7
	v_lshrrev_b32_e32 v6, 24, v7
	v_cmpx_ne_u64_e32 0x7f800000, v[8:9]
	s_xor_b32 s27, exec_lo, s10
	s_cbranch_execz .LBB6_15469
; %bb.15456:                            ;   in Loop: Header=BB6_13467 Depth=2
	v_and_b32_e32 v8, 0x7fffffff, v7
	v_mov_b32_e32 v9, v55
	v_and_b32_e32 v6, 0x80, v6
                                        ; implicit-def: $vgpr81
	s_mov_b32 s10, exec_lo
	s_delay_alu instid0(VALU_DEP_2)
	v_cmpx_gt_u64_e32 0x43e00001, v[8:9]
	s_xor_b32 s28, exec_lo, s10
	s_cbranch_execz .LBB6_15466
; %bb.15457:                            ;   in Loop: Header=BB6_13467 Depth=2
	v_mov_b32_e32 v81, 0
	s_mov_b32 s29, exec_lo
	v_cmpx_ne_u32_e32 0, v7
	s_cbranch_execz .LBB6_15465
; %bb.15458:                            ;   in Loop: Header=BB6_13467 Depth=2
	v_and_b32_e32 v9, 0x7fffff, v7
	v_bfe_u32 v7, v7, 23, 8
	v_mov_b32_e32 v17, v55
	s_delay_alu instid0(VALU_DEP_3) | instskip(NEXT) | instid1(VALU_DEP_3)
	v_or_b32_e32 v16, 0x800000, v9
	v_cmp_gt_u32_e64 s10, 0x7a, v7
	v_sub_nc_u32_e32 v8, 0x79, v7
	v_cmp_eq_u32_e32 vcc_lo, 0, v7
	s_delay_alu instid0(VALU_DEP_2) | instskip(NEXT) | instid1(VALU_DEP_1)
	v_dual_cndmask_b32 v8, 0, v8, s10 :: v_dual_cndmask_b32 v16, v16, v9, vcc_lo
	v_cndmask_b32_e64 v8, v8, 0x78, vcc_lo
	s_delay_alu instid0(VALU_DEP_1) | instskip(NEXT) | instid1(VALU_DEP_1)
	v_add_nc_u32_e32 v9, 20, v8
	v_lshlrev_b64_e64 v[18:19], v9, -1
	v_add_nc_u32_e32 v9, 19, v8
	s_delay_alu instid0(VALU_DEP_1) | instskip(NEXT) | instid1(VALU_DEP_3)
	v_lshlrev_b64_e64 v[64:65], v9, 1
	v_bfi_b32 v18, v18, 0, v16
	v_lshrrev_b64 v[16:17], v8, v[16:17]
	v_bfi_b32 v19, v19, 0, 0
	s_delay_alu instid0(VALU_DEP_1) | instskip(NEXT) | instid1(VALU_DEP_3)
	v_cmp_eq_u64_e64 s10, v[18:19], v[64:65]
	v_mov_b64_e32 v[18:19], v[16:17]
	s_and_saveexec_b32 s40, s10
; %bb.15459:                            ;   in Loop: Header=BB6_13467 Depth=2
	v_bfe_u32 v18, v16, 20, 1
	v_mov_b32_e32 v19, v55
	s_delay_alu instid0(VALU_DEP_1) | instskip(NEXT) | instid1(VALU_DEP_1)
	v_add_nc_u64_e32 v[18:19], v[16:17], v[18:19]
	v_add_nc_u64_e32 v[18:19], -1, v[18:19]
; %bb.15460:                            ;   in Loop: Header=BB6_13467 Depth=2
	s_or_b32 exec_lo, exec_lo, s40
	v_add_nc_u32_e32 v7, 0xffffff81, v7
	v_lshrrev_b32_e32 v9, 23, v16
	s_mov_b32 s10, exec_lo
	v_mov_b32_e32 v17, v55
	s_delay_alu instid0(VALU_DEP_3) | instskip(NEXT) | instid1(VALU_DEP_1)
	v_cndmask_b32_e64 v7, v7, 0xffffff82, vcc_lo
	v_add3_u32 v9, v8, v7, v9
	v_and_b32_e32 v7, 0xfffff, v18
	s_delay_alu instid0(VALU_DEP_1) | instskip(NEXT) | instid1(VALU_DEP_1)
	v_dual_add_nc_u32 v8, 6, v9 :: v_dual_add_nc_u32 v16, v7, v16
                                        ; implicit-def: $vgpr7
	v_cmpx_ne_u32_e32 0, v8
	s_xor_b32 s10, exec_lo, s10
; %bb.15461:                            ;   in Loop: Header=BB6_13467 Depth=2
	s_delay_alu instid0(VALU_DEP_2) | instskip(SKIP_1) | instid1(VALU_DEP_1)
	v_cmp_lt_u64_e32 vcc_lo, 0xffffff, v[16:17]
	v_add_nc_u32_e32 v7, 7, v9
	v_cndmask_b32_e32 v7, v8, v7, vcc_lo
	v_cndmask_b32_e64 v8, 0, 1, vcc_lo
	s_delay_alu instid0(VALU_DEP_1)
	v_lshrrev_b64 v[16:17], v8, v[16:17]
; %bb.15462:                            ;   in Loop: Header=BB6_13467 Depth=2
	s_and_not1_saveexec_b32 s10, s10
; %bb.15463:                            ;   in Loop: Header=BB6_13467 Depth=2
	s_delay_alu instid0(VALU_DEP_1)
	v_bfe_u32 v7, v16, 23, 1
; %bb.15464:                            ;   in Loop: Header=BB6_13467 Depth=2
	s_or_b32 exec_lo, exec_lo, s10
	s_delay_alu instid0(VALU_DEP_2) | instskip(NEXT) | instid1(VALU_DEP_2)
	v_lshrrev_b64 v[8:9], 20, v[16:17]
	v_cmp_gt_i32_e32 vcc_lo, 16, v7
	v_min_i32_e32 v16, 15, v7
	v_cmp_eq_u32_e64 s10, 0, v7
	s_delay_alu instid0(VALU_DEP_2) | instskip(SKIP_1) | instid1(VALU_DEP_2)
	v_dual_cndmask_b32 v9, 0, v9 :: v_dual_lshlrev_b32 v16, 3, v16
	v_cndmask_b32_e32 v8, 7, v8, vcc_lo
	v_and_b32_e32 v16, 0xf8, v16
	s_delay_alu instid0(VALU_DEP_2) | instskip(NEXT) | instid1(VALU_DEP_2)
	v_cmp_eq_u64_e32 vcc_lo, 0, v[8:9]
	v_and_or_b32 v7, v8, 7, v16
	s_and_b32 s10, s10, vcc_lo
	s_delay_alu instid0(VALU_DEP_1) | instid1(SALU_CYCLE_1)
	v_cndmask_b32_e64 v7, v7, 0, s10
	s_delay_alu instid0(VALU_DEP_1)
	v_or_b32_e32 v81, v7, v6
.LBB6_15465:                            ;   in Loop: Header=BB6_13467 Depth=2
	s_or_b32 exec_lo, exec_lo, s29
                                        ; implicit-def: $vgpr6
.LBB6_15466:                            ;   in Loop: Header=BB6_13467 Depth=2
	s_and_not1_saveexec_b32 s10, s28
; %bb.15467:                            ;   in Loop: Header=BB6_13467 Depth=2
	v_or_b32_e32 v81, 0x7e, v6
; %bb.15468:                            ;   in Loop: Header=BB6_13467 Depth=2
	s_or_b32 exec_lo, exec_lo, s10
                                        ; implicit-def: $vgpr6
.LBB6_15469:                            ;   in Loop: Header=BB6_13467 Depth=2
	s_and_not1_saveexec_b32 s10, s27
; %bb.15470:                            ;   in Loop: Header=BB6_13467 Depth=2
	v_or_b32_e32 v81, 0x7f, v6
; %bb.15471:                            ;   in Loop: Header=BB6_13467 Depth=2
	s_or_b32 exec_lo, exec_lo, s10
	v_lshrrev_b16 v7, 8, v54
	v_mov_b32_e32 v6, 0
	s_mov_b32 s10, exec_lo
	s_delay_alu instid0(VALU_DEP_2)
	v_cmpx_ne_u16_e32 0, v7
	s_cbranch_execz .LBB6_15479
; %bb.15472:                            ;   in Loop: Header=BB6_13467 Depth=2
	v_bfrev_b32_e32 v6, 1
	s_mov_b32 s27, exec_lo
	v_cmpx_ne_u16_e32 0x80, v7
	s_cbranch_execz .LBB6_15478
; %bb.15473:                            ;   in Loop: Header=BB6_13467 Depth=2
	v_and_b32_e32 v8, 0xffff, v7
	v_mov_b32_e32 v6, 0x7f800001
	s_mov_b32 s28, exec_lo
	s_delay_alu instid0(VALU_DEP_2) | instskip(NEXT) | instid1(VALU_DEP_1)
	v_and_b32_e32 v7, 0x7f, v8
	v_cmpx_ne_u32_e32 0x7f, v7
	s_cbranch_execz .LBB6_15477
; %bb.15474:                            ;   in Loop: Header=BB6_13467 Depth=2
	v_dual_mov_b32 v17, v55 :: v_dual_bitop2_b32 v16, 7, v8 bitop3:0x40
	v_lshrrev_b32_e32 v6, 3, v7
	s_mov_b32 s29, exec_lo
	v_cmpx_gt_u32_e32 8, v7
; %bb.15475:                            ;   in Loop: Header=BB6_13467 Depth=2
	s_delay_alu instid0(VALU_DEP_3) | instskip(NEXT) | instid1(VALU_DEP_1)
	v_clz_i32_u32_e32 v6, v16
	v_min_u32_e32 v6, 32, v6
	s_delay_alu instid0(VALU_DEP_1) | instskip(NEXT) | instid1(VALU_DEP_1)
	v_subrev_nc_u32_e32 v7, 28, v6
	v_lshlrev_b64_e32 v[8:9], v7, v[16:17]
	s_delay_alu instid0(VALU_DEP_1)
	v_dual_sub_nc_u32 v6, 29, v6 :: v_dual_bitop2_b32 v16, 7, v8 bitop3:0x40
; %bb.15476:                            ;   in Loop: Header=BB6_13467 Depth=2
	s_or_b32 exec_lo, exec_lo, s29
	s_delay_alu instid0(VALU_DEP_1) | instskip(NEXT) | instid1(VALU_DEP_2)
	v_dual_lshlrev_b32 v7, 16, v54 :: v_dual_lshlrev_b32 v8, 20, v16
	v_lshl_add_u32 v6, v6, 23, 0x3c000000
	s_delay_alu instid0(VALU_DEP_2) | instskip(NEXT) | instid1(VALU_DEP_1)
	v_and_b32_e32 v7, 0x80000000, v7
	v_or3_b32 v6, v8, v7, v6
.LBB6_15477:                            ;   in Loop: Header=BB6_13467 Depth=2
	s_or_b32 exec_lo, exec_lo, s28
.LBB6_15478:                            ;   in Loop: Header=BB6_13467 Depth=2
	s_delay_alu instid0(SALU_CYCLE_1)
	s_or_b32 exec_lo, exec_lo, s27
.LBB6_15479:                            ;   in Loop: Header=BB6_13467 Depth=2
	s_delay_alu instid0(SALU_CYCLE_1) | instskip(NEXT) | instid1(VALU_DEP_1)
	s_or_b32 exec_lo, exec_lo, s10
	v_mul_f32_e32 v8, s26, v6
                                        ; implicit-def: $vgpr6
	s_mov_b32 s10, exec_lo
	s_delay_alu instid0(VALU_DEP_1) | instskip(SKIP_1) | instid1(VALU_DEP_2)
	v_and_b32_e32 v54, 0x7f800000, v8
	v_lshrrev_b32_e32 v7, 24, v8
	v_cmpx_ne_u64_e32 0x7f800000, v[54:55]
	s_xor_b32 s27, exec_lo, s10
	s_cbranch_execz .LBB6_15493
; %bb.15480:                            ;   in Loop: Header=BB6_13467 Depth=2
	v_and_b32_e32 v54, 0x7fffffff, v8
	v_and_b32_e32 v7, 0x80, v7
                                        ; implicit-def: $vgpr6
	s_mov_b32 s10, exec_lo
	s_delay_alu instid0(VALU_DEP_2)
	v_cmpx_gt_u64_e32 0x43e00001, v[54:55]
	s_xor_b32 s28, exec_lo, s10
	s_cbranch_execz .LBB6_15490
; %bb.15481:                            ;   in Loop: Header=BB6_13467 Depth=2
	v_mov_b32_e32 v6, 0
	s_mov_b32 s29, exec_lo
	v_cmpx_ne_u32_e32 0, v8
	s_cbranch_execz .LBB6_15489
; %bb.15482:                            ;   in Loop: Header=BB6_13467 Depth=2
	v_bfe_u32 v6, v8, 23, 8
	v_and_b32_e32 v9, 0x7fffff, v8
	s_delay_alu instid0(VALU_DEP_2) | instskip(SKIP_2) | instid1(VALU_DEP_4)
	v_cmp_gt_u32_e64 s10, 0x7a, v6
	v_sub_nc_u32_e32 v8, 0x79, v6
	v_cmp_eq_u32_e32 vcc_lo, 0, v6
	v_or_b32_e32 v16, 0x800000, v9
	s_delay_alu instid0(VALU_DEP_1) | instskip(NEXT) | instid1(VALU_DEP_1)
	v_dual_cndmask_b32 v8, 0, v8, s10 :: v_dual_cndmask_b32 v54, v16, v9, vcc_lo
	v_cndmask_b32_e64 v8, v8, 0x78, vcc_lo
	s_delay_alu instid0(VALU_DEP_1) | instskip(NEXT) | instid1(VALU_DEP_1)
	v_add_nc_u32_e32 v9, 20, v8
	v_lshlrev_b64_e64 v[16:17], v9, -1
	v_add_nc_u32_e32 v9, 19, v8
	s_delay_alu instid0(VALU_DEP_1) | instskip(NEXT) | instid1(VALU_DEP_3)
	v_lshlrev_b64_e64 v[18:19], v9, 1
	v_bfi_b32 v17, v17, 0, 0
	s_delay_alu instid0(VALU_DEP_4) | instskip(NEXT) | instid1(VALU_DEP_1)
	v_bfi_b32 v16, v16, 0, v54
	v_cmp_eq_u64_e64 s10, v[16:17], v[18:19]
	v_lshrrev_b64 v[16:17], v8, v[54:55]
	s_delay_alu instid0(VALU_DEP_1)
	v_mov_b64_e32 v[18:19], v[16:17]
	s_and_saveexec_b32 s40, s10
; %bb.15483:                            ;   in Loop: Header=BB6_13467 Depth=2
	v_bfe_u32 v54, v16, 20, 1
	s_delay_alu instid0(VALU_DEP_1) | instskip(NEXT) | instid1(VALU_DEP_1)
	v_add_nc_u64_e32 v[18:19], v[16:17], v[54:55]
	v_add_nc_u64_e32 v[18:19], -1, v[18:19]
; %bb.15484:                            ;   in Loop: Header=BB6_13467 Depth=2
	s_or_b32 exec_lo, exec_lo, s40
	v_add_nc_u32_e32 v6, 0xffffff81, v6
	v_lshrrev_b32_e32 v9, 23, v16
	s_mov_b32 s10, exec_lo
	s_delay_alu instid0(VALU_DEP_2) | instskip(NEXT) | instid1(VALU_DEP_1)
	v_cndmask_b32_e64 v6, v6, 0xffffff82, vcc_lo
	v_add3_u32 v9, v8, v6, v9
	v_and_b32_e32 v6, 0xfffff, v18
	s_delay_alu instid0(VALU_DEP_1) | instskip(NEXT) | instid1(VALU_DEP_1)
	v_dual_add_nc_u32 v8, 6, v9 :: v_dual_add_nc_u32 v54, v6, v16
                                        ; implicit-def: $vgpr16_vgpr17
                                        ; implicit-def: $vgpr6
	v_cmpx_ne_u32_e32 0, v8
	s_xor_b32 s10, exec_lo, s10
; %bb.15485:                            ;   in Loop: Header=BB6_13467 Depth=2
	s_delay_alu instid0(VALU_DEP_2) | instskip(SKIP_1) | instid1(VALU_DEP_1)
	v_cmp_lt_u64_e32 vcc_lo, 0xffffff, v[54:55]
	v_add_nc_u32_e32 v6, 7, v9
	v_cndmask_b32_e32 v6, v8, v6, vcc_lo
	v_cndmask_b32_e64 v8, 0, 1, vcc_lo
	s_delay_alu instid0(VALU_DEP_1)
	v_lshrrev_b64 v[16:17], v8, v[54:55]
; %bb.15486:                            ;   in Loop: Header=BB6_13467 Depth=2
	s_and_not1_saveexec_b32 s10, s10
; %bb.15487:                            ;   in Loop: Header=BB6_13467 Depth=2
	v_mov_b64_e32 v[16:17], v[54:55]
	v_bfe_u32 v6, v54, 23, 1
; %bb.15488:                            ;   in Loop: Header=BB6_13467 Depth=2
	s_or_b32 exec_lo, exec_lo, s10
	s_delay_alu instid0(VALU_DEP_2) | instskip(NEXT) | instid1(VALU_DEP_2)
	v_lshrrev_b64 v[8:9], 20, v[16:17]
	v_cmp_gt_i32_e32 vcc_lo, 16, v6
	v_min_i32_e32 v16, 15, v6
	v_cmp_eq_u32_e64 s10, 0, v6
	s_delay_alu instid0(VALU_DEP_2) | instskip(SKIP_1) | instid1(VALU_DEP_2)
	v_dual_cndmask_b32 v9, 0, v9 :: v_dual_lshlrev_b32 v16, 3, v16
	v_cndmask_b32_e32 v8, 7, v8, vcc_lo
	v_and_b32_e32 v16, 0xf8, v16
	s_delay_alu instid0(VALU_DEP_2) | instskip(NEXT) | instid1(VALU_DEP_2)
	v_cmp_eq_u64_e32 vcc_lo, 0, v[8:9]
	v_and_or_b32 v6, v8, 7, v16
	s_and_b32 s10, s10, vcc_lo
	s_delay_alu instid0(VALU_DEP_1) | instid1(SALU_CYCLE_1)
	v_cndmask_b32_e64 v6, v6, 0, s10
	s_delay_alu instid0(VALU_DEP_1)
	v_or_b32_e32 v6, v6, v7
.LBB6_15489:                            ;   in Loop: Header=BB6_13467 Depth=2
	s_or_b32 exec_lo, exec_lo, s29
                                        ; implicit-def: $vgpr7
.LBB6_15490:                            ;   in Loop: Header=BB6_13467 Depth=2
	s_and_not1_saveexec_b32 s10, s28
; %bb.15491:                            ;   in Loop: Header=BB6_13467 Depth=2
	v_or_b32_e32 v6, 0x7e, v7
; %bb.15492:                            ;   in Loop: Header=BB6_13467 Depth=2
	s_or_b32 exec_lo, exec_lo, s10
                                        ; implicit-def: $vgpr7
.LBB6_15493:                            ;   in Loop: Header=BB6_13467 Depth=2
	s_and_not1_saveexec_b32 s10, s27
; %bb.15494:                            ;   in Loop: Header=BB6_13467 Depth=2
	v_or_b32_e32 v6, 0x7f, v7
; %bb.15495:                            ;   in Loop: Header=BB6_13467 Depth=2
	s_or_b32 exec_lo, exec_lo, s10
	v_dual_mov_b32 v8, 0 :: v_dual_lshrrev_b32 v7, 16, v11
	s_mov_b32 s10, exec_lo
	s_delay_alu instid0(VALU_DEP_1) | instskip(NEXT) | instid1(VALU_DEP_1)
	v_and_b32_e32 v9, 0xff, v7
	v_cmpx_ne_u16_e32 0, v9
	s_cbranch_execz .LBB6_15503
; %bb.15496:                            ;   in Loop: Header=BB6_13467 Depth=2
	v_bfrev_b32_e32 v8, 1
	s_mov_b32 s27, exec_lo
	v_cmpx_ne_u16_e32 0x80, v9
	s_cbranch_execz .LBB6_15502
; %bb.15497:                            ;   in Loop: Header=BB6_13467 Depth=2
	v_bfe_u32 v9, v11, 16, 7
	v_mov_b32_e32 v8, 0x7f800001
	s_mov_b32 s28, exec_lo
	s_delay_alu instid0(VALU_DEP_2)
	v_cmpx_ne_u32_e32 0x7f, v9
	s_cbranch_execz .LBB6_15501
; %bb.15498:                            ;   in Loop: Header=BB6_13467 Depth=2
	v_dual_lshrrev_b32 v8, 3, v9 :: v_dual_bitop2_b32 v54, 7, v7 bitop3:0x40
	s_mov_b32 s29, exec_lo
	v_cmpx_gt_u32_e32 8, v9
; %bb.15499:                            ;   in Loop: Header=BB6_13467 Depth=2
	s_delay_alu instid0(VALU_DEP_2) | instskip(NEXT) | instid1(VALU_DEP_1)
	v_clz_i32_u32_e32 v8, v54
	v_min_u32_e32 v8, 32, v8
	s_delay_alu instid0(VALU_DEP_1) | instskip(SKIP_1) | instid1(VALU_DEP_2)
	v_subrev_nc_u32_e32 v9, 28, v8
	v_sub_nc_u32_e32 v8, 29, v8
	v_lshlrev_b64_e32 v[16:17], v9, v[54:55]
	s_delay_alu instid0(VALU_DEP_1)
	v_and_b32_e32 v54, 7, v16
; %bb.15500:                            ;   in Loop: Header=BB6_13467 Depth=2
	s_or_b32 exec_lo, exec_lo, s29
	s_delay_alu instid0(VALU_DEP_1) | instskip(SKIP_1) | instid1(VALU_DEP_2)
	v_dual_lshlrev_b32 v7, 24, v7 :: v_dual_lshlrev_b32 v9, 20, v54
	v_lshl_add_u32 v8, v8, 23, 0x3c000000
	v_and_b32_e32 v7, 0x80000000, v7
	s_delay_alu instid0(VALU_DEP_1)
	v_or3_b32 v8, v9, v7, v8
.LBB6_15501:                            ;   in Loop: Header=BB6_13467 Depth=2
	s_or_b32 exec_lo, exec_lo, s28
.LBB6_15502:                            ;   in Loop: Header=BB6_13467 Depth=2
	s_delay_alu instid0(SALU_CYCLE_1)
	s_or_b32 exec_lo, exec_lo, s27
.LBB6_15503:                            ;   in Loop: Header=BB6_13467 Depth=2
	s_delay_alu instid0(SALU_CYCLE_1) | instskip(NEXT) | instid1(VALU_DEP_1)
	s_or_b32 exec_lo, exec_lo, s10
	v_mul_f32_e32 v9, s26, v8
                                        ; implicit-def: $vgpr7
	s_mov_b32 s10, exec_lo
	s_delay_alu instid0(VALU_DEP_1) | instskip(SKIP_1) | instid1(VALU_DEP_2)
	v_and_b32_e32 v54, 0x7f800000, v9
	v_lshrrev_b32_e32 v8, 24, v9
	v_cmpx_ne_u64_e32 0x7f800000, v[54:55]
	s_xor_b32 s27, exec_lo, s10
	s_cbranch_execz .LBB6_15517
; %bb.15504:                            ;   in Loop: Header=BB6_13467 Depth=2
	v_and_b32_e32 v54, 0x7fffffff, v9
	v_and_b32_e32 v8, 0x80, v8
                                        ; implicit-def: $vgpr7
	s_mov_b32 s10, exec_lo
	s_delay_alu instid0(VALU_DEP_2)
	v_cmpx_gt_u64_e32 0x43e00001, v[54:55]
	s_xor_b32 s28, exec_lo, s10
	s_cbranch_execz .LBB6_15514
; %bb.15505:                            ;   in Loop: Header=BB6_13467 Depth=2
	v_mov_b32_e32 v7, 0
	s_mov_b32 s29, exec_lo
	v_cmpx_ne_u32_e32 0, v9
	s_cbranch_execz .LBB6_15513
; %bb.15506:                            ;   in Loop: Header=BB6_13467 Depth=2
	v_and_b32_e32 v16, 0x7fffff, v9
	v_bfe_u32 v7, v9, 23, 8
	s_delay_alu instid0(VALU_DEP_2) | instskip(NEXT) | instid1(VALU_DEP_2)
	v_or_b32_e32 v17, 0x800000, v16
	v_cmp_eq_u32_e32 vcc_lo, 0, v7
	v_cmp_gt_u32_e64 s10, 0x7a, v7
	s_delay_alu instid0(VALU_DEP_3) | instskip(NEXT) | instid1(VALU_DEP_1)
	v_dual_cndmask_b32 v54, v17, v16 :: v_dual_sub_nc_u32 v9, 0x79, v7
	v_cndmask_b32_e64 v9, 0, v9, s10
	s_delay_alu instid0(VALU_DEP_1) | instskip(NEXT) | instid1(VALU_DEP_1)
	v_cndmask_b32_e64 v9, v9, 0x78, vcc_lo
	v_dual_add_nc_u32 v16, 20, v9 :: v_dual_add_nc_u32 v18, 19, v9
	s_delay_alu instid0(VALU_DEP_1) | instskip(NEXT) | instid1(VALU_DEP_2)
	v_lshlrev_b64_e64 v[16:17], v16, -1
	v_lshlrev_b64_e64 v[18:19], v18, 1
	s_delay_alu instid0(VALU_DEP_2) | instskip(NEXT) | instid1(VALU_DEP_3)
	v_bfi_b32 v17, v17, 0, 0
	v_bfi_b32 v16, v16, 0, v54
	s_delay_alu instid0(VALU_DEP_1) | instskip(SKIP_1) | instid1(VALU_DEP_1)
	v_cmp_eq_u64_e64 s10, v[16:17], v[18:19]
	v_lshrrev_b64 v[16:17], v9, v[54:55]
	v_mov_b64_e32 v[18:19], v[16:17]
	s_and_saveexec_b32 s40, s10
; %bb.15507:                            ;   in Loop: Header=BB6_13467 Depth=2
	v_bfe_u32 v54, v16, 20, 1
	s_delay_alu instid0(VALU_DEP_1) | instskip(NEXT) | instid1(VALU_DEP_1)
	v_add_nc_u64_e32 v[18:19], v[16:17], v[54:55]
	v_add_nc_u64_e32 v[18:19], -1, v[18:19]
; %bb.15508:                            ;   in Loop: Header=BB6_13467 Depth=2
	s_or_b32 exec_lo, exec_lo, s40
	v_add_nc_u32_e32 v7, 0xffffff81, v7
	v_lshrrev_b32_e32 v17, 23, v16
	s_mov_b32 s10, exec_lo
	s_delay_alu instid0(VALU_DEP_2) | instskip(NEXT) | instid1(VALU_DEP_1)
	v_cndmask_b32_e64 v7, v7, 0xffffff82, vcc_lo
	v_add3_u32 v19, v9, v7, v17
	v_and_b32_e32 v7, 0xfffff, v18
	s_delay_alu instid0(VALU_DEP_1) | instskip(NEXT) | instid1(VALU_DEP_1)
	v_dual_add_nc_u32 v9, 6, v19 :: v_dual_add_nc_u32 v54, v7, v16
                                        ; implicit-def: $vgpr16_vgpr17
                                        ; implicit-def: $vgpr7
	v_cmpx_ne_u32_e32 0, v9
	s_xor_b32 s10, exec_lo, s10
; %bb.15509:                            ;   in Loop: Header=BB6_13467 Depth=2
	s_delay_alu instid0(VALU_DEP_2) | instskip(SKIP_1) | instid1(VALU_DEP_1)
	v_cmp_lt_u64_e32 vcc_lo, 0xffffff, v[54:55]
	v_add_nc_u32_e32 v7, 7, v19
	v_cndmask_b32_e32 v7, v9, v7, vcc_lo
	v_cndmask_b32_e64 v9, 0, 1, vcc_lo
	s_delay_alu instid0(VALU_DEP_1)
	v_lshrrev_b64 v[16:17], v9, v[54:55]
; %bb.15510:                            ;   in Loop: Header=BB6_13467 Depth=2
	s_and_not1_saveexec_b32 s10, s10
; %bb.15511:                            ;   in Loop: Header=BB6_13467 Depth=2
	v_mov_b64_e32 v[16:17], v[54:55]
	v_bfe_u32 v7, v54, 23, 1
; %bb.15512:                            ;   in Loop: Header=BB6_13467 Depth=2
	s_or_b32 exec_lo, exec_lo, s10
	s_delay_alu instid0(VALU_DEP_2) | instskip(NEXT) | instid1(VALU_DEP_2)
	v_lshrrev_b64 v[16:17], 20, v[16:17]
	v_cmp_gt_i32_e32 vcc_lo, 16, v7
	v_min_i32_e32 v9, 15, v7
	v_cmp_eq_u32_e64 s10, 0, v7
	s_delay_alu instid0(VALU_DEP_4) | instskip(NEXT) | instid1(VALU_DEP_3)
	v_cndmask_b32_e32 v17, 0, v17, vcc_lo
	v_dual_cndmask_b32 v16, 7, v16 :: v_dual_lshlrev_b32 v9, 3, v9
	s_delay_alu instid0(VALU_DEP_1) | instskip(NEXT) | instid1(VALU_DEP_2)
	v_and_b32_e32 v9, 0xf8, v9
	v_cmp_eq_u64_e32 vcc_lo, 0, v[16:17]
	s_delay_alu instid0(VALU_DEP_2)
	v_and_or_b32 v7, v16, 7, v9
	s_and_b32 s10, s10, vcc_lo
	s_delay_alu instid0(VALU_DEP_1) | instid1(SALU_CYCLE_1)
	v_cndmask_b32_e64 v7, v7, 0, s10
	s_delay_alu instid0(VALU_DEP_1)
	v_or_b32_e32 v7, v7, v8
.LBB6_15513:                            ;   in Loop: Header=BB6_13467 Depth=2
	s_or_b32 exec_lo, exec_lo, s29
                                        ; implicit-def: $vgpr8
.LBB6_15514:                            ;   in Loop: Header=BB6_13467 Depth=2
	s_and_not1_saveexec_b32 s10, s28
; %bb.15515:                            ;   in Loop: Header=BB6_13467 Depth=2
	v_or_b32_e32 v7, 0x7e, v8
; %bb.15516:                            ;   in Loop: Header=BB6_13467 Depth=2
	s_or_b32 exec_lo, exec_lo, s10
                                        ; implicit-def: $vgpr8
.LBB6_15517:                            ;   in Loop: Header=BB6_13467 Depth=2
	s_and_not1_saveexec_b32 s10, s27
; %bb.15518:                            ;   in Loop: Header=BB6_13467 Depth=2
	v_or_b32_e32 v7, 0x7f, v8
; %bb.15519:                            ;   in Loop: Header=BB6_13467 Depth=2
	s_or_b32 exec_lo, exec_lo, s10
	v_mov_b32_e32 v9, 0
	s_mov_b32 s10, exec_lo
	v_cmpx_lt_u64_e64 s[12:13], v[10:11]
	s_cbranch_execz .LBB6_15527
; %bb.15520:                            ;   in Loop: Header=BB6_13467 Depth=2
	v_lshrrev_b32_e32 v8, 24, v11
	v_bfrev_b32_e32 v9, 1
	s_mov_b32 s27, exec_lo
	s_delay_alu instid0(VALU_DEP_2)
	v_cmpx_ne_u32_e32 0x80, v8
	s_cbranch_execz .LBB6_15526
; %bb.15521:                            ;   in Loop: Header=BB6_13467 Depth=2
	v_bfe_u32 v10, v11, 24, 7
	v_mov_b32_e32 v9, 0x7f800001
	s_mov_b32 s28, exec_lo
	s_delay_alu instid0(VALU_DEP_2)
	v_cmpx_ne_u32_e32 0x7f, v10
	s_cbranch_execz .LBB6_15525
; %bb.15522:                            ;   in Loop: Header=BB6_13467 Depth=2
	v_dual_lshrrev_b32 v9, 3, v10 :: v_dual_bitop2_b32 v54, 7, v8 bitop3:0x40
	s_mov_b32 s29, exec_lo
	v_cmpx_gt_u32_e32 8, v10
; %bb.15523:                            ;   in Loop: Header=BB6_13467 Depth=2
	s_delay_alu instid0(VALU_DEP_2) | instskip(NEXT) | instid1(VALU_DEP_1)
	v_clz_i32_u32_e32 v9, v54
	v_min_u32_e32 v9, 32, v9
	s_delay_alu instid0(VALU_DEP_1) | instskip(NEXT) | instid1(VALU_DEP_1)
	v_subrev_nc_u32_e32 v10, 28, v9
	v_lshlrev_b64_e32 v[10:11], v10, v[54:55]
	s_delay_alu instid0(VALU_DEP_1)
	v_dual_sub_nc_u32 v9, 29, v9 :: v_dual_bitop2_b32 v54, 7, v10 bitop3:0x40
; %bb.15524:                            ;   in Loop: Header=BB6_13467 Depth=2
	s_or_b32 exec_lo, exec_lo, s29
	s_delay_alu instid0(VALU_DEP_1) | instskip(NEXT) | instid1(VALU_DEP_2)
	v_dual_lshlrev_b32 v8, 24, v8 :: v_dual_lshlrev_b32 v10, 20, v54
	v_lshl_add_u32 v9, v9, 23, 0x3c000000
	s_delay_alu instid0(VALU_DEP_2) | instskip(NEXT) | instid1(VALU_DEP_1)
	v_and_b32_e32 v8, 0x80000000, v8
	v_or3_b32 v9, v10, v8, v9
.LBB6_15525:                            ;   in Loop: Header=BB6_13467 Depth=2
	s_or_b32 exec_lo, exec_lo, s28
.LBB6_15526:                            ;   in Loop: Header=BB6_13467 Depth=2
	s_delay_alu instid0(SALU_CYCLE_1)
	s_or_b32 exec_lo, exec_lo, s27
.LBB6_15527:                            ;   in Loop: Header=BB6_13467 Depth=2
	s_delay_alu instid0(SALU_CYCLE_1) | instskip(NEXT) | instid1(VALU_DEP_1)
	s_or_b32 exec_lo, exec_lo, s10
	v_mul_f32_e32 v10, s26, v9
                                        ; implicit-def: $vgpr8
	s_mov_b32 s10, exec_lo
	s_delay_alu instid0(VALU_DEP_1) | instskip(SKIP_1) | instid1(VALU_DEP_2)
	v_and_b32_e32 v54, 0x7f800000, v10
	v_lshrrev_b32_e32 v9, 24, v10
	v_cmpx_ne_u64_e32 0x7f800000, v[54:55]
	s_xor_b32 s27, exec_lo, s10
	s_cbranch_execz .LBB6_15541
; %bb.15528:                            ;   in Loop: Header=BB6_13467 Depth=2
	v_and_b32_e32 v54, 0x7fffffff, v10
	v_and_b32_e32 v9, 0x80, v9
                                        ; implicit-def: $vgpr8
	s_mov_b32 s10, exec_lo
	s_delay_alu instid0(VALU_DEP_2)
	v_cmpx_gt_u64_e32 0x43e00001, v[54:55]
	s_xor_b32 s28, exec_lo, s10
	s_cbranch_execz .LBB6_15538
; %bb.15529:                            ;   in Loop: Header=BB6_13467 Depth=2
	v_mov_b32_e32 v8, 0
	s_mov_b32 s29, exec_lo
	v_cmpx_ne_u32_e32 0, v10
	s_cbranch_execz .LBB6_15537
; %bb.15530:                            ;   in Loop: Header=BB6_13467 Depth=2
	v_bfe_u32 v8, v10, 23, 8
	v_and_b32_e32 v11, 0x7fffff, v10
	s_delay_alu instid0(VALU_DEP_2) | instskip(SKIP_2) | instid1(VALU_DEP_4)
	v_cmp_gt_u32_e64 s10, 0x7a, v8
	v_sub_nc_u32_e32 v10, 0x79, v8
	v_cmp_eq_u32_e32 vcc_lo, 0, v8
	v_or_b32_e32 v16, 0x800000, v11
	s_delay_alu instid0(VALU_DEP_1) | instskip(NEXT) | instid1(VALU_DEP_1)
	v_dual_cndmask_b32 v10, 0, v10, s10 :: v_dual_cndmask_b32 v54, v16, v11, vcc_lo
	v_cndmask_b32_e64 v18, v10, 0x78, vcc_lo
	s_delay_alu instid0(VALU_DEP_1) | instskip(NEXT) | instid1(VALU_DEP_1)
	v_dual_add_nc_u32 v10, 20, v18 :: v_dual_add_nc_u32 v16, 19, v18
	v_lshlrev_b64_e64 v[10:11], v10, -1
	s_delay_alu instid0(VALU_DEP_2) | instskip(NEXT) | instid1(VALU_DEP_2)
	v_lshlrev_b64_e64 v[16:17], v16, 1
	v_bfi_b32 v11, v11, 0, 0
	s_delay_alu instid0(VALU_DEP_3) | instskip(NEXT) | instid1(VALU_DEP_1)
	v_bfi_b32 v10, v10, 0, v54
	v_cmp_eq_u64_e64 s10, v[10:11], v[16:17]
	v_lshrrev_b64 v[10:11], v18, v[54:55]
	s_delay_alu instid0(VALU_DEP_1)
	v_mov_b64_e32 v[16:17], v[10:11]
	s_and_saveexec_b32 s40, s10
; %bb.15531:                            ;   in Loop: Header=BB6_13467 Depth=2
	v_bfe_u32 v54, v10, 20, 1
	s_delay_alu instid0(VALU_DEP_1) | instskip(NEXT) | instid1(VALU_DEP_1)
	v_add_nc_u64_e32 v[16:17], v[10:11], v[54:55]
	v_add_nc_u64_e32 v[16:17], -1, v[16:17]
; %bb.15532:                            ;   in Loop: Header=BB6_13467 Depth=2
	s_or_b32 exec_lo, exec_lo, s40
	v_add_nc_u32_e32 v8, 0xffffff81, v8
	v_lshrrev_b32_e32 v11, 23, v10
	s_mov_b32 s10, exec_lo
	s_delay_alu instid0(VALU_DEP_2) | instskip(NEXT) | instid1(VALU_DEP_1)
	v_cndmask_b32_e64 v8, v8, 0xffffff82, vcc_lo
	v_add3_u32 v17, v18, v8, v11
	v_and_b32_e32 v8, 0xfffff, v16
	s_delay_alu instid0(VALU_DEP_1) | instskip(NEXT) | instid1(VALU_DEP_1)
	v_dual_add_nc_u32 v16, 6, v17 :: v_dual_add_nc_u32 v54, v8, v10
                                        ; implicit-def: $vgpr10_vgpr11
                                        ; implicit-def: $vgpr8
	v_cmpx_ne_u32_e32 0, v16
	s_xor_b32 s10, exec_lo, s10
; %bb.15533:                            ;   in Loop: Header=BB6_13467 Depth=2
	s_delay_alu instid0(VALU_DEP_2) | instskip(SKIP_2) | instid1(VALU_DEP_2)
	v_cmp_lt_u64_e32 vcc_lo, 0xffffff, v[54:55]
	v_add_nc_u32_e32 v8, 7, v17
	v_cndmask_b32_e64 v10, 0, 1, vcc_lo
	v_cndmask_b32_e32 v8, v16, v8, vcc_lo
	s_delay_alu instid0(VALU_DEP_2)
	v_lshrrev_b64 v[10:11], v10, v[54:55]
; %bb.15534:                            ;   in Loop: Header=BB6_13467 Depth=2
	s_and_not1_saveexec_b32 s10, s10
; %bb.15535:                            ;   in Loop: Header=BB6_13467 Depth=2
	v_mov_b64_e32 v[10:11], v[54:55]
	v_bfe_u32 v8, v54, 23, 1
; %bb.15536:                            ;   in Loop: Header=BB6_13467 Depth=2
	s_or_b32 exec_lo, exec_lo, s10
	s_delay_alu instid0(VALU_DEP_2) | instskip(NEXT) | instid1(VALU_DEP_2)
	v_lshrrev_b64 v[10:11], 20, v[10:11]
	v_cmp_gt_i32_e32 vcc_lo, 16, v8
	v_min_i32_e32 v16, 15, v8
	v_cmp_eq_u32_e64 s10, 0, v8
	s_delay_alu instid0(VALU_DEP_2) | instskip(SKIP_1) | instid1(VALU_DEP_2)
	v_dual_cndmask_b32 v11, 0, v11 :: v_dual_lshlrev_b32 v16, 3, v16
	v_cndmask_b32_e32 v10, 7, v10, vcc_lo
	v_and_b32_e32 v16, 0xf8, v16
	s_delay_alu instid0(VALU_DEP_2) | instskip(NEXT) | instid1(VALU_DEP_2)
	v_cmp_eq_u64_e32 vcc_lo, 0, v[10:11]
	v_and_or_b32 v8, v10, 7, v16
	s_and_b32 s10, s10, vcc_lo
	s_delay_alu instid0(VALU_DEP_1) | instid1(SALU_CYCLE_1)
	v_cndmask_b32_e64 v8, v8, 0, s10
	s_delay_alu instid0(VALU_DEP_1)
	v_or_b32_e32 v8, v8, v9
.LBB6_15537:                            ;   in Loop: Header=BB6_13467 Depth=2
	s_or_b32 exec_lo, exec_lo, s29
                                        ; implicit-def: $vgpr9
.LBB6_15538:                            ;   in Loop: Header=BB6_13467 Depth=2
	s_and_not1_saveexec_b32 s10, s28
; %bb.15539:                            ;   in Loop: Header=BB6_13467 Depth=2
	v_or_b32_e32 v8, 0x7e, v9
; %bb.15540:                            ;   in Loop: Header=BB6_13467 Depth=2
	s_or_b32 exec_lo, exec_lo, s10
                                        ; implicit-def: $vgpr9
.LBB6_15541:                            ;   in Loop: Header=BB6_13467 Depth=2
	s_and_not1_saveexec_b32 s10, s27
; %bb.15542:                            ;   in Loop: Header=BB6_13467 Depth=2
	v_or_b32_e32 v8, 0x7f, v9
; %bb.15543:                            ;   in Loop: Header=BB6_13467 Depth=2
	s_or_b32 exec_lo, exec_lo, s10
	v_and_b32_e32 v10, 0xff, v12
	v_mov_b32_e32 v9, 0
	s_mov_b32 s10, exec_lo
	s_delay_alu instid0(VALU_DEP_2)
	v_cmpx_ne_u16_e32 0, v10
	s_cbranch_execz .LBB6_15549
; %bb.15544:                            ;   in Loop: Header=BB6_13467 Depth=2
	v_bfrev_b32_e32 v9, 1
	s_mov_b32 s27, exec_lo
	v_cmpx_ne_u16_e32 0x80, v10
	s_cbranch_execz .LBB6_15548
; %bb.15545:                            ;   in Loop: Header=BB6_13467 Depth=2
	v_and_b32_e32 v10, 0x7f, v12
	v_mov_b32_e32 v9, 0x7f800001
	s_mov_b32 s28, exec_lo
	s_delay_alu instid0(VALU_DEP_2)
	v_cmpx_ne_u32_e32 0x7f, v10
	s_cbranch_execz .LBB6_15547
; %bb.15546:                            ;   in Loop: Header=BB6_13467 Depth=2
	v_dual_lshrrev_b32 v11, 3, v10 :: v_dual_bitop2_b32 v9, 7, v12 bitop3:0x40
	v_cmp_gt_u32_e32 vcc_lo, 8, v10
	s_delay_alu instid0(VALU_DEP_2) | instskip(NEXT) | instid1(VALU_DEP_1)
	v_clz_i32_u32_e32 v9, v9
	v_min_u32_e32 v9, 32, v9
	s_delay_alu instid0(VALU_DEP_1) | instskip(NEXT) | instid1(VALU_DEP_1)
	v_subrev_nc_u32_e32 v10, 28, v9
	v_dual_cndmask_b32 v10, 0, v10 :: v_dual_sub_nc_u32 v9, 29, v9
	s_delay_alu instid0(VALU_DEP_1) | instskip(NEXT) | instid1(VALU_DEP_2)
	v_cndmask_b32_e32 v9, v11, v9, vcc_lo
	v_lshlrev_b64_e32 v[10:11], v10, v[12:13]
	v_lshlrev_b32_e32 v11, 24, v12
	s_delay_alu instid0(VALU_DEP_1) | instskip(NEXT) | instid1(VALU_DEP_3)
	v_and_b32_e32 v11, 0x80000000, v11
	v_lshlrev_b32_e32 v10, 20, v10
	v_lshl_add_u32 v9, v9, 23, 0x3c000000
	s_delay_alu instid0(VALU_DEP_2) | instskip(NEXT) | instid1(VALU_DEP_1)
	v_and_b32_e32 v10, 0x700000, v10
	v_or3_b32 v9, v10, v11, v9
.LBB6_15547:                            ;   in Loop: Header=BB6_13467 Depth=2
	s_or_b32 exec_lo, exec_lo, s28
.LBB6_15548:                            ;   in Loop: Header=BB6_13467 Depth=2
	s_delay_alu instid0(SALU_CYCLE_1)
	s_or_b32 exec_lo, exec_lo, s27
.LBB6_15549:                            ;   in Loop: Header=BB6_13467 Depth=2
	s_delay_alu instid0(SALU_CYCLE_1) | instskip(NEXT) | instid1(VALU_DEP_1)
	s_or_b32 exec_lo, exec_lo, s10
	v_mul_f32_e32 v10, s26, v9
                                        ; implicit-def: $vgpr9
	s_mov_b32 s10, exec_lo
	s_delay_alu instid0(VALU_DEP_1) | instskip(SKIP_1) | instid1(VALU_DEP_2)
	v_and_b32_e32 v54, 0x7f800000, v10
	v_lshrrev_b32_e32 v11, 24, v10
	v_cmpx_ne_u64_e32 0x7f800000, v[54:55]
	s_xor_b32 s27, exec_lo, s10
	s_cbranch_execz .LBB6_15563
; %bb.15550:                            ;   in Loop: Header=BB6_13467 Depth=2
	v_and_b32_e32 v54, 0x7fffffff, v10
	v_and_b32_e32 v18, 0x80, v11
                                        ; implicit-def: $vgpr9
	s_mov_b32 s10, exec_lo
	s_delay_alu instid0(VALU_DEP_2)
	v_cmpx_gt_u64_e32 0x43e00001, v[54:55]
	s_xor_b32 s28, exec_lo, s10
	s_cbranch_execz .LBB6_15560
; %bb.15551:                            ;   in Loop: Header=BB6_13467 Depth=2
	v_mov_b32_e32 v9, 0
	s_mov_b32 s29, exec_lo
	v_cmpx_ne_u32_e32 0, v10
	s_cbranch_execz .LBB6_15559
; %bb.15552:                            ;   in Loop: Header=BB6_13467 Depth=2
	v_bfe_u32 v9, v10, 23, 8
	v_and_b32_e32 v11, 0x7fffff, v10
	s_delay_alu instid0(VALU_DEP_2) | instskip(SKIP_2) | instid1(VALU_DEP_4)
	v_cmp_gt_u32_e64 s10, 0x7a, v9
	v_sub_nc_u32_e32 v10, 0x79, v9
	v_cmp_eq_u32_e32 vcc_lo, 0, v9
	v_or_b32_e32 v16, 0x800000, v11
	s_delay_alu instid0(VALU_DEP_1) | instskip(NEXT) | instid1(VALU_DEP_1)
	v_dual_cndmask_b32 v10, 0, v10, s10 :: v_dual_cndmask_b32 v54, v16, v11, vcc_lo
	v_cndmask_b32_e64 v19, v10, 0x78, vcc_lo
	s_delay_alu instid0(VALU_DEP_1) | instskip(NEXT) | instid1(VALU_DEP_1)
	v_dual_add_nc_u32 v10, 20, v19 :: v_dual_add_nc_u32 v16, 19, v19
	v_lshlrev_b64_e64 v[10:11], v10, -1
	s_delay_alu instid0(VALU_DEP_2) | instskip(NEXT) | instid1(VALU_DEP_2)
	v_lshlrev_b64_e64 v[16:17], v16, 1
	v_bfi_b32 v11, v11, 0, 0
	s_delay_alu instid0(VALU_DEP_3) | instskip(NEXT) | instid1(VALU_DEP_1)
	v_bfi_b32 v10, v10, 0, v54
	v_cmp_eq_u64_e64 s10, v[10:11], v[16:17]
	v_lshrrev_b64 v[10:11], v19, v[54:55]
	s_delay_alu instid0(VALU_DEP_1)
	v_mov_b64_e32 v[16:17], v[10:11]
	s_and_saveexec_b32 s40, s10
; %bb.15553:                            ;   in Loop: Header=BB6_13467 Depth=2
	v_bfe_u32 v54, v10, 20, 1
	s_delay_alu instid0(VALU_DEP_1) | instskip(NEXT) | instid1(VALU_DEP_1)
	v_add_nc_u64_e32 v[16:17], v[10:11], v[54:55]
	v_add_nc_u64_e32 v[16:17], -1, v[16:17]
; %bb.15554:                            ;   in Loop: Header=BB6_13467 Depth=2
	s_or_b32 exec_lo, exec_lo, s40
	v_add_nc_u32_e32 v9, 0xffffff81, v9
	v_lshrrev_b32_e32 v11, 23, v10
	s_mov_b32 s10, exec_lo
	s_delay_alu instid0(VALU_DEP_2) | instskip(NEXT) | instid1(VALU_DEP_1)
	v_cndmask_b32_e64 v9, v9, 0xffffff82, vcc_lo
	v_add3_u32 v17, v19, v9, v11
	v_and_b32_e32 v9, 0xfffff, v16
	s_delay_alu instid0(VALU_DEP_1) | instskip(NEXT) | instid1(VALU_DEP_1)
	v_dual_add_nc_u32 v16, 6, v17 :: v_dual_add_nc_u32 v54, v9, v10
                                        ; implicit-def: $vgpr10_vgpr11
                                        ; implicit-def: $vgpr9
	v_cmpx_ne_u32_e32 0, v16
	s_xor_b32 s10, exec_lo, s10
; %bb.15555:                            ;   in Loop: Header=BB6_13467 Depth=2
	s_delay_alu instid0(VALU_DEP_2) | instskip(SKIP_2) | instid1(VALU_DEP_2)
	v_cmp_lt_u64_e32 vcc_lo, 0xffffff, v[54:55]
	v_add_nc_u32_e32 v9, 7, v17
	v_cndmask_b32_e64 v10, 0, 1, vcc_lo
	v_cndmask_b32_e32 v9, v16, v9, vcc_lo
	s_delay_alu instid0(VALU_DEP_2)
	v_lshrrev_b64 v[10:11], v10, v[54:55]
; %bb.15556:                            ;   in Loop: Header=BB6_13467 Depth=2
	s_and_not1_saveexec_b32 s10, s10
; %bb.15557:                            ;   in Loop: Header=BB6_13467 Depth=2
	v_mov_b64_e32 v[10:11], v[54:55]
	v_bfe_u32 v9, v54, 23, 1
; %bb.15558:                            ;   in Loop: Header=BB6_13467 Depth=2
	s_or_b32 exec_lo, exec_lo, s10
	s_delay_alu instid0(VALU_DEP_2) | instskip(NEXT) | instid1(VALU_DEP_2)
	v_lshrrev_b64 v[10:11], 20, v[10:11]
	v_cmp_gt_i32_e32 vcc_lo, 16, v9
	v_min_i32_e32 v16, 15, v9
	v_cmp_eq_u32_e64 s10, 0, v9
	s_delay_alu instid0(VALU_DEP_2) | instskip(SKIP_1) | instid1(VALU_DEP_2)
	v_dual_cndmask_b32 v11, 0, v11 :: v_dual_lshlrev_b32 v16, 3, v16
	v_cndmask_b32_e32 v10, 7, v10, vcc_lo
	v_and_b32_e32 v16, 0xf8, v16
	s_delay_alu instid0(VALU_DEP_2) | instskip(NEXT) | instid1(VALU_DEP_2)
	v_cmp_eq_u64_e32 vcc_lo, 0, v[10:11]
	v_and_or_b32 v9, v10, 7, v16
	s_and_b32 s10, s10, vcc_lo
	s_delay_alu instid0(VALU_DEP_1) | instid1(SALU_CYCLE_1)
	v_cndmask_b32_e64 v9, v9, 0, s10
	s_delay_alu instid0(VALU_DEP_1)
	v_or_b32_e32 v9, v9, v18
.LBB6_15559:                            ;   in Loop: Header=BB6_13467 Depth=2
	s_or_b32 exec_lo, exec_lo, s29
                                        ; implicit-def: $vgpr18
.LBB6_15560:                            ;   in Loop: Header=BB6_13467 Depth=2
	s_and_not1_saveexec_b32 s10, s28
; %bb.15561:                            ;   in Loop: Header=BB6_13467 Depth=2
	v_or_b32_e32 v9, 0x7e, v18
; %bb.15562:                            ;   in Loop: Header=BB6_13467 Depth=2
	s_or_b32 exec_lo, exec_lo, s10
                                        ; implicit-def: $vgpr11
.LBB6_15563:                            ;   in Loop: Header=BB6_13467 Depth=2
	s_and_not1_saveexec_b32 s10, s27
; %bb.15564:                            ;   in Loop: Header=BB6_13467 Depth=2
	v_or_b32_e32 v9, 0x7f, v11
; %bb.15565:                            ;   in Loop: Header=BB6_13467 Depth=2
	s_or_b32 exec_lo, exec_lo, s10
	v_lshrrev_b16 v11, 8, v12
	v_mov_b32_e32 v10, 0
	s_mov_b32 s10, exec_lo
	s_delay_alu instid0(VALU_DEP_2)
	v_cmpx_ne_u16_e32 0, v11
	s_cbranch_execz .LBB6_15573
; %bb.15566:                            ;   in Loop: Header=BB6_13467 Depth=2
	v_bfrev_b32_e32 v10, 1
	s_mov_b32 s27, exec_lo
	v_cmpx_ne_u16_e32 0x80, v11
	s_cbranch_execz .LBB6_15572
; %bb.15567:                            ;   in Loop: Header=BB6_13467 Depth=2
	v_and_b32_e32 v16, 0xffff, v11
	v_mov_b32_e32 v10, 0x7f800001
	s_mov_b32 s28, exec_lo
	s_delay_alu instid0(VALU_DEP_2) | instskip(NEXT) | instid1(VALU_DEP_1)
	v_and_b32_e32 v11, 0x7f, v16
	v_cmpx_ne_u32_e32 0x7f, v11
	s_cbranch_execz .LBB6_15571
; %bb.15568:                            ;   in Loop: Header=BB6_13467 Depth=2
	v_dual_lshrrev_b32 v10, 3, v11 :: v_dual_bitop2_b32 v54, 7, v16 bitop3:0x40
	s_mov_b32 s29, exec_lo
	v_cmpx_gt_u32_e32 8, v11
; %bb.15569:                            ;   in Loop: Header=BB6_13467 Depth=2
	s_delay_alu instid0(VALU_DEP_2) | instskip(NEXT) | instid1(VALU_DEP_1)
	v_clz_i32_u32_e32 v10, v54
	v_min_u32_e32 v10, 32, v10
	s_delay_alu instid0(VALU_DEP_1) | instskip(NEXT) | instid1(VALU_DEP_1)
	v_subrev_nc_u32_e32 v11, 28, v10
	v_lshlrev_b64_e32 v[16:17], v11, v[54:55]
	s_delay_alu instid0(VALU_DEP_1)
	v_dual_sub_nc_u32 v10, 29, v10 :: v_dual_bitop2_b32 v54, 7, v16 bitop3:0x40
; %bb.15570:                            ;   in Loop: Header=BB6_13467 Depth=2
	s_or_b32 exec_lo, exec_lo, s29
	s_delay_alu instid0(VALU_DEP_1) | instskip(NEXT) | instid1(VALU_DEP_2)
	v_dual_lshlrev_b32 v11, 16, v12 :: v_dual_lshlrev_b32 v16, 20, v54
	v_lshl_add_u32 v10, v10, 23, 0x3c000000
	s_delay_alu instid0(VALU_DEP_2) | instskip(NEXT) | instid1(VALU_DEP_1)
	v_and_b32_e32 v11, 0x80000000, v11
	v_or3_b32 v10, v16, v11, v10
.LBB6_15571:                            ;   in Loop: Header=BB6_13467 Depth=2
	s_or_b32 exec_lo, exec_lo, s28
.LBB6_15572:                            ;   in Loop: Header=BB6_13467 Depth=2
	s_delay_alu instid0(SALU_CYCLE_1)
	s_or_b32 exec_lo, exec_lo, s27
.LBB6_15573:                            ;   in Loop: Header=BB6_13467 Depth=2
	s_delay_alu instid0(SALU_CYCLE_1) | instskip(NEXT) | instid1(VALU_DEP_1)
	s_or_b32 exec_lo, exec_lo, s10
	v_mul_f32_e32 v10, s26, v10
                                        ; implicit-def: $vgpr66
	s_mov_b32 s10, exec_lo
	s_delay_alu instid0(VALU_DEP_1) | instskip(SKIP_1) | instid1(VALU_DEP_2)
	v_and_b32_e32 v54, 0x7f800000, v10
	v_lshrrev_b32_e32 v11, 24, v10
	v_cmpx_ne_u64_e32 0x7f800000, v[54:55]
	s_xor_b32 s27, exec_lo, s10
	s_cbranch_execz .LBB6_15587
; %bb.15574:                            ;   in Loop: Header=BB6_13467 Depth=2
	v_and_b32_e32 v54, 0x7fffffff, v10
	v_and_b32_e32 v18, 0x80, v11
                                        ; implicit-def: $vgpr66
	s_mov_b32 s10, exec_lo
	s_delay_alu instid0(VALU_DEP_2)
	v_cmpx_gt_u64_e32 0x43e00001, v[54:55]
	s_xor_b32 s28, exec_lo, s10
	s_cbranch_execz .LBB6_15584
; %bb.15575:                            ;   in Loop: Header=BB6_13467 Depth=2
	v_mov_b32_e32 v66, 0
	s_mov_b32 s29, exec_lo
	v_cmpx_ne_u32_e32 0, v10
	s_cbranch_execz .LBB6_15583
; %bb.15576:                            ;   in Loop: Header=BB6_13467 Depth=2
	v_bfe_u32 v19, v10, 23, 8
	v_and_b32_e32 v11, 0x7fffff, v10
	s_delay_alu instid0(VALU_DEP_2) | instskip(SKIP_2) | instid1(VALU_DEP_4)
	v_cmp_gt_u32_e64 s10, 0x7a, v19
	v_sub_nc_u32_e32 v10, 0x79, v19
	v_cmp_eq_u32_e32 vcc_lo, 0, v19
	v_or_b32_e32 v16, 0x800000, v11
	s_delay_alu instid0(VALU_DEP_1) | instskip(NEXT) | instid1(VALU_DEP_1)
	v_dual_cndmask_b32 v10, 0, v10, s10 :: v_dual_cndmask_b32 v54, v16, v11, vcc_lo
	v_cndmask_b32_e64 v30, v10, 0x78, vcc_lo
	s_delay_alu instid0(VALU_DEP_1) | instskip(NEXT) | instid1(VALU_DEP_1)
	v_dual_add_nc_u32 v10, 20, v30 :: v_dual_add_nc_u32 v16, 19, v30
	v_lshlrev_b64_e64 v[10:11], v10, -1
	s_delay_alu instid0(VALU_DEP_2) | instskip(NEXT) | instid1(VALU_DEP_2)
	v_lshlrev_b64_e64 v[16:17], v16, 1
	v_bfi_b32 v11, v11, 0, 0
	s_delay_alu instid0(VALU_DEP_3) | instskip(NEXT) | instid1(VALU_DEP_1)
	v_bfi_b32 v10, v10, 0, v54
	v_cmp_eq_u64_e64 s10, v[10:11], v[16:17]
	v_lshrrev_b64 v[10:11], v30, v[54:55]
	s_delay_alu instid0(VALU_DEP_1)
	v_mov_b64_e32 v[16:17], v[10:11]
	s_and_saveexec_b32 s40, s10
; %bb.15577:                            ;   in Loop: Header=BB6_13467 Depth=2
	v_bfe_u32 v54, v10, 20, 1
	s_delay_alu instid0(VALU_DEP_1) | instskip(NEXT) | instid1(VALU_DEP_1)
	v_add_nc_u64_e32 v[16:17], v[10:11], v[54:55]
	v_add_nc_u64_e32 v[16:17], -1, v[16:17]
; %bb.15578:                            ;   in Loop: Header=BB6_13467 Depth=2
	s_or_b32 exec_lo, exec_lo, s40
	v_add_nc_u32_e32 v11, 0xffffff81, v19
	v_lshrrev_b32_e32 v17, 23, v10
	s_mov_b32 s10, exec_lo
	s_delay_alu instid0(VALU_DEP_2) | instskip(NEXT) | instid1(VALU_DEP_1)
	v_cndmask_b32_e64 v11, v11, 0xffffff82, vcc_lo
	v_add3_u32 v19, v30, v11, v17
	v_and_b32_e32 v11, 0xfffff, v16
                                        ; implicit-def: $vgpr16
	s_delay_alu instid0(VALU_DEP_1) | instskip(NEXT) | instid1(VALU_DEP_1)
	v_dual_add_nc_u32 v17, 6, v19 :: v_dual_add_nc_u32 v54, v11, v10
                                        ; implicit-def: $vgpr10_vgpr11
	v_cmpx_ne_u32_e32 0, v17
	s_xor_b32 s10, exec_lo, s10
; %bb.15579:                            ;   in Loop: Header=BB6_13467 Depth=2
	s_delay_alu instid0(VALU_DEP_2) | instskip(SKIP_1) | instid1(VALU_DEP_1)
	v_cmp_lt_u64_e32 vcc_lo, 0xffffff, v[54:55]
	v_add_nc_u32_e32 v10, 7, v19
	v_cndmask_b32_e32 v16, v17, v10, vcc_lo
	v_cndmask_b32_e64 v10, 0, 1, vcc_lo
	s_delay_alu instid0(VALU_DEP_1)
	v_lshrrev_b64 v[10:11], v10, v[54:55]
; %bb.15580:                            ;   in Loop: Header=BB6_13467 Depth=2
	s_and_not1_saveexec_b32 s10, s10
; %bb.15581:                            ;   in Loop: Header=BB6_13467 Depth=2
	v_mov_b64_e32 v[10:11], v[54:55]
	v_bfe_u32 v16, v54, 23, 1
; %bb.15582:                            ;   in Loop: Header=BB6_13467 Depth=2
	s_or_b32 exec_lo, exec_lo, s10
	s_delay_alu instid0(VALU_DEP_2) | instskip(NEXT) | instid1(VALU_DEP_2)
	v_lshrrev_b64 v[10:11], 20, v[10:11]
	v_cmp_gt_i32_e32 vcc_lo, 16, v16
	v_min_i32_e32 v17, 15, v16
	v_cmp_eq_u32_e64 s10, 0, v16
	s_delay_alu instid0(VALU_DEP_2) | instskip(SKIP_1) | instid1(VALU_DEP_2)
	v_dual_cndmask_b32 v11, 0, v11, vcc_lo :: v_dual_lshlrev_b32 v17, 3, v17
	v_cndmask_b32_e32 v10, 7, v10, vcc_lo
	v_and_b32_e32 v17, 0xf8, v17
	s_delay_alu instid0(VALU_DEP_2) | instskip(NEXT) | instid1(VALU_DEP_2)
	v_cmp_eq_u64_e32 vcc_lo, 0, v[10:11]
	v_and_or_b32 v10, v10, 7, v17
	s_and_b32 s10, s10, vcc_lo
	s_delay_alu instid0(VALU_DEP_1) | instid1(SALU_CYCLE_1)
	v_cndmask_b32_e64 v10, v10, 0, s10
	s_delay_alu instid0(VALU_DEP_1)
	v_or_b32_e32 v66, v10, v18
.LBB6_15583:                            ;   in Loop: Header=BB6_13467 Depth=2
	s_or_b32 exec_lo, exec_lo, s29
                                        ; implicit-def: $vgpr18
.LBB6_15584:                            ;   in Loop: Header=BB6_13467 Depth=2
	s_and_not1_saveexec_b32 s10, s28
; %bb.15585:                            ;   in Loop: Header=BB6_13467 Depth=2
	v_or_b32_e32 v66, 0x7e, v18
; %bb.15586:                            ;   in Loop: Header=BB6_13467 Depth=2
	s_or_b32 exec_lo, exec_lo, s10
                                        ; implicit-def: $vgpr11
.LBB6_15587:                            ;   in Loop: Header=BB6_13467 Depth=2
	s_and_not1_saveexec_b32 s10, s27
; %bb.15588:                            ;   in Loop: Header=BB6_13467 Depth=2
	v_or_b32_e32 v66, 0x7f, v11
; %bb.15589:                            ;   in Loop: Header=BB6_13467 Depth=2
	s_or_b32 exec_lo, exec_lo, s10
	v_dual_mov_b32 v11, 0 :: v_dual_lshrrev_b32 v10, 16, v12
	s_mov_b32 s10, exec_lo
	s_delay_alu instid0(VALU_DEP_1) | instskip(NEXT) | instid1(VALU_DEP_1)
	v_and_b32_e32 v16, 0xff, v10
	v_cmpx_ne_u16_e32 0, v16
	s_cbranch_execz .LBB6_15597
; %bb.15590:                            ;   in Loop: Header=BB6_13467 Depth=2
	v_bfrev_b32_e32 v11, 1
	s_mov_b32 s27, exec_lo
	v_cmpx_ne_u16_e32 0x80, v16
	s_cbranch_execz .LBB6_15596
; %bb.15591:                            ;   in Loop: Header=BB6_13467 Depth=2
	v_bfe_u32 v16, v12, 16, 7
	v_mov_b32_e32 v11, 0x7f800001
	s_mov_b32 s28, exec_lo
	s_delay_alu instid0(VALU_DEP_2)
	v_cmpx_ne_u32_e32 0x7f, v16
	s_cbranch_execz .LBB6_15595
; %bb.15592:                            ;   in Loop: Header=BB6_13467 Depth=2
	v_dual_lshrrev_b32 v11, 3, v16 :: v_dual_bitop2_b32 v54, 7, v10 bitop3:0x40
	s_mov_b32 s29, exec_lo
	v_cmpx_gt_u32_e32 8, v16
; %bb.15593:                            ;   in Loop: Header=BB6_13467 Depth=2
	s_delay_alu instid0(VALU_DEP_2) | instskip(NEXT) | instid1(VALU_DEP_1)
	v_clz_i32_u32_e32 v11, v54
	v_min_u32_e32 v11, 32, v11
	s_delay_alu instid0(VALU_DEP_1) | instskip(NEXT) | instid1(VALU_DEP_1)
	v_subrev_nc_u32_e32 v16, 28, v11
	v_lshlrev_b64_e32 v[16:17], v16, v[54:55]
	s_delay_alu instid0(VALU_DEP_1)
	v_dual_sub_nc_u32 v11, 29, v11 :: v_dual_bitop2_b32 v54, 7, v16 bitop3:0x40
; %bb.15594:                            ;   in Loop: Header=BB6_13467 Depth=2
	s_or_b32 exec_lo, exec_lo, s29
	v_lshlrev_b32_e32 v10, 24, v10
	s_delay_alu instid0(VALU_DEP_2) | instskip(NEXT) | instid1(VALU_DEP_3)
	v_lshlrev_b32_e32 v16, 20, v54
	v_lshl_add_u32 v11, v11, 23, 0x3c000000
	s_delay_alu instid0(VALU_DEP_3) | instskip(NEXT) | instid1(VALU_DEP_1)
	v_and_b32_e32 v10, 0x80000000, v10
	v_or3_b32 v11, v16, v10, v11
.LBB6_15595:                            ;   in Loop: Header=BB6_13467 Depth=2
	s_or_b32 exec_lo, exec_lo, s28
.LBB6_15596:                            ;   in Loop: Header=BB6_13467 Depth=2
	s_delay_alu instid0(SALU_CYCLE_1)
	s_or_b32 exec_lo, exec_lo, s27
.LBB6_15597:                            ;   in Loop: Header=BB6_13467 Depth=2
	s_delay_alu instid0(SALU_CYCLE_1) | instskip(NEXT) | instid1(VALU_DEP_1)
	s_or_b32 exec_lo, exec_lo, s10
	v_mul_f32_e32 v10, s26, v11
                                        ; implicit-def: $vgpr67
	s_mov_b32 s10, exec_lo
	s_delay_alu instid0(VALU_DEP_1) | instskip(SKIP_1) | instid1(VALU_DEP_2)
	v_and_b32_e32 v54, 0x7f800000, v10
	v_lshrrev_b32_e32 v11, 24, v10
	v_cmpx_ne_u64_e32 0x7f800000, v[54:55]
	s_xor_b32 s27, exec_lo, s10
	s_cbranch_execz .LBB6_15611
; %bb.15598:                            ;   in Loop: Header=BB6_13467 Depth=2
	v_and_b32_e32 v54, 0x7fffffff, v10
	v_and_b32_e32 v18, 0x80, v11
                                        ; implicit-def: $vgpr67
	s_mov_b32 s10, exec_lo
	s_delay_alu instid0(VALU_DEP_2)
	v_cmpx_gt_u64_e32 0x43e00001, v[54:55]
	s_xor_b32 s28, exec_lo, s10
	s_cbranch_execz .LBB6_15608
; %bb.15599:                            ;   in Loop: Header=BB6_13467 Depth=2
	v_mov_b32_e32 v67, 0
	s_mov_b32 s29, exec_lo
	v_cmpx_ne_u32_e32 0, v10
	s_cbranch_execz .LBB6_15607
; %bb.15600:                            ;   in Loop: Header=BB6_13467 Depth=2
	v_bfe_u32 v19, v10, 23, 8
	v_and_b32_e32 v11, 0x7fffff, v10
	s_delay_alu instid0(VALU_DEP_2) | instskip(SKIP_2) | instid1(VALU_DEP_4)
	v_cmp_gt_u32_e64 s10, 0x7a, v19
	v_sub_nc_u32_e32 v10, 0x79, v19
	v_cmp_eq_u32_e32 vcc_lo, 0, v19
	v_or_b32_e32 v16, 0x800000, v11
	s_delay_alu instid0(VALU_DEP_1) | instskip(NEXT) | instid1(VALU_DEP_1)
	v_dual_cndmask_b32 v10, 0, v10, s10 :: v_dual_cndmask_b32 v54, v16, v11, vcc_lo
	v_cndmask_b32_e64 v30, v10, 0x78, vcc_lo
	s_delay_alu instid0(VALU_DEP_1) | instskip(NEXT) | instid1(VALU_DEP_1)
	v_dual_add_nc_u32 v10, 20, v30 :: v_dual_add_nc_u32 v16, 19, v30
	v_lshlrev_b64_e64 v[10:11], v10, -1
	s_delay_alu instid0(VALU_DEP_2) | instskip(NEXT) | instid1(VALU_DEP_2)
	v_lshlrev_b64_e64 v[16:17], v16, 1
	v_bfi_b32 v11, v11, 0, 0
	s_delay_alu instid0(VALU_DEP_3) | instskip(NEXT) | instid1(VALU_DEP_1)
	v_bfi_b32 v10, v10, 0, v54
	v_cmp_eq_u64_e64 s10, v[10:11], v[16:17]
	v_lshrrev_b64 v[10:11], v30, v[54:55]
	s_delay_alu instid0(VALU_DEP_1)
	v_mov_b64_e32 v[16:17], v[10:11]
	s_and_saveexec_b32 s40, s10
; %bb.15601:                            ;   in Loop: Header=BB6_13467 Depth=2
	v_bfe_u32 v54, v10, 20, 1
	s_delay_alu instid0(VALU_DEP_1) | instskip(NEXT) | instid1(VALU_DEP_1)
	v_add_nc_u64_e32 v[16:17], v[10:11], v[54:55]
	v_add_nc_u64_e32 v[16:17], -1, v[16:17]
; %bb.15602:                            ;   in Loop: Header=BB6_13467 Depth=2
	s_or_b32 exec_lo, exec_lo, s40
	v_add_nc_u32_e32 v11, 0xffffff81, v19
	v_lshrrev_b32_e32 v17, 23, v10
	s_mov_b32 s10, exec_lo
	s_delay_alu instid0(VALU_DEP_2) | instskip(NEXT) | instid1(VALU_DEP_1)
	v_cndmask_b32_e64 v11, v11, 0xffffff82, vcc_lo
	v_add3_u32 v19, v30, v11, v17
	v_and_b32_e32 v11, 0xfffff, v16
                                        ; implicit-def: $vgpr16
	s_delay_alu instid0(VALU_DEP_1) | instskip(NEXT) | instid1(VALU_DEP_1)
	v_dual_add_nc_u32 v17, 6, v19 :: v_dual_add_nc_u32 v54, v11, v10
                                        ; implicit-def: $vgpr10_vgpr11
	v_cmpx_ne_u32_e32 0, v17
	s_xor_b32 s10, exec_lo, s10
; %bb.15603:                            ;   in Loop: Header=BB6_13467 Depth=2
	s_delay_alu instid0(VALU_DEP_2) | instskip(SKIP_1) | instid1(VALU_DEP_1)
	v_cmp_lt_u64_e32 vcc_lo, 0xffffff, v[54:55]
	v_add_nc_u32_e32 v10, 7, v19
	v_cndmask_b32_e32 v16, v17, v10, vcc_lo
	v_cndmask_b32_e64 v10, 0, 1, vcc_lo
	s_delay_alu instid0(VALU_DEP_1)
	v_lshrrev_b64 v[10:11], v10, v[54:55]
; %bb.15604:                            ;   in Loop: Header=BB6_13467 Depth=2
	s_and_not1_saveexec_b32 s10, s10
; %bb.15605:                            ;   in Loop: Header=BB6_13467 Depth=2
	v_mov_b64_e32 v[10:11], v[54:55]
	v_bfe_u32 v16, v54, 23, 1
; %bb.15606:                            ;   in Loop: Header=BB6_13467 Depth=2
	s_or_b32 exec_lo, exec_lo, s10
	s_delay_alu instid0(VALU_DEP_2) | instskip(NEXT) | instid1(VALU_DEP_2)
	v_lshrrev_b64 v[10:11], 20, v[10:11]
	v_cmp_gt_i32_e32 vcc_lo, 16, v16
	v_min_i32_e32 v17, 15, v16
	v_cmp_eq_u32_e64 s10, 0, v16
	s_delay_alu instid0(VALU_DEP_2) | instskip(SKIP_1) | instid1(VALU_DEP_2)
	v_dual_cndmask_b32 v11, 0, v11, vcc_lo :: v_dual_lshlrev_b32 v17, 3, v17
	v_cndmask_b32_e32 v10, 7, v10, vcc_lo
	v_and_b32_e32 v17, 0xf8, v17
	s_delay_alu instid0(VALU_DEP_2) | instskip(NEXT) | instid1(VALU_DEP_2)
	v_cmp_eq_u64_e32 vcc_lo, 0, v[10:11]
	v_and_or_b32 v10, v10, 7, v17
	s_and_b32 s10, s10, vcc_lo
	s_delay_alu instid0(VALU_DEP_1) | instid1(SALU_CYCLE_1)
	v_cndmask_b32_e64 v10, v10, 0, s10
	s_delay_alu instid0(VALU_DEP_1)
	v_or_b32_e32 v67, v10, v18
.LBB6_15607:                            ;   in Loop: Header=BB6_13467 Depth=2
	s_or_b32 exec_lo, exec_lo, s29
                                        ; implicit-def: $vgpr18
.LBB6_15608:                            ;   in Loop: Header=BB6_13467 Depth=2
	s_and_not1_saveexec_b32 s10, s28
; %bb.15609:                            ;   in Loop: Header=BB6_13467 Depth=2
	v_or_b32_e32 v67, 0x7e, v18
; %bb.15610:                            ;   in Loop: Header=BB6_13467 Depth=2
	s_or_b32 exec_lo, exec_lo, s10
                                        ; implicit-def: $vgpr11
.LBB6_15611:                            ;   in Loop: Header=BB6_13467 Depth=2
	s_and_not1_saveexec_b32 s10, s27
; %bb.15612:                            ;   in Loop: Header=BB6_13467 Depth=2
	v_or_b32_e32 v67, 0x7f, v11
; %bb.15613:                            ;   in Loop: Header=BB6_13467 Depth=2
	s_or_b32 exec_lo, exec_lo, s10
	v_mov_b32_e32 v11, 0
	s_mov_b32 s10, exec_lo
	v_cmpx_lt_u32_e32 0xffffff, v12
	s_cbranch_execz .LBB6_15621
; %bb.15614:                            ;   in Loop: Header=BB6_13467 Depth=2
	v_lshrrev_b32_e32 v10, 24, v12
	v_bfrev_b32_e32 v11, 1
	s_mov_b32 s27, exec_lo
	s_delay_alu instid0(VALU_DEP_2)
	v_cmpx_ne_u32_e32 0x80, v10
	s_cbranch_execz .LBB6_15620
; %bb.15615:                            ;   in Loop: Header=BB6_13467 Depth=2
	v_bfe_u32 v16, v12, 24, 7
	v_mov_b32_e32 v11, 0x7f800001
	s_mov_b32 s28, exec_lo
	s_delay_alu instid0(VALU_DEP_2)
	v_cmpx_ne_u32_e32 0x7f, v16
	s_cbranch_execz .LBB6_15619
; %bb.15616:                            ;   in Loop: Header=BB6_13467 Depth=2
	v_dual_lshrrev_b32 v11, 3, v16 :: v_dual_bitop2_b32 v54, 7, v10 bitop3:0x40
	s_mov_b32 s29, exec_lo
	v_cmpx_gt_u32_e32 8, v16
; %bb.15617:                            ;   in Loop: Header=BB6_13467 Depth=2
	s_delay_alu instid0(VALU_DEP_2) | instskip(NEXT) | instid1(VALU_DEP_1)
	v_clz_i32_u32_e32 v11, v54
	v_min_u32_e32 v11, 32, v11
	s_delay_alu instid0(VALU_DEP_1) | instskip(NEXT) | instid1(VALU_DEP_1)
	v_subrev_nc_u32_e32 v16, 28, v11
	v_lshlrev_b64_e32 v[16:17], v16, v[54:55]
	s_delay_alu instid0(VALU_DEP_1)
	v_dual_sub_nc_u32 v11, 29, v11 :: v_dual_bitop2_b32 v54, 7, v16 bitop3:0x40
; %bb.15618:                            ;   in Loop: Header=BB6_13467 Depth=2
	s_or_b32 exec_lo, exec_lo, s29
	v_lshlrev_b32_e32 v10, 24, v10
	s_delay_alu instid0(VALU_DEP_2) | instskip(NEXT) | instid1(VALU_DEP_3)
	v_lshlrev_b32_e32 v16, 20, v54
	v_lshl_add_u32 v11, v11, 23, 0x3c000000
	s_delay_alu instid0(VALU_DEP_3) | instskip(NEXT) | instid1(VALU_DEP_1)
	v_and_b32_e32 v10, 0x80000000, v10
	v_or3_b32 v11, v16, v10, v11
.LBB6_15619:                            ;   in Loop: Header=BB6_13467 Depth=2
	s_or_b32 exec_lo, exec_lo, s28
.LBB6_15620:                            ;   in Loop: Header=BB6_13467 Depth=2
	s_delay_alu instid0(SALU_CYCLE_1)
	s_or_b32 exec_lo, exec_lo, s27
.LBB6_15621:                            ;   in Loop: Header=BB6_13467 Depth=2
	s_delay_alu instid0(SALU_CYCLE_1) | instskip(NEXT) | instid1(VALU_DEP_1)
	s_or_b32 exec_lo, exec_lo, s10
	v_mul_f32_e32 v10, s26, v11
                                        ; implicit-def: $vgpr82
	s_mov_b32 s10, exec_lo
	s_delay_alu instid0(VALU_DEP_1) | instskip(SKIP_1) | instid1(VALU_DEP_2)
	v_and_b32_e32 v54, 0x7f800000, v10
	v_lshrrev_b32_e32 v11, 24, v10
	v_cmpx_ne_u64_e32 0x7f800000, v[54:55]
	s_xor_b32 s27, exec_lo, s10
	s_cbranch_execz .LBB6_15635
; %bb.15622:                            ;   in Loop: Header=BB6_13467 Depth=2
	v_and_b32_e32 v54, 0x7fffffff, v10
	v_and_b32_e32 v18, 0x80, v11
                                        ; implicit-def: $vgpr82
	s_mov_b32 s10, exec_lo
	s_delay_alu instid0(VALU_DEP_2)
	v_cmpx_gt_u64_e32 0x43e00001, v[54:55]
	s_xor_b32 s28, exec_lo, s10
	s_cbranch_execz .LBB6_15632
; %bb.15623:                            ;   in Loop: Header=BB6_13467 Depth=2
	v_mov_b32_e32 v82, 0
	s_mov_b32 s29, exec_lo
	v_cmpx_ne_u32_e32 0, v10
	s_cbranch_execz .LBB6_15631
; %bb.15624:                            ;   in Loop: Header=BB6_13467 Depth=2
	v_bfe_u32 v19, v10, 23, 8
	v_and_b32_e32 v11, 0x7fffff, v10
	s_delay_alu instid0(VALU_DEP_2) | instskip(SKIP_2) | instid1(VALU_DEP_4)
	v_cmp_gt_u32_e64 s10, 0x7a, v19
	v_sub_nc_u32_e32 v10, 0x79, v19
	v_cmp_eq_u32_e32 vcc_lo, 0, v19
	v_or_b32_e32 v16, 0x800000, v11
	s_delay_alu instid0(VALU_DEP_1) | instskip(NEXT) | instid1(VALU_DEP_1)
	v_dual_cndmask_b32 v10, 0, v10, s10 :: v_dual_cndmask_b32 v54, v16, v11, vcc_lo
	v_cndmask_b32_e64 v30, v10, 0x78, vcc_lo
	s_delay_alu instid0(VALU_DEP_1) | instskip(NEXT) | instid1(VALU_DEP_1)
	v_dual_add_nc_u32 v10, 20, v30 :: v_dual_add_nc_u32 v16, 19, v30
	v_lshlrev_b64_e64 v[10:11], v10, -1
	s_delay_alu instid0(VALU_DEP_2) | instskip(NEXT) | instid1(VALU_DEP_2)
	v_lshlrev_b64_e64 v[16:17], v16, 1
	v_bfi_b32 v11, v11, 0, 0
	s_delay_alu instid0(VALU_DEP_3) | instskip(NEXT) | instid1(VALU_DEP_1)
	v_bfi_b32 v10, v10, 0, v54
	v_cmp_eq_u64_e64 s10, v[10:11], v[16:17]
	v_lshrrev_b64 v[10:11], v30, v[54:55]
	s_delay_alu instid0(VALU_DEP_1)
	v_mov_b64_e32 v[16:17], v[10:11]
	s_and_saveexec_b32 s40, s10
; %bb.15625:                            ;   in Loop: Header=BB6_13467 Depth=2
	v_bfe_u32 v54, v10, 20, 1
	s_delay_alu instid0(VALU_DEP_1) | instskip(NEXT) | instid1(VALU_DEP_1)
	v_add_nc_u64_e32 v[16:17], v[10:11], v[54:55]
	v_add_nc_u64_e32 v[16:17], -1, v[16:17]
; %bb.15626:                            ;   in Loop: Header=BB6_13467 Depth=2
	s_or_b32 exec_lo, exec_lo, s40
	v_add_nc_u32_e32 v11, 0xffffff81, v19
	v_lshrrev_b32_e32 v17, 23, v10
	s_mov_b32 s10, exec_lo
	s_delay_alu instid0(VALU_DEP_2) | instskip(NEXT) | instid1(VALU_DEP_1)
	v_cndmask_b32_e64 v11, v11, 0xffffff82, vcc_lo
	v_add3_u32 v19, v30, v11, v17
	v_and_b32_e32 v11, 0xfffff, v16
                                        ; implicit-def: $vgpr16
	s_delay_alu instid0(VALU_DEP_1) | instskip(NEXT) | instid1(VALU_DEP_1)
	v_dual_add_nc_u32 v17, 6, v19 :: v_dual_add_nc_u32 v54, v11, v10
                                        ; implicit-def: $vgpr10_vgpr11
	v_cmpx_ne_u32_e32 0, v17
	s_xor_b32 s10, exec_lo, s10
; %bb.15627:                            ;   in Loop: Header=BB6_13467 Depth=2
	s_delay_alu instid0(VALU_DEP_2) | instskip(SKIP_1) | instid1(VALU_DEP_1)
	v_cmp_lt_u64_e32 vcc_lo, 0xffffff, v[54:55]
	v_add_nc_u32_e32 v10, 7, v19
	v_cndmask_b32_e32 v16, v17, v10, vcc_lo
	v_cndmask_b32_e64 v10, 0, 1, vcc_lo
	s_delay_alu instid0(VALU_DEP_1)
	v_lshrrev_b64 v[10:11], v10, v[54:55]
; %bb.15628:                            ;   in Loop: Header=BB6_13467 Depth=2
	s_and_not1_saveexec_b32 s10, s10
; %bb.15629:                            ;   in Loop: Header=BB6_13467 Depth=2
	v_mov_b64_e32 v[10:11], v[54:55]
	v_bfe_u32 v16, v54, 23, 1
; %bb.15630:                            ;   in Loop: Header=BB6_13467 Depth=2
	s_or_b32 exec_lo, exec_lo, s10
	s_delay_alu instid0(VALU_DEP_2) | instskip(NEXT) | instid1(VALU_DEP_2)
	v_lshrrev_b64 v[10:11], 20, v[10:11]
	v_cmp_gt_i32_e32 vcc_lo, 16, v16
	v_min_i32_e32 v17, 15, v16
	v_cmp_eq_u32_e64 s10, 0, v16
	s_delay_alu instid0(VALU_DEP_2) | instskip(SKIP_1) | instid1(VALU_DEP_2)
	v_dual_cndmask_b32 v11, 0, v11, vcc_lo :: v_dual_lshlrev_b32 v17, 3, v17
	v_cndmask_b32_e32 v10, 7, v10, vcc_lo
	v_and_b32_e32 v17, 0xf8, v17
	s_delay_alu instid0(VALU_DEP_2) | instskip(NEXT) | instid1(VALU_DEP_2)
	v_cmp_eq_u64_e32 vcc_lo, 0, v[10:11]
	v_and_or_b32 v10, v10, 7, v17
	s_and_b32 s10, s10, vcc_lo
	s_delay_alu instid0(VALU_DEP_1) | instid1(SALU_CYCLE_1)
	v_cndmask_b32_e64 v10, v10, 0, s10
	s_delay_alu instid0(VALU_DEP_1)
	v_or_b32_e32 v82, v10, v18
.LBB6_15631:                            ;   in Loop: Header=BB6_13467 Depth=2
	s_or_b32 exec_lo, exec_lo, s29
                                        ; implicit-def: $vgpr18
.LBB6_15632:                            ;   in Loop: Header=BB6_13467 Depth=2
	s_and_not1_saveexec_b32 s10, s28
; %bb.15633:                            ;   in Loop: Header=BB6_13467 Depth=2
	v_or_b32_e32 v82, 0x7e, v18
; %bb.15634:                            ;   in Loop: Header=BB6_13467 Depth=2
	s_or_b32 exec_lo, exec_lo, s10
                                        ; implicit-def: $vgpr11
.LBB6_15635:                            ;   in Loop: Header=BB6_13467 Depth=2
	s_and_not1_saveexec_b32 s10, s27
; %bb.15636:                            ;   in Loop: Header=BB6_13467 Depth=2
	v_or_b32_e32 v82, 0x7f, v11
; %bb.15637:                            ;   in Loop: Header=BB6_13467 Depth=2
	s_or_b32 exec_lo, exec_lo, s10
	v_and_b32_e32 v11, 0xff, v13
	v_dual_mov_b32 v54, v13 :: v_dual_mov_b32 v10, 0
	s_mov_b32 s10, exec_lo
	s_delay_alu instid0(VALU_DEP_2)
	v_cmpx_ne_u16_e32 0, v11
	s_cbranch_execz .LBB6_15643
; %bb.15638:                            ;   in Loop: Header=BB6_13467 Depth=2
	v_bfrev_b32_e32 v10, 1
	s_mov_b32 s27, exec_lo
	v_cmpx_ne_u16_e32 0x80, v11
	s_cbranch_execz .LBB6_15642
; %bb.15639:                            ;   in Loop: Header=BB6_13467 Depth=2
	v_and_b32_e32 v11, 0x7f, v13
	v_mov_b32_e32 v10, 0x7f800001
	s_mov_b32 s28, exec_lo
	s_delay_alu instid0(VALU_DEP_2)
	v_cmpx_ne_u32_e32 0x7f, v11
	s_cbranch_execz .LBB6_15641
; %bb.15640:                            ;   in Loop: Header=BB6_13467 Depth=2
	v_dual_lshrrev_b32 v16, 3, v11 :: v_dual_bitop2_b32 v10, 7, v13 bitop3:0x40
	v_cmp_gt_u32_e32 vcc_lo, 8, v11
	s_delay_alu instid0(VALU_DEP_2) | instskip(NEXT) | instid1(VALU_DEP_1)
	v_clz_i32_u32_e32 v10, v10
	v_min_u32_e32 v10, 32, v10
	s_delay_alu instid0(VALU_DEP_1) | instskip(SKIP_1) | instid1(VALU_DEP_1)
	v_subrev_nc_u32_e32 v11, 28, v10
	v_sub_nc_u32_e32 v10, 29, v10
	v_dual_cndmask_b32 v16, v16, v10, vcc_lo :: v_dual_cndmask_b32 v10, 0, v11, vcc_lo
	s_delay_alu instid0(VALU_DEP_1) | instskip(NEXT) | instid1(VALU_DEP_2)
	v_lshl_add_u32 v16, v16, 23, 0x3c000000
	v_lshlrev_b64_e32 v[10:11], v10, v[54:55]
	v_lshlrev_b32_e32 v11, 24, v54
	s_delay_alu instid0(VALU_DEP_1) | instskip(NEXT) | instid1(VALU_DEP_3)
	v_and_b32_e32 v11, 0x80000000, v11
	v_lshlrev_b32_e32 v10, 20, v10
	s_delay_alu instid0(VALU_DEP_1) | instskip(NEXT) | instid1(VALU_DEP_1)
	v_and_b32_e32 v10, 0x700000, v10
	v_or3_b32 v10, v10, v11, v16
.LBB6_15641:                            ;   in Loop: Header=BB6_13467 Depth=2
	s_or_b32 exec_lo, exec_lo, s28
.LBB6_15642:                            ;   in Loop: Header=BB6_13467 Depth=2
	s_delay_alu instid0(SALU_CYCLE_1)
	s_or_b32 exec_lo, exec_lo, s27
.LBB6_15643:                            ;   in Loop: Header=BB6_13467 Depth=2
	s_delay_alu instid0(SALU_CYCLE_1) | instskip(NEXT) | instid1(VALU_DEP_1)
	s_or_b32 exec_lo, exec_lo, s10
	v_dual_mul_f32 v10, s26, v10 :: v_dual_mov_b32 v17, v55
                                        ; implicit-def: $vgpr83
	s_mov_b32 s10, exec_lo
	s_delay_alu instid0(VALU_DEP_1) | instskip(SKIP_1) | instid1(VALU_DEP_2)
	v_and_b32_e32 v16, 0x7f800000, v10
	v_lshrrev_b32_e32 v11, 24, v10
	v_cmpx_ne_u64_e32 0x7f800000, v[16:17]
	s_xor_b32 s27, exec_lo, s10
	s_cbranch_execz .LBB6_15657
; %bb.15644:                            ;   in Loop: Header=BB6_13467 Depth=2
	v_and_b32_e32 v16, 0x7fffffff, v10
	v_mov_b32_e32 v17, v55
	v_and_b32_e32 v18, 0x80, v11
                                        ; implicit-def: $vgpr83
	s_mov_b32 s10, exec_lo
	s_delay_alu instid0(VALU_DEP_2)
	v_cmpx_gt_u64_e32 0x43e00001, v[16:17]
	s_xor_b32 s28, exec_lo, s10
	s_cbranch_execz .LBB6_15654
; %bb.15645:                            ;   in Loop: Header=BB6_13467 Depth=2
	v_mov_b32_e32 v83, 0
	s_mov_b32 s29, exec_lo
	v_cmpx_ne_u32_e32 0, v10
	s_cbranch_execz .LBB6_15653
; %bb.15646:                            ;   in Loop: Header=BB6_13467 Depth=2
	v_bfe_u32 v19, v10, 23, 8
	v_and_b32_e32 v11, 0x7fffff, v10
	s_delay_alu instid0(VALU_DEP_2) | instskip(SKIP_2) | instid1(VALU_DEP_4)
	v_cmp_gt_u32_e64 s10, 0x7a, v19
	v_sub_nc_u32_e32 v10, 0x79, v19
	v_cmp_eq_u32_e32 vcc_lo, 0, v19
	v_or_b32_e32 v16, 0x800000, v11
	s_delay_alu instid0(VALU_DEP_3) | instskip(NEXT) | instid1(VALU_DEP_1)
	v_cndmask_b32_e64 v10, 0, v10, s10
	v_cndmask_b32_e64 v30, v10, 0x78, vcc_lo
	s_delay_alu instid0(VALU_DEP_3) | instskip(NEXT) | instid1(VALU_DEP_2)
	v_dual_cndmask_b32 v10, v16, v11 :: v_dual_mov_b32 v11, v55
	v_dual_add_nc_u32 v16, 20, v30 :: v_dual_add_nc_u32 v64, 19, v30
	s_delay_alu instid0(VALU_DEP_1) | instskip(NEXT) | instid1(VALU_DEP_2)
	v_lshlrev_b64_e64 v[16:17], v16, -1
	v_lshlrev_b64_e64 v[64:65], v64, 1
	s_delay_alu instid0(VALU_DEP_2) | instskip(SKIP_1) | instid1(VALU_DEP_4)
	v_bfi_b32 v16, v16, 0, v10
	v_lshrrev_b64 v[10:11], v30, v[10:11]
	v_bfi_b32 v17, v17, 0, 0
	s_delay_alu instid0(VALU_DEP_1) | instskip(NEXT) | instid1(VALU_DEP_3)
	v_cmp_eq_u64_e64 s10, v[16:17], v[64:65]
	v_mov_b64_e32 v[16:17], v[10:11]
	s_and_saveexec_b32 s40, s10
; %bb.15647:                            ;   in Loop: Header=BB6_13467 Depth=2
	v_bfe_u32 v16, v10, 20, 1
	v_mov_b32_e32 v17, v55
	s_delay_alu instid0(VALU_DEP_1) | instskip(NEXT) | instid1(VALU_DEP_1)
	v_add_nc_u64_e32 v[16:17], v[10:11], v[16:17]
	v_add_nc_u64_e32 v[16:17], -1, v[16:17]
; %bb.15648:                            ;   in Loop: Header=BB6_13467 Depth=2
	s_or_b32 exec_lo, exec_lo, s40
	v_add_nc_u32_e32 v11, 0xffffff81, v19
	v_lshrrev_b32_e32 v17, 23, v10
	s_mov_b32 s10, exec_lo
	s_delay_alu instid0(VALU_DEP_2) | instskip(NEXT) | instid1(VALU_DEP_1)
	v_cndmask_b32_e64 v11, v11, 0xffffff82, vcc_lo
	v_add3_u32 v19, v30, v11, v17
	v_and_b32_e32 v11, 0xfffff, v16
                                        ; implicit-def: $vgpr16
	s_delay_alu instid0(VALU_DEP_1) | instskip(SKIP_1) | instid1(VALU_DEP_2)
	v_dual_add_nc_u32 v17, 6, v19 :: v_dual_add_nc_u32 v10, v11, v10
	v_mov_b32_e32 v11, v55
	v_cmpx_ne_u32_e32 0, v17
	s_xor_b32 s10, exec_lo, s10
; %bb.15649:                            ;   in Loop: Header=BB6_13467 Depth=2
	s_delay_alu instid0(VALU_DEP_2) | instskip(SKIP_1) | instid1(VALU_DEP_1)
	v_cmp_lt_u64_e32 vcc_lo, 0xffffff, v[10:11]
	v_add_nc_u32_e32 v16, 7, v19
	v_cndmask_b32_e32 v16, v17, v16, vcc_lo
	v_cndmask_b32_e64 v17, 0, 1, vcc_lo
	s_delay_alu instid0(VALU_DEP_1)
	v_lshrrev_b64 v[10:11], v17, v[10:11]
; %bb.15650:                            ;   in Loop: Header=BB6_13467 Depth=2
	s_and_not1_saveexec_b32 s10, s10
; %bb.15651:                            ;   in Loop: Header=BB6_13467 Depth=2
	s_delay_alu instid0(VALU_DEP_1)
	v_bfe_u32 v16, v10, 23, 1
; %bb.15652:                            ;   in Loop: Header=BB6_13467 Depth=2
	s_or_b32 exec_lo, exec_lo, s10
	s_delay_alu instid0(VALU_DEP_2) | instskip(NEXT) | instid1(VALU_DEP_2)
	v_lshrrev_b64 v[10:11], 20, v[10:11]
	v_cmp_gt_i32_e32 vcc_lo, 16, v16
	v_min_i32_e32 v17, 15, v16
	v_cmp_eq_u32_e64 s10, 0, v16
	s_delay_alu instid0(VALU_DEP_2) | instskip(SKIP_1) | instid1(VALU_DEP_2)
	v_dual_cndmask_b32 v11, 0, v11, vcc_lo :: v_dual_lshlrev_b32 v17, 3, v17
	v_cndmask_b32_e32 v10, 7, v10, vcc_lo
	v_and_b32_e32 v17, 0xf8, v17
	s_delay_alu instid0(VALU_DEP_2) | instskip(NEXT) | instid1(VALU_DEP_2)
	v_cmp_eq_u64_e32 vcc_lo, 0, v[10:11]
	v_and_or_b32 v10, v10, 7, v17
	s_and_b32 s10, s10, vcc_lo
	s_delay_alu instid0(VALU_DEP_1) | instid1(SALU_CYCLE_1)
	v_cndmask_b32_e64 v10, v10, 0, s10
	s_delay_alu instid0(VALU_DEP_1)
	v_or_b32_e32 v83, v10, v18
.LBB6_15653:                            ;   in Loop: Header=BB6_13467 Depth=2
	s_or_b32 exec_lo, exec_lo, s29
                                        ; implicit-def: $vgpr18
.LBB6_15654:                            ;   in Loop: Header=BB6_13467 Depth=2
	s_and_not1_saveexec_b32 s10, s28
; %bb.15655:                            ;   in Loop: Header=BB6_13467 Depth=2
	v_or_b32_e32 v83, 0x7e, v18
; %bb.15656:                            ;   in Loop: Header=BB6_13467 Depth=2
	s_or_b32 exec_lo, exec_lo, s10
                                        ; implicit-def: $vgpr11
.LBB6_15657:                            ;   in Loop: Header=BB6_13467 Depth=2
	s_and_not1_saveexec_b32 s10, s27
; %bb.15658:                            ;   in Loop: Header=BB6_13467 Depth=2
	v_or_b32_e32 v83, 0x7f, v11
; %bb.15659:                            ;   in Loop: Header=BB6_13467 Depth=2
	s_or_b32 exec_lo, exec_lo, s10
	v_lshrrev_b16 v11, 8, v54
	v_mov_b32_e32 v10, 0
	s_mov_b32 s10, exec_lo
	s_delay_alu instid0(VALU_DEP_2)
	v_cmpx_ne_u16_e32 0, v11
	s_cbranch_execz .LBB6_15667
; %bb.15660:                            ;   in Loop: Header=BB6_13467 Depth=2
	v_bfrev_b32_e32 v10, 1
	s_mov_b32 s27, exec_lo
	v_cmpx_ne_u16_e32 0x80, v11
	s_cbranch_execz .LBB6_15666
; %bb.15661:                            ;   in Loop: Header=BB6_13467 Depth=2
	v_and_b32_e32 v11, 0xffff, v11
	v_mov_b32_e32 v10, 0x7f800001
	s_mov_b32 s28, exec_lo
	s_delay_alu instid0(VALU_DEP_2) | instskip(NEXT) | instid1(VALU_DEP_1)
	v_and_b32_e32 v17, 0x7f, v11
	v_cmpx_ne_u32_e32 0x7f, v17
	s_cbranch_execz .LBB6_15665
; %bb.15662:                            ;   in Loop: Header=BB6_13467 Depth=2
	v_dual_mov_b32 v11, v55 :: v_dual_bitop2_b32 v10, 7, v11 bitop3:0x40
	v_lshrrev_b32_e32 v16, 3, v17
	s_mov_b32 s29, exec_lo
	v_cmpx_gt_u32_e32 8, v17
; %bb.15663:                            ;   in Loop: Header=BB6_13467 Depth=2
	s_delay_alu instid0(VALU_DEP_3) | instskip(NEXT) | instid1(VALU_DEP_1)
	v_clz_i32_u32_e32 v16, v10
	v_min_u32_e32 v16, 32, v16
	s_delay_alu instid0(VALU_DEP_1) | instskip(NEXT) | instid1(VALU_DEP_1)
	v_subrev_nc_u32_e32 v17, 28, v16
	v_lshlrev_b64_e32 v[10:11], v17, v[10:11]
	s_delay_alu instid0(VALU_DEP_1)
	v_dual_sub_nc_u32 v16, 29, v16 :: v_dual_bitop2_b32 v10, 7, v10 bitop3:0x40
; %bb.15664:                            ;   in Loop: Header=BB6_13467 Depth=2
	s_or_b32 exec_lo, exec_lo, s29
	v_lshlrev_b32_e32 v11, 16, v54
	s_delay_alu instid0(VALU_DEP_2) | instskip(NEXT) | instid1(VALU_DEP_3)
	v_lshlrev_b32_e32 v10, 20, v10
	v_lshl_add_u32 v16, v16, 23, 0x3c000000
	s_delay_alu instid0(VALU_DEP_3) | instskip(NEXT) | instid1(VALU_DEP_1)
	v_and_b32_e32 v11, 0x80000000, v11
	v_or3_b32 v10, v10, v11, v16
.LBB6_15665:                            ;   in Loop: Header=BB6_13467 Depth=2
	s_or_b32 exec_lo, exec_lo, s28
.LBB6_15666:                            ;   in Loop: Header=BB6_13467 Depth=2
	s_delay_alu instid0(SALU_CYCLE_1)
	s_or_b32 exec_lo, exec_lo, s27
.LBB6_15667:                            ;   in Loop: Header=BB6_13467 Depth=2
	s_delay_alu instid0(SALU_CYCLE_1) | instskip(NEXT) | instid1(VALU_DEP_1)
	s_or_b32 exec_lo, exec_lo, s10
	v_mul_f32_e32 v10, s26, v10
                                        ; implicit-def: $vgpr30
	s_mov_b32 s10, exec_lo
	s_delay_alu instid0(VALU_DEP_1) | instskip(SKIP_1) | instid1(VALU_DEP_2)
	v_and_b32_e32 v54, 0x7f800000, v10
	v_lshrrev_b32_e32 v11, 24, v10
	v_cmpx_ne_u64_e32 0x7f800000, v[54:55]
	s_xor_b32 s27, exec_lo, s10
	s_cbranch_execz .LBB6_15681
; %bb.15668:                            ;   in Loop: Header=BB6_13467 Depth=2
	v_and_b32_e32 v54, 0x7fffffff, v10
	v_and_b32_e32 v18, 0x80, v11
                                        ; implicit-def: $vgpr30
	s_mov_b32 s10, exec_lo
	s_delay_alu instid0(VALU_DEP_2)
	v_cmpx_gt_u64_e32 0x43e00001, v[54:55]
	s_xor_b32 s28, exec_lo, s10
	s_cbranch_execz .LBB6_15678
; %bb.15669:                            ;   in Loop: Header=BB6_13467 Depth=2
	v_mov_b32_e32 v30, 0
	s_mov_b32 s29, exec_lo
	v_cmpx_ne_u32_e32 0, v10
	s_cbranch_execz .LBB6_15677
; %bb.15670:                            ;   in Loop: Header=BB6_13467 Depth=2
	v_bfe_u32 v19, v10, 23, 8
	v_and_b32_e32 v11, 0x7fffff, v10
	s_delay_alu instid0(VALU_DEP_2) | instskip(SKIP_2) | instid1(VALU_DEP_4)
	v_cmp_gt_u32_e64 s10, 0x7a, v19
	v_sub_nc_u32_e32 v10, 0x79, v19
	v_cmp_eq_u32_e32 vcc_lo, 0, v19
	v_or_b32_e32 v16, 0x800000, v11
	s_delay_alu instid0(VALU_DEP_1) | instskip(NEXT) | instid1(VALU_DEP_1)
	v_dual_cndmask_b32 v10, 0, v10, s10 :: v_dual_cndmask_b32 v54, v16, v11, vcc_lo
	v_cndmask_b32_e64 v30, v10, 0x78, vcc_lo
	s_delay_alu instid0(VALU_DEP_1) | instskip(NEXT) | instid1(VALU_DEP_1)
	v_dual_add_nc_u32 v10, 20, v30 :: v_dual_add_nc_u32 v16, 19, v30
	v_lshlrev_b64_e64 v[10:11], v10, -1
	s_delay_alu instid0(VALU_DEP_2) | instskip(NEXT) | instid1(VALU_DEP_2)
	v_lshlrev_b64_e64 v[16:17], v16, 1
	v_bfi_b32 v11, v11, 0, 0
	s_delay_alu instid0(VALU_DEP_3) | instskip(NEXT) | instid1(VALU_DEP_1)
	v_bfi_b32 v10, v10, 0, v54
	v_cmp_eq_u64_e64 s10, v[10:11], v[16:17]
	v_lshrrev_b64 v[10:11], v30, v[54:55]
	s_delay_alu instid0(VALU_DEP_1)
	v_mov_b64_e32 v[16:17], v[10:11]
	s_and_saveexec_b32 s40, s10
; %bb.15671:                            ;   in Loop: Header=BB6_13467 Depth=2
	v_bfe_u32 v54, v10, 20, 1
	s_delay_alu instid0(VALU_DEP_1) | instskip(NEXT) | instid1(VALU_DEP_1)
	v_add_nc_u64_e32 v[16:17], v[10:11], v[54:55]
	v_add_nc_u64_e32 v[16:17], -1, v[16:17]
; %bb.15672:                            ;   in Loop: Header=BB6_13467 Depth=2
	s_or_b32 exec_lo, exec_lo, s40
	v_add_nc_u32_e32 v11, 0xffffff81, v19
	v_lshrrev_b32_e32 v17, 23, v10
	s_mov_b32 s10, exec_lo
	s_delay_alu instid0(VALU_DEP_2) | instskip(NEXT) | instid1(VALU_DEP_1)
	v_cndmask_b32_e64 v11, v11, 0xffffff82, vcc_lo
	v_add3_u32 v19, v30, v11, v17
	v_and_b32_e32 v11, 0xfffff, v16
                                        ; implicit-def: $vgpr16
	s_delay_alu instid0(VALU_DEP_1) | instskip(NEXT) | instid1(VALU_DEP_1)
	v_dual_add_nc_u32 v17, 6, v19 :: v_dual_add_nc_u32 v54, v11, v10
                                        ; implicit-def: $vgpr10_vgpr11
	v_cmpx_ne_u32_e32 0, v17
	s_xor_b32 s10, exec_lo, s10
; %bb.15673:                            ;   in Loop: Header=BB6_13467 Depth=2
	s_delay_alu instid0(VALU_DEP_2) | instskip(SKIP_1) | instid1(VALU_DEP_1)
	v_cmp_lt_u64_e32 vcc_lo, 0xffffff, v[54:55]
	v_add_nc_u32_e32 v10, 7, v19
	v_cndmask_b32_e32 v16, v17, v10, vcc_lo
	v_cndmask_b32_e64 v10, 0, 1, vcc_lo
	s_delay_alu instid0(VALU_DEP_1)
	v_lshrrev_b64 v[10:11], v10, v[54:55]
; %bb.15674:                            ;   in Loop: Header=BB6_13467 Depth=2
	s_and_not1_saveexec_b32 s10, s10
; %bb.15675:                            ;   in Loop: Header=BB6_13467 Depth=2
	v_mov_b64_e32 v[10:11], v[54:55]
	v_bfe_u32 v16, v54, 23, 1
; %bb.15676:                            ;   in Loop: Header=BB6_13467 Depth=2
	s_or_b32 exec_lo, exec_lo, s10
	s_delay_alu instid0(VALU_DEP_2) | instskip(NEXT) | instid1(VALU_DEP_2)
	v_lshrrev_b64 v[10:11], 20, v[10:11]
	v_cmp_gt_i32_e32 vcc_lo, 16, v16
	v_min_i32_e32 v17, 15, v16
	v_cmp_eq_u32_e64 s10, 0, v16
	s_delay_alu instid0(VALU_DEP_2) | instskip(SKIP_1) | instid1(VALU_DEP_2)
	v_dual_cndmask_b32 v11, 0, v11, vcc_lo :: v_dual_lshlrev_b32 v17, 3, v17
	v_cndmask_b32_e32 v10, 7, v10, vcc_lo
	v_and_b32_e32 v17, 0xf8, v17
	s_delay_alu instid0(VALU_DEP_2) | instskip(NEXT) | instid1(VALU_DEP_2)
	v_cmp_eq_u64_e32 vcc_lo, 0, v[10:11]
	v_and_or_b32 v10, v10, 7, v17
	s_and_b32 s10, s10, vcc_lo
	s_delay_alu instid0(VALU_DEP_1) | instid1(SALU_CYCLE_1)
	v_cndmask_b32_e64 v10, v10, 0, s10
	s_delay_alu instid0(VALU_DEP_1)
	v_or_b32_e32 v30, v10, v18
.LBB6_15677:                            ;   in Loop: Header=BB6_13467 Depth=2
	s_or_b32 exec_lo, exec_lo, s29
                                        ; implicit-def: $vgpr18
.LBB6_15678:                            ;   in Loop: Header=BB6_13467 Depth=2
	s_and_not1_saveexec_b32 s10, s28
; %bb.15679:                            ;   in Loop: Header=BB6_13467 Depth=2
	v_or_b32_e32 v30, 0x7e, v18
; %bb.15680:                            ;   in Loop: Header=BB6_13467 Depth=2
	s_or_b32 exec_lo, exec_lo, s10
                                        ; implicit-def: $vgpr11
.LBB6_15681:                            ;   in Loop: Header=BB6_13467 Depth=2
	s_and_not1_saveexec_b32 s10, s27
; %bb.15682:                            ;   in Loop: Header=BB6_13467 Depth=2
	v_or_b32_e32 v30, 0x7f, v11
; %bb.15683:                            ;   in Loop: Header=BB6_13467 Depth=2
	s_or_b32 exec_lo, exec_lo, s10
	v_dual_mov_b32 v11, 0 :: v_dual_lshrrev_b32 v10, 16, v13
	s_mov_b32 s10, exec_lo
	s_delay_alu instid0(VALU_DEP_1) | instskip(NEXT) | instid1(VALU_DEP_1)
	v_and_b32_e32 v16, 0xff, v10
	v_cmpx_ne_u16_e32 0, v16
	s_cbranch_execz .LBB6_15691
; %bb.15684:                            ;   in Loop: Header=BB6_13467 Depth=2
	v_bfrev_b32_e32 v11, 1
	s_mov_b32 s27, exec_lo
	v_cmpx_ne_u16_e32 0x80, v16
	s_cbranch_execz .LBB6_15690
; %bb.15685:                            ;   in Loop: Header=BB6_13467 Depth=2
	v_bfe_u32 v16, v13, 16, 7
	v_mov_b32_e32 v11, 0x7f800001
	s_mov_b32 s28, exec_lo
	s_delay_alu instid0(VALU_DEP_2)
	v_cmpx_ne_u32_e32 0x7f, v16
	s_cbranch_execz .LBB6_15689
; %bb.15686:                            ;   in Loop: Header=BB6_13467 Depth=2
	v_dual_lshrrev_b32 v11, 3, v16 :: v_dual_bitop2_b32 v54, 7, v10 bitop3:0x40
	s_mov_b32 s29, exec_lo
	v_cmpx_gt_u32_e32 8, v16
; %bb.15687:                            ;   in Loop: Header=BB6_13467 Depth=2
	s_delay_alu instid0(VALU_DEP_2) | instskip(NEXT) | instid1(VALU_DEP_1)
	v_clz_i32_u32_e32 v11, v54
	v_min_u32_e32 v11, 32, v11
	s_delay_alu instid0(VALU_DEP_1) | instskip(NEXT) | instid1(VALU_DEP_1)
	v_subrev_nc_u32_e32 v16, 28, v11
	v_lshlrev_b64_e32 v[16:17], v16, v[54:55]
	s_delay_alu instid0(VALU_DEP_1)
	v_dual_sub_nc_u32 v11, 29, v11 :: v_dual_bitop2_b32 v54, 7, v16 bitop3:0x40
; %bb.15688:                            ;   in Loop: Header=BB6_13467 Depth=2
	s_or_b32 exec_lo, exec_lo, s29
	v_lshlrev_b32_e32 v10, 24, v10
	s_delay_alu instid0(VALU_DEP_2) | instskip(NEXT) | instid1(VALU_DEP_3)
	v_lshlrev_b32_e32 v16, 20, v54
	v_lshl_add_u32 v11, v11, 23, 0x3c000000
	s_delay_alu instid0(VALU_DEP_3) | instskip(NEXT) | instid1(VALU_DEP_1)
	v_and_b32_e32 v10, 0x80000000, v10
	v_or3_b32 v11, v16, v10, v11
.LBB6_15689:                            ;   in Loop: Header=BB6_13467 Depth=2
	s_or_b32 exec_lo, exec_lo, s28
.LBB6_15690:                            ;   in Loop: Header=BB6_13467 Depth=2
	s_delay_alu instid0(SALU_CYCLE_1)
	s_or_b32 exec_lo, exec_lo, s27
.LBB6_15691:                            ;   in Loop: Header=BB6_13467 Depth=2
	s_delay_alu instid0(SALU_CYCLE_1) | instskip(NEXT) | instid1(VALU_DEP_1)
	s_or_b32 exec_lo, exec_lo, s10
	v_mul_f32_e32 v10, s26, v11
                                        ; implicit-def: $vgpr70
	s_mov_b32 s10, exec_lo
	s_delay_alu instid0(VALU_DEP_1) | instskip(SKIP_1) | instid1(VALU_DEP_2)
	v_and_b32_e32 v54, 0x7f800000, v10
	v_lshrrev_b32_e32 v11, 24, v10
	v_cmpx_ne_u64_e32 0x7f800000, v[54:55]
	s_xor_b32 s27, exec_lo, s10
	s_cbranch_execz .LBB6_15705
; %bb.15692:                            ;   in Loop: Header=BB6_13467 Depth=2
	v_and_b32_e32 v54, 0x7fffffff, v10
	v_and_b32_e32 v18, 0x80, v11
                                        ; implicit-def: $vgpr70
	s_mov_b32 s10, exec_lo
	s_delay_alu instid0(VALU_DEP_2)
	v_cmpx_gt_u64_e32 0x43e00001, v[54:55]
	s_xor_b32 s28, exec_lo, s10
	s_cbranch_execz .LBB6_15702
; %bb.15693:                            ;   in Loop: Header=BB6_13467 Depth=2
	v_mov_b32_e32 v70, 0
	s_mov_b32 s29, exec_lo
	v_cmpx_ne_u32_e32 0, v10
	s_cbranch_execz .LBB6_15701
; %bb.15694:                            ;   in Loop: Header=BB6_13467 Depth=2
	v_bfe_u32 v19, v10, 23, 8
	v_and_b32_e32 v11, 0x7fffff, v10
	s_delay_alu instid0(VALU_DEP_2) | instskip(SKIP_2) | instid1(VALU_DEP_4)
	v_cmp_gt_u32_e64 s10, 0x7a, v19
	v_sub_nc_u32_e32 v10, 0x79, v19
	v_cmp_eq_u32_e32 vcc_lo, 0, v19
	v_or_b32_e32 v16, 0x800000, v11
	s_delay_alu instid0(VALU_DEP_1) | instskip(NEXT) | instid1(VALU_DEP_1)
	v_dual_cndmask_b32 v10, 0, v10, s10 :: v_dual_cndmask_b32 v54, v16, v11, vcc_lo
	v_cndmask_b32_e64 v64, v10, 0x78, vcc_lo
	s_delay_alu instid0(VALU_DEP_1) | instskip(NEXT) | instid1(VALU_DEP_1)
	v_dual_add_nc_u32 v10, 20, v64 :: v_dual_add_nc_u32 v16, 19, v64
	v_lshlrev_b64_e64 v[10:11], v10, -1
	s_delay_alu instid0(VALU_DEP_2) | instskip(NEXT) | instid1(VALU_DEP_2)
	v_lshlrev_b64_e64 v[16:17], v16, 1
	v_bfi_b32 v11, v11, 0, 0
	s_delay_alu instid0(VALU_DEP_3) | instskip(NEXT) | instid1(VALU_DEP_1)
	v_bfi_b32 v10, v10, 0, v54
	v_cmp_eq_u64_e64 s10, v[10:11], v[16:17]
	v_lshrrev_b64 v[10:11], v64, v[54:55]
	s_delay_alu instid0(VALU_DEP_1)
	v_mov_b64_e32 v[16:17], v[10:11]
	s_and_saveexec_b32 s40, s10
; %bb.15695:                            ;   in Loop: Header=BB6_13467 Depth=2
	v_bfe_u32 v54, v10, 20, 1
	s_delay_alu instid0(VALU_DEP_1) | instskip(NEXT) | instid1(VALU_DEP_1)
	v_add_nc_u64_e32 v[16:17], v[10:11], v[54:55]
	v_add_nc_u64_e32 v[16:17], -1, v[16:17]
; %bb.15696:                            ;   in Loop: Header=BB6_13467 Depth=2
	s_or_b32 exec_lo, exec_lo, s40
	v_add_nc_u32_e32 v11, 0xffffff81, v19
	v_lshrrev_b32_e32 v17, 23, v10
	s_mov_b32 s10, exec_lo
	s_delay_alu instid0(VALU_DEP_2) | instskip(NEXT) | instid1(VALU_DEP_1)
	v_cndmask_b32_e64 v11, v11, 0xffffff82, vcc_lo
	v_add3_u32 v19, v64, v11, v17
	v_and_b32_e32 v11, 0xfffff, v16
                                        ; implicit-def: $vgpr16
	s_delay_alu instid0(VALU_DEP_1) | instskip(NEXT) | instid1(VALU_DEP_1)
	v_dual_add_nc_u32 v17, 6, v19 :: v_dual_add_nc_u32 v54, v11, v10
                                        ; implicit-def: $vgpr10_vgpr11
	v_cmpx_ne_u32_e32 0, v17
	s_xor_b32 s10, exec_lo, s10
; %bb.15697:                            ;   in Loop: Header=BB6_13467 Depth=2
	s_delay_alu instid0(VALU_DEP_2) | instskip(SKIP_1) | instid1(VALU_DEP_1)
	v_cmp_lt_u64_e32 vcc_lo, 0xffffff, v[54:55]
	v_add_nc_u32_e32 v10, 7, v19
	v_cndmask_b32_e32 v16, v17, v10, vcc_lo
	v_cndmask_b32_e64 v10, 0, 1, vcc_lo
	s_delay_alu instid0(VALU_DEP_1)
	v_lshrrev_b64 v[10:11], v10, v[54:55]
; %bb.15698:                            ;   in Loop: Header=BB6_13467 Depth=2
	s_and_not1_saveexec_b32 s10, s10
; %bb.15699:                            ;   in Loop: Header=BB6_13467 Depth=2
	v_mov_b64_e32 v[10:11], v[54:55]
	v_bfe_u32 v16, v54, 23, 1
; %bb.15700:                            ;   in Loop: Header=BB6_13467 Depth=2
	s_or_b32 exec_lo, exec_lo, s10
	s_delay_alu instid0(VALU_DEP_2) | instskip(NEXT) | instid1(VALU_DEP_2)
	v_lshrrev_b64 v[10:11], 20, v[10:11]
	v_cmp_gt_i32_e32 vcc_lo, 16, v16
	v_min_i32_e32 v17, 15, v16
	v_cmp_eq_u32_e64 s10, 0, v16
	s_delay_alu instid0(VALU_DEP_2) | instskip(SKIP_1) | instid1(VALU_DEP_2)
	v_dual_cndmask_b32 v11, 0, v11, vcc_lo :: v_dual_lshlrev_b32 v17, 3, v17
	v_cndmask_b32_e32 v10, 7, v10, vcc_lo
	v_and_b32_e32 v17, 0xf8, v17
	s_delay_alu instid0(VALU_DEP_2) | instskip(NEXT) | instid1(VALU_DEP_2)
	v_cmp_eq_u64_e32 vcc_lo, 0, v[10:11]
	v_and_or_b32 v10, v10, 7, v17
	s_and_b32 s10, s10, vcc_lo
	s_delay_alu instid0(VALU_DEP_1) | instid1(SALU_CYCLE_1)
	v_cndmask_b32_e64 v10, v10, 0, s10
	s_delay_alu instid0(VALU_DEP_1)
	v_or_b32_e32 v70, v10, v18
.LBB6_15701:                            ;   in Loop: Header=BB6_13467 Depth=2
	s_or_b32 exec_lo, exec_lo, s29
                                        ; implicit-def: $vgpr18
.LBB6_15702:                            ;   in Loop: Header=BB6_13467 Depth=2
	s_and_not1_saveexec_b32 s10, s28
; %bb.15703:                            ;   in Loop: Header=BB6_13467 Depth=2
	v_or_b32_e32 v70, 0x7e, v18
; %bb.15704:                            ;   in Loop: Header=BB6_13467 Depth=2
	s_or_b32 exec_lo, exec_lo, s10
                                        ; implicit-def: $vgpr11
.LBB6_15705:                            ;   in Loop: Header=BB6_13467 Depth=2
	s_and_not1_saveexec_b32 s10, s27
; %bb.15706:                            ;   in Loop: Header=BB6_13467 Depth=2
	v_or_b32_e32 v70, 0x7f, v11
; %bb.15707:                            ;   in Loop: Header=BB6_13467 Depth=2
	s_or_b32 exec_lo, exec_lo, s10
	v_mov_b32_e32 v11, 0
	s_mov_b32 s10, exec_lo
	v_cmpx_lt_u64_e64 s[12:13], v[12:13]
	s_cbranch_execz .LBB6_15715
; %bb.15708:                            ;   in Loop: Header=BB6_13467 Depth=2
	v_lshrrev_b32_e32 v10, 24, v13
	v_bfrev_b32_e32 v11, 1
	s_mov_b32 s27, exec_lo
	s_delay_alu instid0(VALU_DEP_2)
	v_cmpx_ne_u32_e32 0x80, v10
	s_cbranch_execz .LBB6_15714
; %bb.15709:                            ;   in Loop: Header=BB6_13467 Depth=2
	v_bfe_u32 v12, v13, 24, 7
	v_mov_b32_e32 v11, 0x7f800001
	s_mov_b32 s28, exec_lo
	s_delay_alu instid0(VALU_DEP_2)
	v_cmpx_ne_u32_e32 0x7f, v12
	s_cbranch_execz .LBB6_15713
; %bb.15710:                            ;   in Loop: Header=BB6_13467 Depth=2
	v_dual_lshrrev_b32 v11, 3, v12 :: v_dual_bitop2_b32 v54, 7, v10 bitop3:0x40
	s_mov_b32 s29, exec_lo
	v_cmpx_gt_u32_e32 8, v12
; %bb.15711:                            ;   in Loop: Header=BB6_13467 Depth=2
	s_delay_alu instid0(VALU_DEP_2) | instskip(NEXT) | instid1(VALU_DEP_1)
	v_clz_i32_u32_e32 v11, v54
	v_min_u32_e32 v11, 32, v11
	s_delay_alu instid0(VALU_DEP_1) | instskip(NEXT) | instid1(VALU_DEP_1)
	v_subrev_nc_u32_e32 v12, 28, v11
	v_lshlrev_b64_e32 v[12:13], v12, v[54:55]
	s_delay_alu instid0(VALU_DEP_1)
	v_dual_sub_nc_u32 v11, 29, v11 :: v_dual_bitop2_b32 v54, 7, v12 bitop3:0x40
; %bb.15712:                            ;   in Loop: Header=BB6_13467 Depth=2
	s_or_b32 exec_lo, exec_lo, s29
	v_lshlrev_b32_e32 v10, 24, v10
	s_delay_alu instid0(VALU_DEP_2) | instskip(NEXT) | instid1(VALU_DEP_3)
	v_lshlrev_b32_e32 v12, 20, v54
	v_lshl_add_u32 v11, v11, 23, 0x3c000000
	s_delay_alu instid0(VALU_DEP_3) | instskip(NEXT) | instid1(VALU_DEP_1)
	v_and_b32_e32 v10, 0x80000000, v10
	v_or3_b32 v11, v12, v10, v11
.LBB6_15713:                            ;   in Loop: Header=BB6_13467 Depth=2
	s_or_b32 exec_lo, exec_lo, s28
.LBB6_15714:                            ;   in Loop: Header=BB6_13467 Depth=2
	s_delay_alu instid0(SALU_CYCLE_1)
	s_or_b32 exec_lo, exec_lo, s27
.LBB6_15715:                            ;   in Loop: Header=BB6_13467 Depth=2
	s_delay_alu instid0(SALU_CYCLE_1) | instskip(NEXT) | instid1(VALU_DEP_1)
	s_or_b32 exec_lo, exec_lo, s10
	v_mul_f32_e32 v10, s26, v11
                                        ; implicit-def: $vgpr71
	s_mov_b32 s10, exec_lo
	s_delay_alu instid0(VALU_DEP_1) | instskip(SKIP_1) | instid1(VALU_DEP_2)
	v_and_b32_e32 v54, 0x7f800000, v10
	v_lshrrev_b32_e32 v11, 24, v10
	v_cmpx_ne_u64_e32 0x7f800000, v[54:55]
	s_xor_b32 s27, exec_lo, s10
	s_cbranch_execz .LBB6_15729
; %bb.15716:                            ;   in Loop: Header=BB6_13467 Depth=2
	v_and_b32_e32 v54, 0x7fffffff, v10
	v_and_b32_e32 v16, 0x80, v11
                                        ; implicit-def: $vgpr71
	s_mov_b32 s10, exec_lo
	s_delay_alu instid0(VALU_DEP_2)
	v_cmpx_gt_u64_e32 0x43e00001, v[54:55]
	s_xor_b32 s28, exec_lo, s10
	s_cbranch_execz .LBB6_15726
; %bb.15717:                            ;   in Loop: Header=BB6_13467 Depth=2
	v_mov_b32_e32 v71, 0
	s_mov_b32 s29, exec_lo
	v_cmpx_ne_u32_e32 0, v10
	s_cbranch_execz .LBB6_15725
; %bb.15718:                            ;   in Loop: Header=BB6_13467 Depth=2
	v_bfe_u32 v17, v10, 23, 8
	v_and_b32_e32 v11, 0x7fffff, v10
	s_delay_alu instid0(VALU_DEP_2) | instskip(SKIP_2) | instid1(VALU_DEP_4)
	v_cmp_gt_u32_e64 s10, 0x7a, v17
	v_sub_nc_u32_e32 v10, 0x79, v17
	v_cmp_eq_u32_e32 vcc_lo, 0, v17
	v_or_b32_e32 v12, 0x800000, v11
	s_delay_alu instid0(VALU_DEP_1) | instskip(NEXT) | instid1(VALU_DEP_1)
	v_dual_cndmask_b32 v10, 0, v10, s10 :: v_dual_cndmask_b32 v54, v12, v11, vcc_lo
	v_cndmask_b32_e64 v18, v10, 0x78, vcc_lo
	s_delay_alu instid0(VALU_DEP_1) | instskip(NEXT) | instid1(VALU_DEP_1)
	v_dual_add_nc_u32 v10, 20, v18 :: v_dual_add_nc_u32 v12, 19, v18
	v_lshlrev_b64_e64 v[10:11], v10, -1
	s_delay_alu instid0(VALU_DEP_2) | instskip(NEXT) | instid1(VALU_DEP_2)
	v_lshlrev_b64_e64 v[12:13], v12, 1
	v_bfi_b32 v11, v11, 0, 0
	s_delay_alu instid0(VALU_DEP_3) | instskip(NEXT) | instid1(VALU_DEP_1)
	v_bfi_b32 v10, v10, 0, v54
	v_cmp_eq_u64_e64 s10, v[10:11], v[12:13]
	v_lshrrev_b64 v[10:11], v18, v[54:55]
	s_delay_alu instid0(VALU_DEP_1)
	v_mov_b64_e32 v[12:13], v[10:11]
	s_and_saveexec_b32 s40, s10
; %bb.15719:                            ;   in Loop: Header=BB6_13467 Depth=2
	v_bfe_u32 v54, v10, 20, 1
	s_delay_alu instid0(VALU_DEP_1) | instskip(NEXT) | instid1(VALU_DEP_1)
	v_add_nc_u64_e32 v[12:13], v[10:11], v[54:55]
	v_add_nc_u64_e32 v[12:13], -1, v[12:13]
; %bb.15720:                            ;   in Loop: Header=BB6_13467 Depth=2
	s_or_b32 exec_lo, exec_lo, s40
	v_add_nc_u32_e32 v11, 0xffffff81, v17
	v_lshrrev_b32_e32 v13, 23, v10
	s_mov_b32 s10, exec_lo
	s_delay_alu instid0(VALU_DEP_2) | instskip(NEXT) | instid1(VALU_DEP_1)
	v_cndmask_b32_e64 v11, v11, 0xffffff82, vcc_lo
	v_add3_u32 v17, v18, v11, v13
	v_and_b32_e32 v11, 0xfffff, v12
                                        ; implicit-def: $vgpr12
	s_delay_alu instid0(VALU_DEP_1) | instskip(NEXT) | instid1(VALU_DEP_1)
	v_dual_add_nc_u32 v13, 6, v17 :: v_dual_add_nc_u32 v54, v11, v10
                                        ; implicit-def: $vgpr10_vgpr11
	v_cmpx_ne_u32_e32 0, v13
	s_xor_b32 s10, exec_lo, s10
; %bb.15721:                            ;   in Loop: Header=BB6_13467 Depth=2
	s_delay_alu instid0(VALU_DEP_2) | instskip(SKIP_1) | instid1(VALU_DEP_1)
	v_cmp_lt_u64_e32 vcc_lo, 0xffffff, v[54:55]
	v_add_nc_u32_e32 v10, 7, v17
	v_cndmask_b32_e32 v12, v13, v10, vcc_lo
	v_cndmask_b32_e64 v10, 0, 1, vcc_lo
	s_delay_alu instid0(VALU_DEP_1)
	v_lshrrev_b64 v[10:11], v10, v[54:55]
; %bb.15722:                            ;   in Loop: Header=BB6_13467 Depth=2
	s_and_not1_saveexec_b32 s10, s10
; %bb.15723:                            ;   in Loop: Header=BB6_13467 Depth=2
	v_mov_b64_e32 v[10:11], v[54:55]
	v_bfe_u32 v12, v54, 23, 1
; %bb.15724:                            ;   in Loop: Header=BB6_13467 Depth=2
	s_or_b32 exec_lo, exec_lo, s10
	s_delay_alu instid0(VALU_DEP_2) | instskip(NEXT) | instid1(VALU_DEP_2)
	v_lshrrev_b64 v[10:11], 20, v[10:11]
	v_cmp_gt_i32_e32 vcc_lo, 16, v12
	v_min_i32_e32 v13, 15, v12
	v_cmp_eq_u32_e64 s10, 0, v12
	s_delay_alu instid0(VALU_DEP_2) | instskip(SKIP_1) | instid1(VALU_DEP_2)
	v_dual_cndmask_b32 v11, 0, v11, vcc_lo :: v_dual_lshlrev_b32 v13, 3, v13
	v_cndmask_b32_e32 v10, 7, v10, vcc_lo
	v_and_b32_e32 v13, 0xf8, v13
	s_delay_alu instid0(VALU_DEP_2) | instskip(NEXT) | instid1(VALU_DEP_2)
	v_cmp_eq_u64_e32 vcc_lo, 0, v[10:11]
	v_and_or_b32 v10, v10, 7, v13
	s_and_b32 s10, s10, vcc_lo
	s_delay_alu instid0(VALU_DEP_1) | instid1(SALU_CYCLE_1)
	v_cndmask_b32_e64 v10, v10, 0, s10
	s_delay_alu instid0(VALU_DEP_1)
	v_or_b32_e32 v71, v10, v16
.LBB6_15725:                            ;   in Loop: Header=BB6_13467 Depth=2
	s_or_b32 exec_lo, exec_lo, s29
                                        ; implicit-def: $vgpr16
.LBB6_15726:                            ;   in Loop: Header=BB6_13467 Depth=2
	s_and_not1_saveexec_b32 s10, s28
; %bb.15727:                            ;   in Loop: Header=BB6_13467 Depth=2
	v_or_b32_e32 v71, 0x7e, v16
; %bb.15728:                            ;   in Loop: Header=BB6_13467 Depth=2
	s_or_b32 exec_lo, exec_lo, s10
                                        ; implicit-def: $vgpr11
.LBB6_15729:                            ;   in Loop: Header=BB6_13467 Depth=2
	s_and_not1_saveexec_b32 s10, s27
; %bb.15730:                            ;   in Loop: Header=BB6_13467 Depth=2
	v_or_b32_e32 v71, 0x7f, v11
; %bb.15731:                            ;   in Loop: Header=BB6_13467 Depth=2
	s_or_b32 exec_lo, exec_lo, s10
	global_load_b128 v[10:13], v[14:15], off offset:3072 th:TH_LOAD_NT
	v_mov_b32_e32 v16, 0
	s_mov_b32 s10, exec_lo
	s_wait_loadcnt 0x0
	v_and_b32_e32 v17, 0xff, v10
	s_wait_xcnt 0x0
	s_delay_alu instid0(VALU_DEP_1)
	v_cmpx_ne_u16_e32 0, v17
	s_cbranch_execz .LBB6_15737
; %bb.15732:                            ;   in Loop: Header=BB6_13467 Depth=2
	v_bfrev_b32_e32 v16, 1
	s_mov_b32 s27, exec_lo
	v_cmpx_ne_u16_e32 0x80, v17
	s_cbranch_execz .LBB6_15736
; %bb.15733:                            ;   in Loop: Header=BB6_13467 Depth=2
	v_and_b32_e32 v17, 0x7f, v10
	v_mov_b32_e32 v16, 0x7f800001
	s_mov_b32 s28, exec_lo
	s_delay_alu instid0(VALU_DEP_2)
	v_cmpx_ne_u32_e32 0x7f, v17
	s_cbranch_execz .LBB6_15735
; %bb.15734:                            ;   in Loop: Header=BB6_13467 Depth=2
	v_dual_lshrrev_b32 v18, 3, v17 :: v_dual_bitop2_b32 v16, 7, v10 bitop3:0x40
	v_cmp_gt_u32_e32 vcc_lo, 8, v17
	s_delay_alu instid0(VALU_DEP_2) | instskip(NEXT) | instid1(VALU_DEP_1)
	v_clz_i32_u32_e32 v16, v16
	v_min_u32_e32 v16, 32, v16
	s_delay_alu instid0(VALU_DEP_1) | instskip(SKIP_1) | instid1(VALU_DEP_1)
	v_subrev_nc_u32_e32 v17, 28, v16
	v_sub_nc_u32_e32 v16, 29, v16
	v_dual_cndmask_b32 v18, v18, v16, vcc_lo :: v_dual_cndmask_b32 v16, 0, v17, vcc_lo
	s_delay_alu instid0(VALU_DEP_1) | instskip(NEXT) | instid1(VALU_DEP_2)
	v_lshl_add_u32 v18, v18, 23, 0x3c000000
	v_lshlrev_b64_e32 v[16:17], v16, v[10:11]
	v_lshlrev_b32_e32 v17, 24, v10
	s_delay_alu instid0(VALU_DEP_1) | instskip(NEXT) | instid1(VALU_DEP_3)
	v_and_b32_e32 v17, 0x80000000, v17
	v_lshlrev_b32_e32 v16, 20, v16
	s_delay_alu instid0(VALU_DEP_1) | instskip(NEXT) | instid1(VALU_DEP_1)
	v_and_b32_e32 v16, 0x700000, v16
	v_or3_b32 v16, v16, v17, v18
.LBB6_15735:                            ;   in Loop: Header=BB6_13467 Depth=2
	s_or_b32 exec_lo, exec_lo, s28
.LBB6_15736:                            ;   in Loop: Header=BB6_13467 Depth=2
	s_delay_alu instid0(SALU_CYCLE_1)
	s_or_b32 exec_lo, exec_lo, s27
.LBB6_15737:                            ;   in Loop: Header=BB6_13467 Depth=2
	s_delay_alu instid0(SALU_CYCLE_1) | instskip(NEXT) | instid1(VALU_DEP_1)
	s_or_b32 exec_lo, exec_lo, s10
	v_mul_f32_e32 v16, s26, v16
                                        ; implicit-def: $vgpr117
	s_mov_b32 s10, exec_lo
	s_delay_alu instid0(VALU_DEP_1) | instskip(SKIP_1) | instid1(VALU_DEP_2)
	v_and_b32_e32 v54, 0x7f800000, v16
	v_lshrrev_b32_e32 v17, 24, v16
	v_cmpx_ne_u64_e32 0x7f800000, v[54:55]
	s_xor_b32 s27, exec_lo, s10
	s_cbranch_execz .LBB6_15751
; %bb.15738:                            ;   in Loop: Header=BB6_13467 Depth=2
	v_and_b32_e32 v54, 0x7fffffff, v16
	v_and_b32_e32 v64, 0x80, v17
                                        ; implicit-def: $vgpr117
	s_mov_b32 s10, exec_lo
	s_delay_alu instid0(VALU_DEP_2)
	v_cmpx_gt_u64_e32 0x43e00001, v[54:55]
	s_xor_b32 s28, exec_lo, s10
	s_cbranch_execz .LBB6_15748
; %bb.15739:                            ;   in Loop: Header=BB6_13467 Depth=2
	v_mov_b32_e32 v117, 0
	s_mov_b32 s29, exec_lo
	v_cmpx_ne_u32_e32 0, v16
	s_cbranch_execz .LBB6_15747
; %bb.15740:                            ;   in Loop: Header=BB6_13467 Depth=2
	v_bfe_u32 v65, v16, 23, 8
	v_and_b32_e32 v17, 0x7fffff, v16
	s_delay_alu instid0(VALU_DEP_2) | instskip(SKIP_2) | instid1(VALU_DEP_4)
	v_cmp_gt_u32_e64 s10, 0x7a, v65
	v_sub_nc_u32_e32 v16, 0x79, v65
	v_cmp_eq_u32_e32 vcc_lo, 0, v65
	v_or_b32_e32 v18, 0x800000, v17
	s_delay_alu instid0(VALU_DEP_1) | instskip(NEXT) | instid1(VALU_DEP_1)
	v_dual_cndmask_b32 v16, 0, v16, s10 :: v_dual_cndmask_b32 v54, v18, v17, vcc_lo
	v_cndmask_b32_e64 v86, v16, 0x78, vcc_lo
	s_delay_alu instid0(VALU_DEP_1) | instskip(NEXT) | instid1(VALU_DEP_1)
	v_dual_add_nc_u32 v16, 20, v86 :: v_dual_add_nc_u32 v18, 19, v86
	v_lshlrev_b64_e64 v[16:17], v16, -1
	s_delay_alu instid0(VALU_DEP_2) | instskip(NEXT) | instid1(VALU_DEP_2)
	v_lshlrev_b64_e64 v[18:19], v18, 1
	v_bfi_b32 v17, v17, 0, 0
	s_delay_alu instid0(VALU_DEP_3) | instskip(NEXT) | instid1(VALU_DEP_1)
	v_bfi_b32 v16, v16, 0, v54
	v_cmp_eq_u64_e64 s10, v[16:17], v[18:19]
	v_lshrrev_b64 v[16:17], v86, v[54:55]
	s_delay_alu instid0(VALU_DEP_1)
	v_mov_b64_e32 v[18:19], v[16:17]
	s_and_saveexec_b32 s40, s10
; %bb.15741:                            ;   in Loop: Header=BB6_13467 Depth=2
	v_bfe_u32 v54, v16, 20, 1
	s_delay_alu instid0(VALU_DEP_1) | instskip(NEXT) | instid1(VALU_DEP_1)
	v_add_nc_u64_e32 v[18:19], v[16:17], v[54:55]
	v_add_nc_u64_e32 v[18:19], -1, v[18:19]
; %bb.15742:                            ;   in Loop: Header=BB6_13467 Depth=2
	s_or_b32 exec_lo, exec_lo, s40
	v_add_nc_u32_e32 v17, 0xffffff81, v65
	v_lshrrev_b32_e32 v19, 23, v16
	s_mov_b32 s10, exec_lo
	s_delay_alu instid0(VALU_DEP_2) | instskip(NEXT) | instid1(VALU_DEP_1)
	v_cndmask_b32_e64 v17, v17, 0xffffff82, vcc_lo
	v_add3_u32 v65, v86, v17, v19
	v_and_b32_e32 v17, 0xfffff, v18
                                        ; implicit-def: $vgpr18
	s_delay_alu instid0(VALU_DEP_1) | instskip(NEXT) | instid1(VALU_DEP_1)
	v_dual_add_nc_u32 v19, 6, v65 :: v_dual_add_nc_u32 v54, v17, v16
                                        ; implicit-def: $vgpr16_vgpr17
	v_cmpx_ne_u32_e32 0, v19
	s_xor_b32 s10, exec_lo, s10
; %bb.15743:                            ;   in Loop: Header=BB6_13467 Depth=2
	s_delay_alu instid0(VALU_DEP_2) | instskip(SKIP_1) | instid1(VALU_DEP_1)
	v_cmp_lt_u64_e32 vcc_lo, 0xffffff, v[54:55]
	v_add_nc_u32_e32 v16, 7, v65
	v_cndmask_b32_e32 v18, v19, v16, vcc_lo
	v_cndmask_b32_e64 v16, 0, 1, vcc_lo
	s_delay_alu instid0(VALU_DEP_1)
	v_lshrrev_b64 v[16:17], v16, v[54:55]
; %bb.15744:                            ;   in Loop: Header=BB6_13467 Depth=2
	s_and_not1_saveexec_b32 s10, s10
; %bb.15745:                            ;   in Loop: Header=BB6_13467 Depth=2
	v_mov_b64_e32 v[16:17], v[54:55]
	v_bfe_u32 v18, v54, 23, 1
; %bb.15746:                            ;   in Loop: Header=BB6_13467 Depth=2
	s_or_b32 exec_lo, exec_lo, s10
	s_delay_alu instid0(VALU_DEP_2) | instskip(NEXT) | instid1(VALU_DEP_2)
	v_lshrrev_b64 v[16:17], 20, v[16:17]
	v_cmp_gt_i32_e32 vcc_lo, 16, v18
	v_min_i32_e32 v19, 15, v18
	v_cmp_eq_u32_e64 s10, 0, v18
	s_delay_alu instid0(VALU_DEP_2) | instskip(SKIP_1) | instid1(VALU_DEP_2)
	v_dual_cndmask_b32 v17, 0, v17, vcc_lo :: v_dual_lshlrev_b32 v19, 3, v19
	v_cndmask_b32_e32 v16, 7, v16, vcc_lo
	v_and_b32_e32 v19, 0xf8, v19
	s_delay_alu instid0(VALU_DEP_2) | instskip(NEXT) | instid1(VALU_DEP_2)
	v_cmp_eq_u64_e32 vcc_lo, 0, v[16:17]
	v_and_or_b32 v16, v16, 7, v19
	s_and_b32 s10, s10, vcc_lo
	s_delay_alu instid0(VALU_DEP_1) | instid1(SALU_CYCLE_1)
	v_cndmask_b32_e64 v16, v16, 0, s10
	s_delay_alu instid0(VALU_DEP_1)
	v_or_b32_e32 v117, v16, v64
.LBB6_15747:                            ;   in Loop: Header=BB6_13467 Depth=2
	s_or_b32 exec_lo, exec_lo, s29
                                        ; implicit-def: $vgpr64
.LBB6_15748:                            ;   in Loop: Header=BB6_13467 Depth=2
	s_and_not1_saveexec_b32 s10, s28
; %bb.15749:                            ;   in Loop: Header=BB6_13467 Depth=2
	v_or_b32_e32 v117, 0x7e, v64
; %bb.15750:                            ;   in Loop: Header=BB6_13467 Depth=2
	s_or_b32 exec_lo, exec_lo, s10
                                        ; implicit-def: $vgpr17
.LBB6_15751:                            ;   in Loop: Header=BB6_13467 Depth=2
	s_and_not1_saveexec_b32 s10, s27
; %bb.15752:                            ;   in Loop: Header=BB6_13467 Depth=2
	v_or_b32_e32 v117, 0x7f, v17
; %bb.15753:                            ;   in Loop: Header=BB6_13467 Depth=2
	s_or_b32 exec_lo, exec_lo, s10
	v_lshrrev_b16 v17, 8, v10
	v_mov_b32_e32 v16, 0
	s_mov_b32 s10, exec_lo
	s_delay_alu instid0(VALU_DEP_2)
	v_cmpx_ne_u16_e32 0, v17
	s_cbranch_execz .LBB6_15761
; %bb.15754:                            ;   in Loop: Header=BB6_13467 Depth=2
	v_bfrev_b32_e32 v16, 1
	s_mov_b32 s27, exec_lo
	v_cmpx_ne_u16_e32 0x80, v17
	s_cbranch_execz .LBB6_15760
; %bb.15755:                            ;   in Loop: Header=BB6_13467 Depth=2
	v_and_b32_e32 v18, 0xffff, v17
	v_mov_b32_e32 v16, 0x7f800001
	s_mov_b32 s28, exec_lo
	s_delay_alu instid0(VALU_DEP_2) | instskip(NEXT) | instid1(VALU_DEP_1)
	v_and_b32_e32 v17, 0x7f, v18
	v_cmpx_ne_u32_e32 0x7f, v17
	s_cbranch_execz .LBB6_15759
; %bb.15756:                            ;   in Loop: Header=BB6_13467 Depth=2
	v_dual_lshrrev_b32 v16, 3, v17 :: v_dual_bitop2_b32 v54, 7, v18 bitop3:0x40
	s_mov_b32 s29, exec_lo
	v_cmpx_gt_u32_e32 8, v17
; %bb.15757:                            ;   in Loop: Header=BB6_13467 Depth=2
	s_delay_alu instid0(VALU_DEP_2) | instskip(NEXT) | instid1(VALU_DEP_1)
	v_clz_i32_u32_e32 v16, v54
	v_min_u32_e32 v16, 32, v16
	s_delay_alu instid0(VALU_DEP_1) | instskip(NEXT) | instid1(VALU_DEP_1)
	v_subrev_nc_u32_e32 v17, 28, v16
	v_lshlrev_b64_e32 v[18:19], v17, v[54:55]
	s_delay_alu instid0(VALU_DEP_1)
	v_dual_sub_nc_u32 v16, 29, v16 :: v_dual_bitop2_b32 v54, 7, v18 bitop3:0x40
; %bb.15758:                            ;   in Loop: Header=BB6_13467 Depth=2
	s_or_b32 exec_lo, exec_lo, s29
	v_lshlrev_b32_e32 v17, 16, v10
	s_delay_alu instid0(VALU_DEP_2) | instskip(NEXT) | instid1(VALU_DEP_3)
	v_lshlrev_b32_e32 v18, 20, v54
	v_lshl_add_u32 v16, v16, 23, 0x3c000000
	s_delay_alu instid0(VALU_DEP_3) | instskip(NEXT) | instid1(VALU_DEP_1)
	v_and_b32_e32 v17, 0x80000000, v17
	v_or3_b32 v16, v18, v17, v16
.LBB6_15759:                            ;   in Loop: Header=BB6_13467 Depth=2
	s_or_b32 exec_lo, exec_lo, s28
.LBB6_15760:                            ;   in Loop: Header=BB6_13467 Depth=2
	s_delay_alu instid0(SALU_CYCLE_1)
	s_or_b32 exec_lo, exec_lo, s27
.LBB6_15761:                            ;   in Loop: Header=BB6_13467 Depth=2
	s_delay_alu instid0(SALU_CYCLE_1) | instskip(NEXT) | instid1(VALU_DEP_1)
	s_or_b32 exec_lo, exec_lo, s10
	v_mul_f32_e32 v16, s26, v16
                                        ; implicit-def: $vgpr118
	s_mov_b32 s10, exec_lo
	s_delay_alu instid0(VALU_DEP_1) | instskip(SKIP_1) | instid1(VALU_DEP_2)
	v_and_b32_e32 v54, 0x7f800000, v16
	v_lshrrev_b32_e32 v17, 24, v16
	v_cmpx_ne_u64_e32 0x7f800000, v[54:55]
	s_xor_b32 s27, exec_lo, s10
	s_cbranch_execz .LBB6_15775
; %bb.15762:                            ;   in Loop: Header=BB6_13467 Depth=2
	v_and_b32_e32 v54, 0x7fffffff, v16
	v_and_b32_e32 v64, 0x80, v17
                                        ; implicit-def: $vgpr118
	s_mov_b32 s10, exec_lo
	s_delay_alu instid0(VALU_DEP_2)
	v_cmpx_gt_u64_e32 0x43e00001, v[54:55]
	s_xor_b32 s28, exec_lo, s10
	s_cbranch_execz .LBB6_15772
; %bb.15763:                            ;   in Loop: Header=BB6_13467 Depth=2
	v_mov_b32_e32 v118, 0
	s_mov_b32 s29, exec_lo
	v_cmpx_ne_u32_e32 0, v16
	s_cbranch_execz .LBB6_15771
; %bb.15764:                            ;   in Loop: Header=BB6_13467 Depth=2
	v_bfe_u32 v65, v16, 23, 8
	v_and_b32_e32 v17, 0x7fffff, v16
	s_delay_alu instid0(VALU_DEP_2) | instskip(SKIP_2) | instid1(VALU_DEP_4)
	v_cmp_gt_u32_e64 s10, 0x7a, v65
	v_sub_nc_u32_e32 v16, 0x79, v65
	v_cmp_eq_u32_e32 vcc_lo, 0, v65
	v_or_b32_e32 v18, 0x800000, v17
	s_delay_alu instid0(VALU_DEP_1) | instskip(NEXT) | instid1(VALU_DEP_1)
	v_dual_cndmask_b32 v16, 0, v16, s10 :: v_dual_cndmask_b32 v54, v18, v17, vcc_lo
	v_cndmask_b32_e64 v86, v16, 0x78, vcc_lo
	s_delay_alu instid0(VALU_DEP_1) | instskip(NEXT) | instid1(VALU_DEP_1)
	v_dual_add_nc_u32 v16, 20, v86 :: v_dual_add_nc_u32 v18, 19, v86
	v_lshlrev_b64_e64 v[16:17], v16, -1
	s_delay_alu instid0(VALU_DEP_2) | instskip(NEXT) | instid1(VALU_DEP_2)
	v_lshlrev_b64_e64 v[18:19], v18, 1
	v_bfi_b32 v17, v17, 0, 0
	s_delay_alu instid0(VALU_DEP_3) | instskip(NEXT) | instid1(VALU_DEP_1)
	v_bfi_b32 v16, v16, 0, v54
	v_cmp_eq_u64_e64 s10, v[16:17], v[18:19]
	v_lshrrev_b64 v[16:17], v86, v[54:55]
	s_delay_alu instid0(VALU_DEP_1)
	v_mov_b64_e32 v[18:19], v[16:17]
	s_and_saveexec_b32 s40, s10
; %bb.15765:                            ;   in Loop: Header=BB6_13467 Depth=2
	v_bfe_u32 v54, v16, 20, 1
	s_delay_alu instid0(VALU_DEP_1) | instskip(NEXT) | instid1(VALU_DEP_1)
	v_add_nc_u64_e32 v[18:19], v[16:17], v[54:55]
	v_add_nc_u64_e32 v[18:19], -1, v[18:19]
; %bb.15766:                            ;   in Loop: Header=BB6_13467 Depth=2
	s_or_b32 exec_lo, exec_lo, s40
	v_add_nc_u32_e32 v17, 0xffffff81, v65
	v_lshrrev_b32_e32 v19, 23, v16
	s_mov_b32 s10, exec_lo
	s_delay_alu instid0(VALU_DEP_2) | instskip(NEXT) | instid1(VALU_DEP_1)
	v_cndmask_b32_e64 v17, v17, 0xffffff82, vcc_lo
	v_add3_u32 v65, v86, v17, v19
	v_and_b32_e32 v17, 0xfffff, v18
                                        ; implicit-def: $vgpr18
	s_delay_alu instid0(VALU_DEP_1) | instskip(NEXT) | instid1(VALU_DEP_1)
	v_dual_add_nc_u32 v19, 6, v65 :: v_dual_add_nc_u32 v54, v17, v16
                                        ; implicit-def: $vgpr16_vgpr17
	v_cmpx_ne_u32_e32 0, v19
	s_xor_b32 s10, exec_lo, s10
; %bb.15767:                            ;   in Loop: Header=BB6_13467 Depth=2
	s_delay_alu instid0(VALU_DEP_2) | instskip(SKIP_1) | instid1(VALU_DEP_1)
	v_cmp_lt_u64_e32 vcc_lo, 0xffffff, v[54:55]
	v_add_nc_u32_e32 v16, 7, v65
	v_cndmask_b32_e32 v18, v19, v16, vcc_lo
	v_cndmask_b32_e64 v16, 0, 1, vcc_lo
	s_delay_alu instid0(VALU_DEP_1)
	v_lshrrev_b64 v[16:17], v16, v[54:55]
; %bb.15768:                            ;   in Loop: Header=BB6_13467 Depth=2
	s_and_not1_saveexec_b32 s10, s10
; %bb.15769:                            ;   in Loop: Header=BB6_13467 Depth=2
	v_mov_b64_e32 v[16:17], v[54:55]
	v_bfe_u32 v18, v54, 23, 1
; %bb.15770:                            ;   in Loop: Header=BB6_13467 Depth=2
	s_or_b32 exec_lo, exec_lo, s10
	s_delay_alu instid0(VALU_DEP_2) | instskip(NEXT) | instid1(VALU_DEP_2)
	v_lshrrev_b64 v[16:17], 20, v[16:17]
	v_cmp_gt_i32_e32 vcc_lo, 16, v18
	v_min_i32_e32 v19, 15, v18
	v_cmp_eq_u32_e64 s10, 0, v18
	s_delay_alu instid0(VALU_DEP_2) | instskip(SKIP_1) | instid1(VALU_DEP_2)
	v_dual_cndmask_b32 v17, 0, v17, vcc_lo :: v_dual_lshlrev_b32 v19, 3, v19
	v_cndmask_b32_e32 v16, 7, v16, vcc_lo
	v_and_b32_e32 v19, 0xf8, v19
	s_delay_alu instid0(VALU_DEP_2) | instskip(NEXT) | instid1(VALU_DEP_2)
	v_cmp_eq_u64_e32 vcc_lo, 0, v[16:17]
	v_and_or_b32 v16, v16, 7, v19
	s_and_b32 s10, s10, vcc_lo
	s_delay_alu instid0(VALU_DEP_1) | instid1(SALU_CYCLE_1)
	v_cndmask_b32_e64 v16, v16, 0, s10
	s_delay_alu instid0(VALU_DEP_1)
	v_or_b32_e32 v118, v16, v64
.LBB6_15771:                            ;   in Loop: Header=BB6_13467 Depth=2
	s_or_b32 exec_lo, exec_lo, s29
                                        ; implicit-def: $vgpr64
.LBB6_15772:                            ;   in Loop: Header=BB6_13467 Depth=2
	s_and_not1_saveexec_b32 s10, s28
; %bb.15773:                            ;   in Loop: Header=BB6_13467 Depth=2
	v_or_b32_e32 v118, 0x7e, v64
; %bb.15774:                            ;   in Loop: Header=BB6_13467 Depth=2
	s_or_b32 exec_lo, exec_lo, s10
                                        ; implicit-def: $vgpr17
.LBB6_15775:                            ;   in Loop: Header=BB6_13467 Depth=2
	s_and_not1_saveexec_b32 s10, s27
; %bb.15776:                            ;   in Loop: Header=BB6_13467 Depth=2
	v_or_b32_e32 v118, 0x7f, v17
; %bb.15777:                            ;   in Loop: Header=BB6_13467 Depth=2
	s_or_b32 exec_lo, exec_lo, s10
	v_dual_mov_b32 v17, 0 :: v_dual_lshrrev_b32 v16, 16, v10
	s_mov_b32 s10, exec_lo
	s_delay_alu instid0(VALU_DEP_1) | instskip(NEXT) | instid1(VALU_DEP_1)
	v_and_b32_e32 v18, 0xff, v16
	v_cmpx_ne_u16_e32 0, v18
	s_cbranch_execz .LBB6_15785
; %bb.15778:                            ;   in Loop: Header=BB6_13467 Depth=2
	v_bfrev_b32_e32 v17, 1
	s_mov_b32 s27, exec_lo
	v_cmpx_ne_u16_e32 0x80, v18
	s_cbranch_execz .LBB6_15784
; %bb.15779:                            ;   in Loop: Header=BB6_13467 Depth=2
	v_bfe_u32 v18, v10, 16, 7
	v_mov_b32_e32 v17, 0x7f800001
	s_mov_b32 s28, exec_lo
	s_delay_alu instid0(VALU_DEP_2)
	v_cmpx_ne_u32_e32 0x7f, v18
	s_cbranch_execz .LBB6_15783
; %bb.15780:                            ;   in Loop: Header=BB6_13467 Depth=2
	v_dual_lshrrev_b32 v17, 3, v18 :: v_dual_bitop2_b32 v54, 7, v16 bitop3:0x40
	s_mov_b32 s29, exec_lo
	v_cmpx_gt_u32_e32 8, v18
; %bb.15781:                            ;   in Loop: Header=BB6_13467 Depth=2
	s_delay_alu instid0(VALU_DEP_2) | instskip(NEXT) | instid1(VALU_DEP_1)
	v_clz_i32_u32_e32 v17, v54
	v_min_u32_e32 v17, 32, v17
	s_delay_alu instid0(VALU_DEP_1) | instskip(NEXT) | instid1(VALU_DEP_1)
	v_subrev_nc_u32_e32 v18, 28, v17
	v_lshlrev_b64_e32 v[18:19], v18, v[54:55]
	s_delay_alu instid0(VALU_DEP_1)
	v_dual_sub_nc_u32 v17, 29, v17 :: v_dual_bitop2_b32 v54, 7, v18 bitop3:0x40
; %bb.15782:                            ;   in Loop: Header=BB6_13467 Depth=2
	s_or_b32 exec_lo, exec_lo, s29
	s_delay_alu instid0(VALU_DEP_1) | instskip(NEXT) | instid1(VALU_DEP_2)
	v_dual_lshlrev_b32 v16, 24, v16 :: v_dual_lshlrev_b32 v18, 20, v54
	v_lshl_add_u32 v17, v17, 23, 0x3c000000
	s_delay_alu instid0(VALU_DEP_2) | instskip(NEXT) | instid1(VALU_DEP_1)
	v_and_b32_e32 v16, 0x80000000, v16
	v_or3_b32 v17, v18, v16, v17
.LBB6_15783:                            ;   in Loop: Header=BB6_13467 Depth=2
	s_or_b32 exec_lo, exec_lo, s28
.LBB6_15784:                            ;   in Loop: Header=BB6_13467 Depth=2
	s_delay_alu instid0(SALU_CYCLE_1)
	s_or_b32 exec_lo, exec_lo, s27
.LBB6_15785:                            ;   in Loop: Header=BB6_13467 Depth=2
	s_delay_alu instid0(SALU_CYCLE_1) | instskip(NEXT) | instid1(VALU_DEP_1)
	s_or_b32 exec_lo, exec_lo, s10
	v_mul_f32_e32 v16, s26, v17
                                        ; implicit-def: $vgpr119
	s_mov_b32 s10, exec_lo
	s_delay_alu instid0(VALU_DEP_1) | instskip(SKIP_1) | instid1(VALU_DEP_2)
	v_and_b32_e32 v54, 0x7f800000, v16
	v_lshrrev_b32_e32 v17, 24, v16
	v_cmpx_ne_u64_e32 0x7f800000, v[54:55]
	s_xor_b32 s27, exec_lo, s10
	s_cbranch_execz .LBB6_15799
; %bb.15786:                            ;   in Loop: Header=BB6_13467 Depth=2
	v_and_b32_e32 v54, 0x7fffffff, v16
	v_and_b32_e32 v64, 0x80, v17
                                        ; implicit-def: $vgpr119
	s_mov_b32 s10, exec_lo
	s_delay_alu instid0(VALU_DEP_2)
	v_cmpx_gt_u64_e32 0x43e00001, v[54:55]
	s_xor_b32 s28, exec_lo, s10
	s_cbranch_execz .LBB6_15796
; %bb.15787:                            ;   in Loop: Header=BB6_13467 Depth=2
	v_mov_b32_e32 v119, 0
	s_mov_b32 s29, exec_lo
	v_cmpx_ne_u32_e32 0, v16
	s_cbranch_execz .LBB6_15795
; %bb.15788:                            ;   in Loop: Header=BB6_13467 Depth=2
	v_bfe_u32 v65, v16, 23, 8
	v_and_b32_e32 v17, 0x7fffff, v16
	s_delay_alu instid0(VALU_DEP_2) | instskip(SKIP_2) | instid1(VALU_DEP_4)
	v_cmp_gt_u32_e64 s10, 0x7a, v65
	v_sub_nc_u32_e32 v16, 0x79, v65
	v_cmp_eq_u32_e32 vcc_lo, 0, v65
	v_or_b32_e32 v18, 0x800000, v17
	s_delay_alu instid0(VALU_DEP_1) | instskip(NEXT) | instid1(VALU_DEP_1)
	v_dual_cndmask_b32 v16, 0, v16, s10 :: v_dual_cndmask_b32 v54, v18, v17, vcc_lo
	v_cndmask_b32_e64 v86, v16, 0x78, vcc_lo
	s_delay_alu instid0(VALU_DEP_1) | instskip(NEXT) | instid1(VALU_DEP_1)
	v_dual_add_nc_u32 v16, 20, v86 :: v_dual_add_nc_u32 v18, 19, v86
	v_lshlrev_b64_e64 v[16:17], v16, -1
	s_delay_alu instid0(VALU_DEP_2) | instskip(NEXT) | instid1(VALU_DEP_2)
	v_lshlrev_b64_e64 v[18:19], v18, 1
	v_bfi_b32 v17, v17, 0, 0
	s_delay_alu instid0(VALU_DEP_3) | instskip(NEXT) | instid1(VALU_DEP_1)
	v_bfi_b32 v16, v16, 0, v54
	v_cmp_eq_u64_e64 s10, v[16:17], v[18:19]
	v_lshrrev_b64 v[16:17], v86, v[54:55]
	s_delay_alu instid0(VALU_DEP_1)
	v_mov_b64_e32 v[18:19], v[16:17]
	s_and_saveexec_b32 s40, s10
; %bb.15789:                            ;   in Loop: Header=BB6_13467 Depth=2
	v_bfe_u32 v54, v16, 20, 1
	s_delay_alu instid0(VALU_DEP_1) | instskip(NEXT) | instid1(VALU_DEP_1)
	v_add_nc_u64_e32 v[18:19], v[16:17], v[54:55]
	v_add_nc_u64_e32 v[18:19], -1, v[18:19]
; %bb.15790:                            ;   in Loop: Header=BB6_13467 Depth=2
	s_or_b32 exec_lo, exec_lo, s40
	v_add_nc_u32_e32 v17, 0xffffff81, v65
	v_lshrrev_b32_e32 v19, 23, v16
	s_mov_b32 s10, exec_lo
	s_delay_alu instid0(VALU_DEP_2) | instskip(NEXT) | instid1(VALU_DEP_1)
	v_cndmask_b32_e64 v17, v17, 0xffffff82, vcc_lo
	v_add3_u32 v65, v86, v17, v19
	v_and_b32_e32 v17, 0xfffff, v18
                                        ; implicit-def: $vgpr18
	s_delay_alu instid0(VALU_DEP_1) | instskip(NEXT) | instid1(VALU_DEP_1)
	v_dual_add_nc_u32 v19, 6, v65 :: v_dual_add_nc_u32 v54, v17, v16
                                        ; implicit-def: $vgpr16_vgpr17
	v_cmpx_ne_u32_e32 0, v19
	s_xor_b32 s10, exec_lo, s10
; %bb.15791:                            ;   in Loop: Header=BB6_13467 Depth=2
	s_delay_alu instid0(VALU_DEP_2) | instskip(SKIP_1) | instid1(VALU_DEP_1)
	v_cmp_lt_u64_e32 vcc_lo, 0xffffff, v[54:55]
	v_add_nc_u32_e32 v16, 7, v65
	v_cndmask_b32_e32 v18, v19, v16, vcc_lo
	v_cndmask_b32_e64 v16, 0, 1, vcc_lo
	s_delay_alu instid0(VALU_DEP_1)
	v_lshrrev_b64 v[16:17], v16, v[54:55]
; %bb.15792:                            ;   in Loop: Header=BB6_13467 Depth=2
	s_and_not1_saveexec_b32 s10, s10
; %bb.15793:                            ;   in Loop: Header=BB6_13467 Depth=2
	v_mov_b64_e32 v[16:17], v[54:55]
	v_bfe_u32 v18, v54, 23, 1
; %bb.15794:                            ;   in Loop: Header=BB6_13467 Depth=2
	s_or_b32 exec_lo, exec_lo, s10
	s_delay_alu instid0(VALU_DEP_2) | instskip(NEXT) | instid1(VALU_DEP_2)
	v_lshrrev_b64 v[16:17], 20, v[16:17]
	v_cmp_gt_i32_e32 vcc_lo, 16, v18
	v_min_i32_e32 v19, 15, v18
	v_cmp_eq_u32_e64 s10, 0, v18
	s_delay_alu instid0(VALU_DEP_2) | instskip(SKIP_1) | instid1(VALU_DEP_2)
	v_dual_cndmask_b32 v17, 0, v17, vcc_lo :: v_dual_lshlrev_b32 v19, 3, v19
	v_cndmask_b32_e32 v16, 7, v16, vcc_lo
	v_and_b32_e32 v19, 0xf8, v19
	s_delay_alu instid0(VALU_DEP_2) | instskip(NEXT) | instid1(VALU_DEP_2)
	v_cmp_eq_u64_e32 vcc_lo, 0, v[16:17]
	v_and_or_b32 v16, v16, 7, v19
	s_and_b32 s10, s10, vcc_lo
	s_delay_alu instid0(VALU_DEP_1) | instid1(SALU_CYCLE_1)
	v_cndmask_b32_e64 v16, v16, 0, s10
	s_delay_alu instid0(VALU_DEP_1)
	v_or_b32_e32 v119, v16, v64
.LBB6_15795:                            ;   in Loop: Header=BB6_13467 Depth=2
	s_or_b32 exec_lo, exec_lo, s29
                                        ; implicit-def: $vgpr64
.LBB6_15796:                            ;   in Loop: Header=BB6_13467 Depth=2
	s_and_not1_saveexec_b32 s10, s28
; %bb.15797:                            ;   in Loop: Header=BB6_13467 Depth=2
	v_or_b32_e32 v119, 0x7e, v64
; %bb.15798:                            ;   in Loop: Header=BB6_13467 Depth=2
	s_or_b32 exec_lo, exec_lo, s10
                                        ; implicit-def: $vgpr17
.LBB6_15799:                            ;   in Loop: Header=BB6_13467 Depth=2
	s_and_not1_saveexec_b32 s10, s27
; %bb.15800:                            ;   in Loop: Header=BB6_13467 Depth=2
	v_or_b32_e32 v119, 0x7f, v17
; %bb.15801:                            ;   in Loop: Header=BB6_13467 Depth=2
	s_or_b32 exec_lo, exec_lo, s10
	v_mov_b32_e32 v17, 0
	s_mov_b32 s10, exec_lo
	v_cmpx_lt_u32_e32 0xffffff, v10
	s_cbranch_execz .LBB6_15809
; %bb.15802:                            ;   in Loop: Header=BB6_13467 Depth=2
	v_lshrrev_b32_e32 v16, 24, v10
	v_bfrev_b32_e32 v17, 1
	s_mov_b32 s27, exec_lo
	s_delay_alu instid0(VALU_DEP_2)
	v_cmpx_ne_u32_e32 0x80, v16
	s_cbranch_execz .LBB6_15808
; %bb.15803:                            ;   in Loop: Header=BB6_13467 Depth=2
	v_bfe_u32 v18, v10, 24, 7
	v_mov_b32_e32 v17, 0x7f800001
	s_mov_b32 s28, exec_lo
	s_delay_alu instid0(VALU_DEP_2)
	v_cmpx_ne_u32_e32 0x7f, v18
	s_cbranch_execz .LBB6_15807
; %bb.15804:                            ;   in Loop: Header=BB6_13467 Depth=2
	v_dual_lshrrev_b32 v17, 3, v18 :: v_dual_bitop2_b32 v54, 7, v16 bitop3:0x40
	s_mov_b32 s29, exec_lo
	v_cmpx_gt_u32_e32 8, v18
; %bb.15805:                            ;   in Loop: Header=BB6_13467 Depth=2
	s_delay_alu instid0(VALU_DEP_2) | instskip(NEXT) | instid1(VALU_DEP_1)
	v_clz_i32_u32_e32 v17, v54
	v_min_u32_e32 v17, 32, v17
	s_delay_alu instid0(VALU_DEP_1) | instskip(NEXT) | instid1(VALU_DEP_1)
	v_subrev_nc_u32_e32 v18, 28, v17
	v_lshlrev_b64_e32 v[18:19], v18, v[54:55]
	s_delay_alu instid0(VALU_DEP_1)
	v_dual_sub_nc_u32 v17, 29, v17 :: v_dual_bitop2_b32 v54, 7, v18 bitop3:0x40
; %bb.15806:                            ;   in Loop: Header=BB6_13467 Depth=2
	s_or_b32 exec_lo, exec_lo, s29
	s_delay_alu instid0(VALU_DEP_1) | instskip(NEXT) | instid1(VALU_DEP_2)
	v_dual_lshlrev_b32 v16, 24, v16 :: v_dual_lshlrev_b32 v18, 20, v54
	v_lshl_add_u32 v17, v17, 23, 0x3c000000
	s_delay_alu instid0(VALU_DEP_2) | instskip(NEXT) | instid1(VALU_DEP_1)
	v_and_b32_e32 v16, 0x80000000, v16
	v_or3_b32 v17, v18, v16, v17
.LBB6_15807:                            ;   in Loop: Header=BB6_13467 Depth=2
	s_or_b32 exec_lo, exec_lo, s28
.LBB6_15808:                            ;   in Loop: Header=BB6_13467 Depth=2
	s_delay_alu instid0(SALU_CYCLE_1)
	s_or_b32 exec_lo, exec_lo, s27
.LBB6_15809:                            ;   in Loop: Header=BB6_13467 Depth=2
	s_delay_alu instid0(SALU_CYCLE_1) | instskip(NEXT) | instid1(VALU_DEP_1)
	s_or_b32 exec_lo, exec_lo, s10
	v_mul_f32_e32 v16, s26, v17
                                        ; implicit-def: $vgpr41
	s_mov_b32 s10, exec_lo
	s_delay_alu instid0(VALU_DEP_1) | instskip(SKIP_1) | instid1(VALU_DEP_2)
	v_and_b32_e32 v54, 0x7f800000, v16
	v_lshrrev_b32_e32 v17, 24, v16
	v_cmpx_ne_u64_e32 0x7f800000, v[54:55]
	s_xor_b32 s27, exec_lo, s10
	s_cbranch_execz .LBB6_15823
; %bb.15810:                            ;   in Loop: Header=BB6_13467 Depth=2
	v_and_b32_e32 v54, 0x7fffffff, v16
	v_and_b32_e32 v64, 0x80, v17
                                        ; implicit-def: $vgpr41
	s_mov_b32 s10, exec_lo
	s_delay_alu instid0(VALU_DEP_2)
	v_cmpx_gt_u64_e32 0x43e00001, v[54:55]
	s_xor_b32 s28, exec_lo, s10
	s_cbranch_execz .LBB6_15820
; %bb.15811:                            ;   in Loop: Header=BB6_13467 Depth=2
	v_mov_b32_e32 v41, 0
	s_mov_b32 s29, exec_lo
	v_cmpx_ne_u32_e32 0, v16
	s_cbranch_execz .LBB6_15819
; %bb.15812:                            ;   in Loop: Header=BB6_13467 Depth=2
	v_bfe_u32 v65, v16, 23, 8
	v_and_b32_e32 v17, 0x7fffff, v16
	s_delay_alu instid0(VALU_DEP_2) | instskip(SKIP_2) | instid1(VALU_DEP_4)
	v_cmp_gt_u32_e64 s10, 0x7a, v65
	v_sub_nc_u32_e32 v16, 0x79, v65
	v_cmp_eq_u32_e32 vcc_lo, 0, v65
	v_or_b32_e32 v18, 0x800000, v17
	s_delay_alu instid0(VALU_DEP_1) | instskip(NEXT) | instid1(VALU_DEP_1)
	v_dual_cndmask_b32 v16, 0, v16, s10 :: v_dual_cndmask_b32 v54, v18, v17, vcc_lo
	v_cndmask_b32_e64 v86, v16, 0x78, vcc_lo
	s_delay_alu instid0(VALU_DEP_1) | instskip(NEXT) | instid1(VALU_DEP_1)
	v_dual_add_nc_u32 v16, 20, v86 :: v_dual_add_nc_u32 v18, 19, v86
	v_lshlrev_b64_e64 v[16:17], v16, -1
	s_delay_alu instid0(VALU_DEP_2) | instskip(NEXT) | instid1(VALU_DEP_2)
	v_lshlrev_b64_e64 v[18:19], v18, 1
	v_bfi_b32 v17, v17, 0, 0
	s_delay_alu instid0(VALU_DEP_3) | instskip(NEXT) | instid1(VALU_DEP_1)
	v_bfi_b32 v16, v16, 0, v54
	v_cmp_eq_u64_e64 s10, v[16:17], v[18:19]
	v_lshrrev_b64 v[16:17], v86, v[54:55]
	s_delay_alu instid0(VALU_DEP_1)
	v_mov_b64_e32 v[18:19], v[16:17]
	s_and_saveexec_b32 s40, s10
; %bb.15813:                            ;   in Loop: Header=BB6_13467 Depth=2
	v_bfe_u32 v54, v16, 20, 1
	s_delay_alu instid0(VALU_DEP_1) | instskip(NEXT) | instid1(VALU_DEP_1)
	v_add_nc_u64_e32 v[18:19], v[16:17], v[54:55]
	v_add_nc_u64_e32 v[18:19], -1, v[18:19]
; %bb.15814:                            ;   in Loop: Header=BB6_13467 Depth=2
	s_or_b32 exec_lo, exec_lo, s40
	v_add_nc_u32_e32 v17, 0xffffff81, v65
	v_lshrrev_b32_e32 v19, 23, v16
	s_mov_b32 s10, exec_lo
	s_delay_alu instid0(VALU_DEP_2) | instskip(NEXT) | instid1(VALU_DEP_1)
	v_cndmask_b32_e64 v17, v17, 0xffffff82, vcc_lo
	v_add3_u32 v65, v86, v17, v19
	v_and_b32_e32 v17, 0xfffff, v18
                                        ; implicit-def: $vgpr18
	s_delay_alu instid0(VALU_DEP_1) | instskip(NEXT) | instid1(VALU_DEP_1)
	v_dual_add_nc_u32 v19, 6, v65 :: v_dual_add_nc_u32 v54, v17, v16
                                        ; implicit-def: $vgpr16_vgpr17
	v_cmpx_ne_u32_e32 0, v19
	s_xor_b32 s10, exec_lo, s10
; %bb.15815:                            ;   in Loop: Header=BB6_13467 Depth=2
	s_delay_alu instid0(VALU_DEP_2) | instskip(SKIP_1) | instid1(VALU_DEP_1)
	v_cmp_lt_u64_e32 vcc_lo, 0xffffff, v[54:55]
	v_add_nc_u32_e32 v16, 7, v65
	v_cndmask_b32_e32 v18, v19, v16, vcc_lo
	v_cndmask_b32_e64 v16, 0, 1, vcc_lo
	s_delay_alu instid0(VALU_DEP_1)
	v_lshrrev_b64 v[16:17], v16, v[54:55]
; %bb.15816:                            ;   in Loop: Header=BB6_13467 Depth=2
	s_and_not1_saveexec_b32 s10, s10
; %bb.15817:                            ;   in Loop: Header=BB6_13467 Depth=2
	v_mov_b64_e32 v[16:17], v[54:55]
	v_bfe_u32 v18, v54, 23, 1
; %bb.15818:                            ;   in Loop: Header=BB6_13467 Depth=2
	s_or_b32 exec_lo, exec_lo, s10
	s_delay_alu instid0(VALU_DEP_2) | instskip(NEXT) | instid1(VALU_DEP_2)
	v_lshrrev_b64 v[16:17], 20, v[16:17]
	v_cmp_gt_i32_e32 vcc_lo, 16, v18
	v_min_i32_e32 v19, 15, v18
	v_cmp_eq_u32_e64 s10, 0, v18
	s_delay_alu instid0(VALU_DEP_2) | instskip(SKIP_1) | instid1(VALU_DEP_2)
	v_dual_cndmask_b32 v17, 0, v17, vcc_lo :: v_dual_lshlrev_b32 v19, 3, v19
	v_cndmask_b32_e32 v16, 7, v16, vcc_lo
	v_and_b32_e32 v19, 0xf8, v19
	s_delay_alu instid0(VALU_DEP_2) | instskip(NEXT) | instid1(VALU_DEP_2)
	v_cmp_eq_u64_e32 vcc_lo, 0, v[16:17]
	v_and_or_b32 v16, v16, 7, v19
	s_and_b32 s10, s10, vcc_lo
	s_delay_alu instid0(VALU_DEP_1) | instid1(SALU_CYCLE_1)
	v_cndmask_b32_e64 v16, v16, 0, s10
	s_delay_alu instid0(VALU_DEP_1)
	v_or_b32_e32 v41, v16, v64
.LBB6_15819:                            ;   in Loop: Header=BB6_13467 Depth=2
	s_or_b32 exec_lo, exec_lo, s29
                                        ; implicit-def: $vgpr64
.LBB6_15820:                            ;   in Loop: Header=BB6_13467 Depth=2
	s_and_not1_saveexec_b32 s10, s28
; %bb.15821:                            ;   in Loop: Header=BB6_13467 Depth=2
	v_or_b32_e32 v41, 0x7e, v64
; %bb.15822:                            ;   in Loop: Header=BB6_13467 Depth=2
	s_or_b32 exec_lo, exec_lo, s10
                                        ; implicit-def: $vgpr17
.LBB6_15823:                            ;   in Loop: Header=BB6_13467 Depth=2
	s_and_not1_saveexec_b32 s10, s27
; %bb.15824:                            ;   in Loop: Header=BB6_13467 Depth=2
	v_or_b32_e32 v41, 0x7f, v17
; %bb.15825:                            ;   in Loop: Header=BB6_13467 Depth=2
	s_or_b32 exec_lo, exec_lo, s10
	v_and_b32_e32 v17, 0xff, v11
	v_dual_mov_b32 v54, v11 :: v_dual_mov_b32 v16, 0
	s_mov_b32 s10, exec_lo
	s_delay_alu instid0(VALU_DEP_2)
	v_cmpx_ne_u16_e32 0, v17
	s_cbranch_execz .LBB6_15831
; %bb.15826:                            ;   in Loop: Header=BB6_13467 Depth=2
	v_bfrev_b32_e32 v16, 1
	s_mov_b32 s27, exec_lo
	v_cmpx_ne_u16_e32 0x80, v17
	s_cbranch_execz .LBB6_15830
; %bb.15827:                            ;   in Loop: Header=BB6_13467 Depth=2
	v_and_b32_e32 v17, 0x7f, v11
	v_mov_b32_e32 v16, 0x7f800001
	s_mov_b32 s28, exec_lo
	s_delay_alu instid0(VALU_DEP_2)
	v_cmpx_ne_u32_e32 0x7f, v17
	s_cbranch_execz .LBB6_15829
; %bb.15828:                            ;   in Loop: Header=BB6_13467 Depth=2
	v_dual_lshrrev_b32 v18, 3, v17 :: v_dual_bitop2_b32 v16, 7, v11 bitop3:0x40
	v_cmp_gt_u32_e32 vcc_lo, 8, v17
	s_delay_alu instid0(VALU_DEP_2) | instskip(NEXT) | instid1(VALU_DEP_1)
	v_clz_i32_u32_e32 v16, v16
	v_min_u32_e32 v16, 32, v16
	s_delay_alu instid0(VALU_DEP_1) | instskip(SKIP_1) | instid1(VALU_DEP_1)
	v_subrev_nc_u32_e32 v17, 28, v16
	v_sub_nc_u32_e32 v16, 29, v16
	v_dual_cndmask_b32 v18, v18, v16, vcc_lo :: v_dual_cndmask_b32 v16, 0, v17, vcc_lo
	s_delay_alu instid0(VALU_DEP_1) | instskip(NEXT) | instid1(VALU_DEP_2)
	v_lshl_add_u32 v18, v18, 23, 0x3c000000
	v_lshlrev_b64_e32 v[16:17], v16, v[54:55]
	v_lshlrev_b32_e32 v17, 24, v54
	s_delay_alu instid0(VALU_DEP_1) | instskip(NEXT) | instid1(VALU_DEP_3)
	v_and_b32_e32 v17, 0x80000000, v17
	v_lshlrev_b32_e32 v16, 20, v16
	s_delay_alu instid0(VALU_DEP_1) | instskip(NEXT) | instid1(VALU_DEP_1)
	v_and_b32_e32 v16, 0x700000, v16
	v_or3_b32 v16, v16, v17, v18
.LBB6_15829:                            ;   in Loop: Header=BB6_13467 Depth=2
	s_or_b32 exec_lo, exec_lo, s28
.LBB6_15830:                            ;   in Loop: Header=BB6_13467 Depth=2
	s_delay_alu instid0(SALU_CYCLE_1)
	s_or_b32 exec_lo, exec_lo, s27
.LBB6_15831:                            ;   in Loop: Header=BB6_13467 Depth=2
	s_delay_alu instid0(SALU_CYCLE_1) | instskip(NEXT) | instid1(VALU_DEP_1)
	s_or_b32 exec_lo, exec_lo, s10
	v_dual_mul_f32 v16, s26, v16 :: v_dual_mov_b32 v19, v55
                                        ; implicit-def: $vgpr42
	s_mov_b32 s10, exec_lo
	s_delay_alu instid0(VALU_DEP_1) | instskip(SKIP_1) | instid1(VALU_DEP_2)
	v_and_b32_e32 v18, 0x7f800000, v16
	v_lshrrev_b32_e32 v17, 24, v16
	v_cmpx_ne_u64_e32 0x7f800000, v[18:19]
	s_xor_b32 s27, exec_lo, s10
	s_cbranch_execz .LBB6_15845
; %bb.15832:                            ;   in Loop: Header=BB6_13467 Depth=2
	v_and_b32_e32 v18, 0x7fffffff, v16
	v_mov_b32_e32 v19, v55
	v_and_b32_e32 v64, 0x80, v17
                                        ; implicit-def: $vgpr42
	s_mov_b32 s10, exec_lo
	s_delay_alu instid0(VALU_DEP_2)
	v_cmpx_gt_u64_e32 0x43e00001, v[18:19]
	s_xor_b32 s28, exec_lo, s10
	s_cbranch_execz .LBB6_15842
; %bb.15833:                            ;   in Loop: Header=BB6_13467 Depth=2
	v_mov_b32_e32 v42, 0
	s_mov_b32 s29, exec_lo
	v_cmpx_ne_u32_e32 0, v16
	s_cbranch_execz .LBB6_15841
; %bb.15834:                            ;   in Loop: Header=BB6_13467 Depth=2
	v_bfe_u32 v65, v16, 23, 8
	v_and_b32_e32 v17, 0x7fffff, v16
	s_delay_alu instid0(VALU_DEP_2) | instskip(SKIP_2) | instid1(VALU_DEP_4)
	v_cmp_gt_u32_e64 s10, 0x7a, v65
	v_sub_nc_u32_e32 v16, 0x79, v65
	v_cmp_eq_u32_e32 vcc_lo, 0, v65
	v_or_b32_e32 v18, 0x800000, v17
	s_delay_alu instid0(VALU_DEP_3) | instskip(NEXT) | instid1(VALU_DEP_1)
	v_cndmask_b32_e64 v16, 0, v16, s10
	v_cndmask_b32_e64 v86, v16, 0x78, vcc_lo
	s_delay_alu instid0(VALU_DEP_3) | instskip(NEXT) | instid1(VALU_DEP_2)
	v_dual_cndmask_b32 v16, v18, v17 :: v_dual_mov_b32 v17, v55
	v_dual_add_nc_u32 v18, 20, v86 :: v_dual_add_nc_u32 v96, 19, v86
	s_delay_alu instid0(VALU_DEP_1) | instskip(NEXT) | instid1(VALU_DEP_2)
	v_lshlrev_b64_e64 v[18:19], v18, -1
	v_lshlrev_b64_e64 v[42:43], v96, 1
	s_delay_alu instid0(VALU_DEP_2) | instskip(SKIP_1) | instid1(VALU_DEP_4)
	v_bfi_b32 v18, v18, 0, v16
	v_lshrrev_b64 v[16:17], v86, v[16:17]
	v_bfi_b32 v19, v19, 0, 0
	s_delay_alu instid0(VALU_DEP_1) | instskip(NEXT) | instid1(VALU_DEP_3)
	v_cmp_eq_u64_e64 s10, v[18:19], v[42:43]
	v_mov_b64_e32 v[18:19], v[16:17]
	s_and_saveexec_b32 s40, s10
; %bb.15835:                            ;   in Loop: Header=BB6_13467 Depth=2
	v_bfe_u32 v18, v16, 20, 1
	v_mov_b32_e32 v19, v55
	s_delay_alu instid0(VALU_DEP_1) | instskip(NEXT) | instid1(VALU_DEP_1)
	v_add_nc_u64_e32 v[18:19], v[16:17], v[18:19]
	v_add_nc_u64_e32 v[18:19], -1, v[18:19]
; %bb.15836:                            ;   in Loop: Header=BB6_13467 Depth=2
	s_or_b32 exec_lo, exec_lo, s40
	v_add_nc_u32_e32 v17, 0xffffff81, v65
	v_lshrrev_b32_e32 v19, 23, v16
	s_mov_b32 s10, exec_lo
	s_delay_alu instid0(VALU_DEP_2) | instskip(NEXT) | instid1(VALU_DEP_1)
	v_cndmask_b32_e64 v17, v17, 0xffffff82, vcc_lo
	v_add3_u32 v65, v86, v17, v19
	v_and_b32_e32 v17, 0xfffff, v18
                                        ; implicit-def: $vgpr18
	s_delay_alu instid0(VALU_DEP_1) | instskip(SKIP_1) | instid1(VALU_DEP_2)
	v_dual_add_nc_u32 v19, 6, v65 :: v_dual_add_nc_u32 v16, v17, v16
	v_mov_b32_e32 v17, v55
	v_cmpx_ne_u32_e32 0, v19
	s_xor_b32 s10, exec_lo, s10
; %bb.15837:                            ;   in Loop: Header=BB6_13467 Depth=2
	s_delay_alu instid0(VALU_DEP_2) | instskip(SKIP_1) | instid1(VALU_DEP_1)
	v_cmp_lt_u64_e32 vcc_lo, 0xffffff, v[16:17]
	v_add_nc_u32_e32 v18, 7, v65
	v_cndmask_b32_e32 v18, v19, v18, vcc_lo
	v_cndmask_b32_e64 v19, 0, 1, vcc_lo
	s_delay_alu instid0(VALU_DEP_1)
	v_lshrrev_b64 v[16:17], v19, v[16:17]
; %bb.15838:                            ;   in Loop: Header=BB6_13467 Depth=2
	s_and_not1_saveexec_b32 s10, s10
; %bb.15839:                            ;   in Loop: Header=BB6_13467 Depth=2
	s_delay_alu instid0(VALU_DEP_1)
	v_bfe_u32 v18, v16, 23, 1
; %bb.15840:                            ;   in Loop: Header=BB6_13467 Depth=2
	s_or_b32 exec_lo, exec_lo, s10
	s_delay_alu instid0(VALU_DEP_2) | instskip(NEXT) | instid1(VALU_DEP_2)
	v_lshrrev_b64 v[16:17], 20, v[16:17]
	v_cmp_gt_i32_e32 vcc_lo, 16, v18
	v_min_i32_e32 v19, 15, v18
	v_cmp_eq_u32_e64 s10, 0, v18
	s_delay_alu instid0(VALU_DEP_2) | instskip(SKIP_1) | instid1(VALU_DEP_2)
	v_dual_cndmask_b32 v17, 0, v17, vcc_lo :: v_dual_lshlrev_b32 v19, 3, v19
	v_cndmask_b32_e32 v16, 7, v16, vcc_lo
	v_and_b32_e32 v19, 0xf8, v19
	s_delay_alu instid0(VALU_DEP_2) | instskip(NEXT) | instid1(VALU_DEP_2)
	v_cmp_eq_u64_e32 vcc_lo, 0, v[16:17]
	v_and_or_b32 v16, v16, 7, v19
	s_and_b32 s10, s10, vcc_lo
	s_delay_alu instid0(VALU_DEP_1) | instid1(SALU_CYCLE_1)
	v_cndmask_b32_e64 v16, v16, 0, s10
	s_delay_alu instid0(VALU_DEP_1)
	v_or_b32_e32 v42, v16, v64
.LBB6_15841:                            ;   in Loop: Header=BB6_13467 Depth=2
	s_or_b32 exec_lo, exec_lo, s29
                                        ; implicit-def: $vgpr64
.LBB6_15842:                            ;   in Loop: Header=BB6_13467 Depth=2
	s_and_not1_saveexec_b32 s10, s28
; %bb.15843:                            ;   in Loop: Header=BB6_13467 Depth=2
	v_or_b32_e32 v42, 0x7e, v64
; %bb.15844:                            ;   in Loop: Header=BB6_13467 Depth=2
	s_or_b32 exec_lo, exec_lo, s10
                                        ; implicit-def: $vgpr17
.LBB6_15845:                            ;   in Loop: Header=BB6_13467 Depth=2
	s_and_not1_saveexec_b32 s10, s27
; %bb.15846:                            ;   in Loop: Header=BB6_13467 Depth=2
	v_or_b32_e32 v42, 0x7f, v17
; %bb.15847:                            ;   in Loop: Header=BB6_13467 Depth=2
	s_or_b32 exec_lo, exec_lo, s10
	v_lshrrev_b16 v17, 8, v54
	v_mov_b32_e32 v16, 0
	s_mov_b32 s10, exec_lo
	s_delay_alu instid0(VALU_DEP_2)
	v_cmpx_ne_u16_e32 0, v17
	s_cbranch_execz .LBB6_15855
; %bb.15848:                            ;   in Loop: Header=BB6_13467 Depth=2
	v_bfrev_b32_e32 v16, 1
	s_mov_b32 s27, exec_lo
	v_cmpx_ne_u16_e32 0x80, v17
	s_cbranch_execz .LBB6_15854
; %bb.15849:                            ;   in Loop: Header=BB6_13467 Depth=2
	v_and_b32_e32 v17, 0xffff, v17
	v_mov_b32_e32 v16, 0x7f800001
	s_mov_b32 s28, exec_lo
	s_delay_alu instid0(VALU_DEP_2) | instskip(NEXT) | instid1(VALU_DEP_1)
	v_and_b32_e32 v19, 0x7f, v17
	v_cmpx_ne_u32_e32 0x7f, v19
	s_cbranch_execz .LBB6_15853
; %bb.15850:                            ;   in Loop: Header=BB6_13467 Depth=2
	v_dual_mov_b32 v17, v55 :: v_dual_bitop2_b32 v16, 7, v17 bitop3:0x40
	v_lshrrev_b32_e32 v18, 3, v19
	s_mov_b32 s29, exec_lo
	v_cmpx_gt_u32_e32 8, v19
; %bb.15851:                            ;   in Loop: Header=BB6_13467 Depth=2
	s_delay_alu instid0(VALU_DEP_3) | instskip(NEXT) | instid1(VALU_DEP_1)
	v_clz_i32_u32_e32 v18, v16
	v_min_u32_e32 v18, 32, v18
	s_delay_alu instid0(VALU_DEP_1) | instskip(NEXT) | instid1(VALU_DEP_1)
	v_subrev_nc_u32_e32 v19, 28, v18
	v_lshlrev_b64_e32 v[16:17], v19, v[16:17]
	s_delay_alu instid0(VALU_DEP_1)
	v_dual_sub_nc_u32 v18, 29, v18 :: v_dual_bitop2_b32 v16, 7, v16 bitop3:0x40
; %bb.15852:                            ;   in Loop: Header=BB6_13467 Depth=2
	s_or_b32 exec_lo, exec_lo, s29
	s_delay_alu instid0(VALU_DEP_1) | instskip(NEXT) | instid1(VALU_DEP_2)
	v_dual_lshlrev_b32 v17, 16, v54 :: v_dual_lshlrev_b32 v16, 20, v16
	v_lshl_add_u32 v18, v18, 23, 0x3c000000
	s_delay_alu instid0(VALU_DEP_2) | instskip(NEXT) | instid1(VALU_DEP_1)
	v_and_b32_e32 v17, 0x80000000, v17
	v_or3_b32 v16, v16, v17, v18
.LBB6_15853:                            ;   in Loop: Header=BB6_13467 Depth=2
	s_or_b32 exec_lo, exec_lo, s28
.LBB6_15854:                            ;   in Loop: Header=BB6_13467 Depth=2
	s_delay_alu instid0(SALU_CYCLE_1)
	s_or_b32 exec_lo, exec_lo, s27
.LBB6_15855:                            ;   in Loop: Header=BB6_13467 Depth=2
	s_delay_alu instid0(SALU_CYCLE_1) | instskip(NEXT) | instid1(VALU_DEP_1)
	s_or_b32 exec_lo, exec_lo, s10
	v_mul_f32_e32 v16, s26, v16
                                        ; implicit-def: $vgpr96
	s_mov_b32 s10, exec_lo
	s_delay_alu instid0(VALU_DEP_1) | instskip(SKIP_1) | instid1(VALU_DEP_2)
	v_and_b32_e32 v54, 0x7f800000, v16
	v_lshrrev_b32_e32 v17, 24, v16
	v_cmpx_ne_u64_e32 0x7f800000, v[54:55]
	s_xor_b32 s27, exec_lo, s10
	s_cbranch_execz .LBB6_15869
; %bb.15856:                            ;   in Loop: Header=BB6_13467 Depth=2
	v_and_b32_e32 v54, 0x7fffffff, v16
	v_and_b32_e32 v64, 0x80, v17
                                        ; implicit-def: $vgpr96
	s_mov_b32 s10, exec_lo
	s_delay_alu instid0(VALU_DEP_2)
	v_cmpx_gt_u64_e32 0x43e00001, v[54:55]
	s_xor_b32 s28, exec_lo, s10
	s_cbranch_execz .LBB6_15866
; %bb.15857:                            ;   in Loop: Header=BB6_13467 Depth=2
	v_mov_b32_e32 v96, 0
	s_mov_b32 s29, exec_lo
	v_cmpx_ne_u32_e32 0, v16
	s_cbranch_execz .LBB6_15865
; %bb.15858:                            ;   in Loop: Header=BB6_13467 Depth=2
	v_bfe_u32 v65, v16, 23, 8
	v_and_b32_e32 v17, 0x7fffff, v16
	s_delay_alu instid0(VALU_DEP_2) | instskip(SKIP_2) | instid1(VALU_DEP_4)
	v_cmp_gt_u32_e64 s10, 0x7a, v65
	v_sub_nc_u32_e32 v16, 0x79, v65
	v_cmp_eq_u32_e32 vcc_lo, 0, v65
	v_or_b32_e32 v18, 0x800000, v17
	s_delay_alu instid0(VALU_DEP_1) | instskip(NEXT) | instid1(VALU_DEP_1)
	v_dual_cndmask_b32 v16, 0, v16, s10 :: v_dual_cndmask_b32 v54, v18, v17, vcc_lo
	v_cndmask_b32_e64 v86, v16, 0x78, vcc_lo
	s_delay_alu instid0(VALU_DEP_1) | instskip(NEXT) | instid1(VALU_DEP_1)
	v_dual_add_nc_u32 v16, 20, v86 :: v_dual_add_nc_u32 v18, 19, v86
	v_lshlrev_b64_e64 v[16:17], v16, -1
	s_delay_alu instid0(VALU_DEP_2) | instskip(NEXT) | instid1(VALU_DEP_2)
	v_lshlrev_b64_e64 v[18:19], v18, 1
	v_bfi_b32 v17, v17, 0, 0
	s_delay_alu instid0(VALU_DEP_3) | instskip(NEXT) | instid1(VALU_DEP_1)
	v_bfi_b32 v16, v16, 0, v54
	v_cmp_eq_u64_e64 s10, v[16:17], v[18:19]
	v_lshrrev_b64 v[16:17], v86, v[54:55]
	s_delay_alu instid0(VALU_DEP_1)
	v_mov_b64_e32 v[18:19], v[16:17]
	s_and_saveexec_b32 s40, s10
; %bb.15859:                            ;   in Loop: Header=BB6_13467 Depth=2
	v_bfe_u32 v54, v16, 20, 1
	s_delay_alu instid0(VALU_DEP_1) | instskip(NEXT) | instid1(VALU_DEP_1)
	v_add_nc_u64_e32 v[18:19], v[16:17], v[54:55]
	v_add_nc_u64_e32 v[18:19], -1, v[18:19]
; %bb.15860:                            ;   in Loop: Header=BB6_13467 Depth=2
	s_or_b32 exec_lo, exec_lo, s40
	v_add_nc_u32_e32 v17, 0xffffff81, v65
	v_lshrrev_b32_e32 v19, 23, v16
	s_mov_b32 s10, exec_lo
	s_delay_alu instid0(VALU_DEP_2) | instskip(NEXT) | instid1(VALU_DEP_1)
	v_cndmask_b32_e64 v17, v17, 0xffffff82, vcc_lo
	v_add3_u32 v65, v86, v17, v19
	v_and_b32_e32 v17, 0xfffff, v18
                                        ; implicit-def: $vgpr18
	s_delay_alu instid0(VALU_DEP_1) | instskip(NEXT) | instid1(VALU_DEP_1)
	v_dual_add_nc_u32 v19, 6, v65 :: v_dual_add_nc_u32 v54, v17, v16
                                        ; implicit-def: $vgpr16_vgpr17
	v_cmpx_ne_u32_e32 0, v19
	s_xor_b32 s10, exec_lo, s10
; %bb.15861:                            ;   in Loop: Header=BB6_13467 Depth=2
	s_delay_alu instid0(VALU_DEP_2) | instskip(SKIP_1) | instid1(VALU_DEP_1)
	v_cmp_lt_u64_e32 vcc_lo, 0xffffff, v[54:55]
	v_add_nc_u32_e32 v16, 7, v65
	v_cndmask_b32_e32 v18, v19, v16, vcc_lo
	v_cndmask_b32_e64 v16, 0, 1, vcc_lo
	s_delay_alu instid0(VALU_DEP_1)
	v_lshrrev_b64 v[16:17], v16, v[54:55]
; %bb.15862:                            ;   in Loop: Header=BB6_13467 Depth=2
	s_and_not1_saveexec_b32 s10, s10
; %bb.15863:                            ;   in Loop: Header=BB6_13467 Depth=2
	v_mov_b64_e32 v[16:17], v[54:55]
	v_bfe_u32 v18, v54, 23, 1
; %bb.15864:                            ;   in Loop: Header=BB6_13467 Depth=2
	s_or_b32 exec_lo, exec_lo, s10
	s_delay_alu instid0(VALU_DEP_2) | instskip(NEXT) | instid1(VALU_DEP_2)
	v_lshrrev_b64 v[16:17], 20, v[16:17]
	v_cmp_gt_i32_e32 vcc_lo, 16, v18
	v_min_i32_e32 v19, 15, v18
	v_cmp_eq_u32_e64 s10, 0, v18
	s_delay_alu instid0(VALU_DEP_2) | instskip(SKIP_1) | instid1(VALU_DEP_2)
	v_dual_cndmask_b32 v17, 0, v17, vcc_lo :: v_dual_lshlrev_b32 v19, 3, v19
	v_cndmask_b32_e32 v16, 7, v16, vcc_lo
	v_and_b32_e32 v19, 0xf8, v19
	s_delay_alu instid0(VALU_DEP_2) | instskip(NEXT) | instid1(VALU_DEP_2)
	v_cmp_eq_u64_e32 vcc_lo, 0, v[16:17]
	v_and_or_b32 v16, v16, 7, v19
	s_and_b32 s10, s10, vcc_lo
	s_delay_alu instid0(VALU_DEP_1) | instid1(SALU_CYCLE_1)
	v_cndmask_b32_e64 v16, v16, 0, s10
	s_delay_alu instid0(VALU_DEP_1)
	v_or_b32_e32 v96, v16, v64
.LBB6_15865:                            ;   in Loop: Header=BB6_13467 Depth=2
	s_or_b32 exec_lo, exec_lo, s29
                                        ; implicit-def: $vgpr64
.LBB6_15866:                            ;   in Loop: Header=BB6_13467 Depth=2
	s_and_not1_saveexec_b32 s10, s28
; %bb.15867:                            ;   in Loop: Header=BB6_13467 Depth=2
	v_or_b32_e32 v96, 0x7e, v64
; %bb.15868:                            ;   in Loop: Header=BB6_13467 Depth=2
	s_or_b32 exec_lo, exec_lo, s10
                                        ; implicit-def: $vgpr17
.LBB6_15869:                            ;   in Loop: Header=BB6_13467 Depth=2
	s_and_not1_saveexec_b32 s10, s27
; %bb.15870:                            ;   in Loop: Header=BB6_13467 Depth=2
	v_or_b32_e32 v96, 0x7f, v17
; %bb.15871:                            ;   in Loop: Header=BB6_13467 Depth=2
	s_or_b32 exec_lo, exec_lo, s10
	v_dual_mov_b32 v17, 0 :: v_dual_lshrrev_b32 v16, 16, v11
	s_mov_b32 s10, exec_lo
	s_delay_alu instid0(VALU_DEP_1) | instskip(NEXT) | instid1(VALU_DEP_1)
	v_and_b32_e32 v18, 0xff, v16
	v_cmpx_ne_u16_e32 0, v18
	s_cbranch_execz .LBB6_15879
; %bb.15872:                            ;   in Loop: Header=BB6_13467 Depth=2
	v_bfrev_b32_e32 v17, 1
	s_mov_b32 s27, exec_lo
	v_cmpx_ne_u16_e32 0x80, v18
	s_cbranch_execz .LBB6_15878
; %bb.15873:                            ;   in Loop: Header=BB6_13467 Depth=2
	v_bfe_u32 v18, v11, 16, 7
	v_mov_b32_e32 v17, 0x7f800001
	s_mov_b32 s28, exec_lo
	s_delay_alu instid0(VALU_DEP_2)
	v_cmpx_ne_u32_e32 0x7f, v18
	s_cbranch_execz .LBB6_15877
; %bb.15874:                            ;   in Loop: Header=BB6_13467 Depth=2
	v_dual_lshrrev_b32 v17, 3, v18 :: v_dual_bitop2_b32 v54, 7, v16 bitop3:0x40
	s_mov_b32 s29, exec_lo
	v_cmpx_gt_u32_e32 8, v18
; %bb.15875:                            ;   in Loop: Header=BB6_13467 Depth=2
	s_delay_alu instid0(VALU_DEP_2) | instskip(NEXT) | instid1(VALU_DEP_1)
	v_clz_i32_u32_e32 v17, v54
	v_min_u32_e32 v17, 32, v17
	s_delay_alu instid0(VALU_DEP_1) | instskip(NEXT) | instid1(VALU_DEP_1)
	v_subrev_nc_u32_e32 v18, 28, v17
	v_lshlrev_b64_e32 v[18:19], v18, v[54:55]
	s_delay_alu instid0(VALU_DEP_1)
	v_dual_sub_nc_u32 v17, 29, v17 :: v_dual_bitop2_b32 v54, 7, v18 bitop3:0x40
; %bb.15876:                            ;   in Loop: Header=BB6_13467 Depth=2
	s_or_b32 exec_lo, exec_lo, s29
	s_delay_alu instid0(VALU_DEP_1) | instskip(NEXT) | instid1(VALU_DEP_2)
	v_dual_lshlrev_b32 v16, 24, v16 :: v_dual_lshlrev_b32 v18, 20, v54
	v_lshl_add_u32 v17, v17, 23, 0x3c000000
	s_delay_alu instid0(VALU_DEP_2) | instskip(NEXT) | instid1(VALU_DEP_1)
	v_and_b32_e32 v16, 0x80000000, v16
	v_or3_b32 v17, v18, v16, v17
.LBB6_15877:                            ;   in Loop: Header=BB6_13467 Depth=2
	s_or_b32 exec_lo, exec_lo, s28
.LBB6_15878:                            ;   in Loop: Header=BB6_13467 Depth=2
	s_delay_alu instid0(SALU_CYCLE_1)
	s_or_b32 exec_lo, exec_lo, s27
.LBB6_15879:                            ;   in Loop: Header=BB6_13467 Depth=2
	s_delay_alu instid0(SALU_CYCLE_1) | instskip(NEXT) | instid1(VALU_DEP_1)
	s_or_b32 exec_lo, exec_lo, s10
	v_mul_f32_e32 v16, s26, v17
                                        ; implicit-def: $vgpr18
	s_mov_b32 s10, exec_lo
	s_delay_alu instid0(VALU_DEP_1) | instskip(SKIP_1) | instid1(VALU_DEP_2)
	v_and_b32_e32 v54, 0x7f800000, v16
	v_lshrrev_b32_e32 v17, 24, v16
	v_cmpx_ne_u64_e32 0x7f800000, v[54:55]
	s_xor_b32 s27, exec_lo, s10
	s_cbranch_execz .LBB6_15893
; %bb.15880:                            ;   in Loop: Header=BB6_13467 Depth=2
	v_and_b32_e32 v54, 0x7fffffff, v16
	v_and_b32_e32 v64, 0x80, v17
                                        ; implicit-def: $vgpr18
	s_mov_b32 s10, exec_lo
	s_delay_alu instid0(VALU_DEP_2)
	v_cmpx_gt_u64_e32 0x43e00001, v[54:55]
	s_xor_b32 s28, exec_lo, s10
	s_cbranch_execz .LBB6_15890
; %bb.15881:                            ;   in Loop: Header=BB6_13467 Depth=2
	v_mov_b32_e32 v18, 0
	s_mov_b32 s29, exec_lo
	v_cmpx_ne_u32_e32 0, v16
	s_cbranch_execz .LBB6_15889
; %bb.15882:                            ;   in Loop: Header=BB6_13467 Depth=2
	v_bfe_u32 v65, v16, 23, 8
	v_and_b32_e32 v17, 0x7fffff, v16
	s_delay_alu instid0(VALU_DEP_2) | instskip(SKIP_2) | instid1(VALU_DEP_4)
	v_cmp_gt_u32_e64 s10, 0x7a, v65
	v_sub_nc_u32_e32 v16, 0x79, v65
	v_cmp_eq_u32_e32 vcc_lo, 0, v65
	v_or_b32_e32 v18, 0x800000, v17
	s_delay_alu instid0(VALU_DEP_1) | instskip(NEXT) | instid1(VALU_DEP_1)
	v_dual_cndmask_b32 v16, 0, v16, s10 :: v_dual_cndmask_b32 v54, v18, v17, vcc_lo
	v_cndmask_b32_e64 v86, v16, 0x78, vcc_lo
	s_delay_alu instid0(VALU_DEP_1) | instskip(NEXT) | instid1(VALU_DEP_1)
	v_dual_add_nc_u32 v16, 20, v86 :: v_dual_add_nc_u32 v18, 19, v86
	v_lshlrev_b64_e64 v[16:17], v16, -1
	s_delay_alu instid0(VALU_DEP_2) | instskip(NEXT) | instid1(VALU_DEP_2)
	v_lshlrev_b64_e64 v[18:19], v18, 1
	v_bfi_b32 v17, v17, 0, 0
	s_delay_alu instid0(VALU_DEP_3) | instskip(NEXT) | instid1(VALU_DEP_1)
	v_bfi_b32 v16, v16, 0, v54
	v_cmp_eq_u64_e64 s10, v[16:17], v[18:19]
	v_lshrrev_b64 v[16:17], v86, v[54:55]
	s_delay_alu instid0(VALU_DEP_1)
	v_mov_b64_e32 v[18:19], v[16:17]
	s_and_saveexec_b32 s40, s10
; %bb.15883:                            ;   in Loop: Header=BB6_13467 Depth=2
	v_bfe_u32 v54, v16, 20, 1
	s_delay_alu instid0(VALU_DEP_1) | instskip(NEXT) | instid1(VALU_DEP_1)
	v_add_nc_u64_e32 v[18:19], v[16:17], v[54:55]
	v_add_nc_u64_e32 v[18:19], -1, v[18:19]
; %bb.15884:                            ;   in Loop: Header=BB6_13467 Depth=2
	s_or_b32 exec_lo, exec_lo, s40
	v_add_nc_u32_e32 v17, 0xffffff81, v65
	v_lshrrev_b32_e32 v19, 23, v16
	s_mov_b32 s10, exec_lo
	s_delay_alu instid0(VALU_DEP_2) | instskip(NEXT) | instid1(VALU_DEP_1)
	v_cndmask_b32_e64 v17, v17, 0xffffff82, vcc_lo
	v_add3_u32 v65, v86, v17, v19
	v_and_b32_e32 v17, 0xfffff, v18
                                        ; implicit-def: $vgpr18
	s_delay_alu instid0(VALU_DEP_1) | instskip(NEXT) | instid1(VALU_DEP_1)
	v_dual_add_nc_u32 v19, 6, v65 :: v_dual_add_nc_u32 v54, v17, v16
                                        ; implicit-def: $vgpr16_vgpr17
	v_cmpx_ne_u32_e32 0, v19
	s_xor_b32 s10, exec_lo, s10
; %bb.15885:                            ;   in Loop: Header=BB6_13467 Depth=2
	s_delay_alu instid0(VALU_DEP_2) | instskip(SKIP_1) | instid1(VALU_DEP_1)
	v_cmp_lt_u64_e32 vcc_lo, 0xffffff, v[54:55]
	v_add_nc_u32_e32 v16, 7, v65
	v_cndmask_b32_e32 v18, v19, v16, vcc_lo
	v_cndmask_b32_e64 v16, 0, 1, vcc_lo
	s_delay_alu instid0(VALU_DEP_1)
	v_lshrrev_b64 v[16:17], v16, v[54:55]
; %bb.15886:                            ;   in Loop: Header=BB6_13467 Depth=2
	s_and_not1_saveexec_b32 s10, s10
; %bb.15887:                            ;   in Loop: Header=BB6_13467 Depth=2
	v_mov_b64_e32 v[16:17], v[54:55]
	v_bfe_u32 v18, v54, 23, 1
; %bb.15888:                            ;   in Loop: Header=BB6_13467 Depth=2
	s_or_b32 exec_lo, exec_lo, s10
	s_delay_alu instid0(VALU_DEP_2) | instskip(NEXT) | instid1(VALU_DEP_2)
	v_lshrrev_b64 v[16:17], 20, v[16:17]
	v_cmp_gt_i32_e32 vcc_lo, 16, v18
	v_min_i32_e32 v19, 15, v18
	v_cmp_eq_u32_e64 s10, 0, v18
	s_delay_alu instid0(VALU_DEP_2) | instskip(SKIP_1) | instid1(VALU_DEP_2)
	v_dual_cndmask_b32 v17, 0, v17, vcc_lo :: v_dual_lshlrev_b32 v19, 3, v19
	v_cndmask_b32_e32 v16, 7, v16, vcc_lo
	v_and_b32_e32 v19, 0xf8, v19
	s_delay_alu instid0(VALU_DEP_2) | instskip(NEXT) | instid1(VALU_DEP_2)
	v_cmp_eq_u64_e32 vcc_lo, 0, v[16:17]
	v_and_or_b32 v16, v16, 7, v19
	s_and_b32 s10, s10, vcc_lo
	s_delay_alu instid0(VALU_DEP_1) | instid1(SALU_CYCLE_1)
	v_cndmask_b32_e64 v16, v16, 0, s10
	s_delay_alu instid0(VALU_DEP_1)
	v_or_b32_e32 v18, v16, v64
.LBB6_15889:                            ;   in Loop: Header=BB6_13467 Depth=2
	s_or_b32 exec_lo, exec_lo, s29
                                        ; implicit-def: $vgpr64
.LBB6_15890:                            ;   in Loop: Header=BB6_13467 Depth=2
	s_and_not1_saveexec_b32 s10, s28
; %bb.15891:                            ;   in Loop: Header=BB6_13467 Depth=2
	v_or_b32_e32 v18, 0x7e, v64
; %bb.15892:                            ;   in Loop: Header=BB6_13467 Depth=2
	s_or_b32 exec_lo, exec_lo, s10
                                        ; implicit-def: $vgpr17
.LBB6_15893:                            ;   in Loop: Header=BB6_13467 Depth=2
	s_and_not1_saveexec_b32 s10, s27
; %bb.15894:                            ;   in Loop: Header=BB6_13467 Depth=2
	v_or_b32_e32 v18, 0x7f, v17
; %bb.15895:                            ;   in Loop: Header=BB6_13467 Depth=2
	s_or_b32 exec_lo, exec_lo, s10
	v_mov_b32_e32 v16, 0
	s_mov_b32 s10, exec_lo
	v_cmpx_lt_u64_e64 s[12:13], v[10:11]
	s_cbranch_execz .LBB6_15903
; %bb.15896:                            ;   in Loop: Header=BB6_13467 Depth=2
	v_lshrrev_b32_e32 v10, 24, v11
	v_bfrev_b32_e32 v16, 1
	s_mov_b32 s27, exec_lo
	s_delay_alu instid0(VALU_DEP_2)
	v_cmpx_ne_u32_e32 0x80, v10
	s_cbranch_execz .LBB6_15902
; %bb.15897:                            ;   in Loop: Header=BB6_13467 Depth=2
	v_bfe_u32 v17, v11, 24, 7
	v_mov_b32_e32 v16, 0x7f800001
	s_mov_b32 s28, exec_lo
	s_delay_alu instid0(VALU_DEP_2)
	v_cmpx_ne_u32_e32 0x7f, v17
	s_cbranch_execz .LBB6_15901
; %bb.15898:                            ;   in Loop: Header=BB6_13467 Depth=2
	v_dual_lshrrev_b32 v11, 3, v17 :: v_dual_bitop2_b32 v54, 7, v10 bitop3:0x40
	s_mov_b32 s29, exec_lo
	v_cmpx_gt_u32_e32 8, v17
; %bb.15899:                            ;   in Loop: Header=BB6_13467 Depth=2
	s_delay_alu instid0(VALU_DEP_2) | instskip(NEXT) | instid1(VALU_DEP_1)
	v_clz_i32_u32_e32 v11, v54
	v_min_u32_e32 v11, 32, v11
	s_delay_alu instid0(VALU_DEP_1) | instskip(NEXT) | instid1(VALU_DEP_1)
	v_subrev_nc_u32_e32 v16, 28, v11
	v_lshlrev_b64_e32 v[16:17], v16, v[54:55]
	s_delay_alu instid0(VALU_DEP_1)
	v_dual_sub_nc_u32 v11, 29, v11 :: v_dual_bitop2_b32 v54, 7, v16 bitop3:0x40
; %bb.15900:                            ;   in Loop: Header=BB6_13467 Depth=2
	s_or_b32 exec_lo, exec_lo, s29
	v_lshlrev_b32_e32 v10, 24, v10
	s_delay_alu instid0(VALU_DEP_2) | instskip(NEXT) | instid1(VALU_DEP_3)
	v_lshlrev_b32_e32 v16, 20, v54
	v_lshl_add_u32 v11, v11, 23, 0x3c000000
	s_delay_alu instid0(VALU_DEP_3) | instskip(NEXT) | instid1(VALU_DEP_1)
	v_and_b32_e32 v10, 0x80000000, v10
	v_or3_b32 v16, v16, v10, v11
.LBB6_15901:                            ;   in Loop: Header=BB6_13467 Depth=2
	s_or_b32 exec_lo, exec_lo, s28
.LBB6_15902:                            ;   in Loop: Header=BB6_13467 Depth=2
	s_delay_alu instid0(SALU_CYCLE_1)
	s_or_b32 exec_lo, exec_lo, s27
.LBB6_15903:                            ;   in Loop: Header=BB6_13467 Depth=2
	s_delay_alu instid0(SALU_CYCLE_1) | instskip(NEXT) | instid1(VALU_DEP_1)
	s_or_b32 exec_lo, exec_lo, s10
	v_mul_f32_e32 v10, s26, v16
                                        ; implicit-def: $vgpr19
	s_mov_b32 s10, exec_lo
	s_delay_alu instid0(VALU_DEP_1) | instskip(SKIP_1) | instid1(VALU_DEP_2)
	v_and_b32_e32 v54, 0x7f800000, v10
	v_lshrrev_b32_e32 v11, 24, v10
	v_cmpx_ne_u64_e32 0x7f800000, v[54:55]
	s_xor_b32 s27, exec_lo, s10
	s_cbranch_execz .LBB6_15917
; %bb.15904:                            ;   in Loop: Header=BB6_13467 Depth=2
	v_and_b32_e32 v54, 0x7fffffff, v10
	v_and_b32_e32 v64, 0x80, v11
                                        ; implicit-def: $vgpr19
	s_mov_b32 s10, exec_lo
	s_delay_alu instid0(VALU_DEP_2)
	v_cmpx_gt_u64_e32 0x43e00001, v[54:55]
	s_xor_b32 s28, exec_lo, s10
	s_cbranch_execz .LBB6_15914
; %bb.15905:                            ;   in Loop: Header=BB6_13467 Depth=2
	v_mov_b32_e32 v19, 0
	s_mov_b32 s29, exec_lo
	v_cmpx_ne_u32_e32 0, v10
	s_cbranch_execz .LBB6_15913
; %bb.15906:                            ;   in Loop: Header=BB6_13467 Depth=2
	v_bfe_u32 v19, v10, 23, 8
	v_and_b32_e32 v11, 0x7fffff, v10
	s_delay_alu instid0(VALU_DEP_2) | instskip(SKIP_2) | instid1(VALU_DEP_4)
	v_cmp_gt_u32_e64 s10, 0x7a, v19
	v_sub_nc_u32_e32 v10, 0x79, v19
	v_cmp_eq_u32_e32 vcc_lo, 0, v19
	v_or_b32_e32 v16, 0x800000, v11
	s_delay_alu instid0(VALU_DEP_1) | instskip(NEXT) | instid1(VALU_DEP_1)
	v_dual_cndmask_b32 v10, 0, v10, s10 :: v_dual_cndmask_b32 v54, v16, v11, vcc_lo
	v_cndmask_b32_e64 v65, v10, 0x78, vcc_lo
	s_delay_alu instid0(VALU_DEP_1) | instskip(NEXT) | instid1(VALU_DEP_1)
	v_dual_add_nc_u32 v10, 20, v65 :: v_dual_add_nc_u32 v16, 19, v65
	v_lshlrev_b64_e64 v[10:11], v10, -1
	s_delay_alu instid0(VALU_DEP_2) | instskip(NEXT) | instid1(VALU_DEP_2)
	v_lshlrev_b64_e64 v[16:17], v16, 1
	v_bfi_b32 v11, v11, 0, 0
	s_delay_alu instid0(VALU_DEP_3) | instskip(NEXT) | instid1(VALU_DEP_1)
	v_bfi_b32 v10, v10, 0, v54
	v_cmp_eq_u64_e64 s10, v[10:11], v[16:17]
	v_lshrrev_b64 v[10:11], v65, v[54:55]
	s_delay_alu instid0(VALU_DEP_1)
	v_mov_b64_e32 v[16:17], v[10:11]
	s_and_saveexec_b32 s40, s10
; %bb.15907:                            ;   in Loop: Header=BB6_13467 Depth=2
	v_bfe_u32 v54, v10, 20, 1
	s_delay_alu instid0(VALU_DEP_1) | instskip(NEXT) | instid1(VALU_DEP_1)
	v_add_nc_u64_e32 v[16:17], v[10:11], v[54:55]
	v_add_nc_u64_e32 v[16:17], -1, v[16:17]
; %bb.15908:                            ;   in Loop: Header=BB6_13467 Depth=2
	s_or_b32 exec_lo, exec_lo, s40
	v_add_nc_u32_e32 v11, 0xffffff81, v19
	v_lshrrev_b32_e32 v17, 23, v10
	s_mov_b32 s10, exec_lo
	s_delay_alu instid0(VALU_DEP_2) | instskip(NEXT) | instid1(VALU_DEP_1)
	v_cndmask_b32_e64 v11, v11, 0xffffff82, vcc_lo
	v_add3_u32 v19, v65, v11, v17
	v_and_b32_e32 v11, 0xfffff, v16
                                        ; implicit-def: $vgpr16
	s_delay_alu instid0(VALU_DEP_1) | instskip(NEXT) | instid1(VALU_DEP_1)
	v_dual_add_nc_u32 v17, 6, v19 :: v_dual_add_nc_u32 v54, v11, v10
                                        ; implicit-def: $vgpr10_vgpr11
	v_cmpx_ne_u32_e32 0, v17
	s_xor_b32 s10, exec_lo, s10
; %bb.15909:                            ;   in Loop: Header=BB6_13467 Depth=2
	s_delay_alu instid0(VALU_DEP_2) | instskip(SKIP_1) | instid1(VALU_DEP_1)
	v_cmp_lt_u64_e32 vcc_lo, 0xffffff, v[54:55]
	v_add_nc_u32_e32 v10, 7, v19
	v_cndmask_b32_e32 v16, v17, v10, vcc_lo
	v_cndmask_b32_e64 v10, 0, 1, vcc_lo
	s_delay_alu instid0(VALU_DEP_1)
	v_lshrrev_b64 v[10:11], v10, v[54:55]
; %bb.15910:                            ;   in Loop: Header=BB6_13467 Depth=2
	s_and_not1_saveexec_b32 s10, s10
; %bb.15911:                            ;   in Loop: Header=BB6_13467 Depth=2
	v_mov_b64_e32 v[10:11], v[54:55]
	v_bfe_u32 v16, v54, 23, 1
; %bb.15912:                            ;   in Loop: Header=BB6_13467 Depth=2
	s_or_b32 exec_lo, exec_lo, s10
	s_delay_alu instid0(VALU_DEP_2) | instskip(NEXT) | instid1(VALU_DEP_2)
	v_lshrrev_b64 v[10:11], 20, v[10:11]
	v_cmp_gt_i32_e32 vcc_lo, 16, v16
	v_min_i32_e32 v17, 15, v16
	v_cmp_eq_u32_e64 s10, 0, v16
	s_delay_alu instid0(VALU_DEP_2) | instskip(SKIP_1) | instid1(VALU_DEP_2)
	v_dual_cndmask_b32 v11, 0, v11, vcc_lo :: v_dual_lshlrev_b32 v17, 3, v17
	v_cndmask_b32_e32 v10, 7, v10, vcc_lo
	v_and_b32_e32 v17, 0xf8, v17
	s_delay_alu instid0(VALU_DEP_2) | instskip(NEXT) | instid1(VALU_DEP_2)
	v_cmp_eq_u64_e32 vcc_lo, 0, v[10:11]
	v_and_or_b32 v10, v10, 7, v17
	s_and_b32 s10, s10, vcc_lo
	s_delay_alu instid0(VALU_DEP_1) | instid1(SALU_CYCLE_1)
	v_cndmask_b32_e64 v10, v10, 0, s10
	s_delay_alu instid0(VALU_DEP_1)
	v_or_b32_e32 v19, v10, v64
.LBB6_15913:                            ;   in Loop: Header=BB6_13467 Depth=2
	s_or_b32 exec_lo, exec_lo, s29
                                        ; implicit-def: $vgpr64
.LBB6_15914:                            ;   in Loop: Header=BB6_13467 Depth=2
	s_and_not1_saveexec_b32 s10, s28
; %bb.15915:                            ;   in Loop: Header=BB6_13467 Depth=2
	v_or_b32_e32 v19, 0x7e, v64
; %bb.15916:                            ;   in Loop: Header=BB6_13467 Depth=2
	s_or_b32 exec_lo, exec_lo, s10
                                        ; implicit-def: $vgpr11
.LBB6_15917:                            ;   in Loop: Header=BB6_13467 Depth=2
	s_and_not1_saveexec_b32 s10, s27
; %bb.15918:                            ;   in Loop: Header=BB6_13467 Depth=2
	v_or_b32_e32 v19, 0x7f, v11
; %bb.15919:                            ;   in Loop: Header=BB6_13467 Depth=2
	s_or_b32 exec_lo, exec_lo, s10
	v_and_b32_e32 v11, 0xff, v12
	v_mov_b32_e32 v10, 0
	s_mov_b32 s10, exec_lo
	s_delay_alu instid0(VALU_DEP_2)
	v_cmpx_ne_u16_e32 0, v11
	s_cbranch_execz .LBB6_15925
; %bb.15920:                            ;   in Loop: Header=BB6_13467 Depth=2
	v_bfrev_b32_e32 v10, 1
	s_mov_b32 s27, exec_lo
	v_cmpx_ne_u16_e32 0x80, v11
	s_cbranch_execz .LBB6_15924
; %bb.15921:                            ;   in Loop: Header=BB6_13467 Depth=2
	v_and_b32_e32 v11, 0x7f, v12
	v_mov_b32_e32 v10, 0x7f800001
	s_mov_b32 s28, exec_lo
	s_delay_alu instid0(VALU_DEP_2)
	v_cmpx_ne_u32_e32 0x7f, v11
	s_cbranch_execz .LBB6_15923
; %bb.15922:                            ;   in Loop: Header=BB6_13467 Depth=2
	v_dual_lshrrev_b32 v16, 3, v11 :: v_dual_bitop2_b32 v10, 7, v12 bitop3:0x40
	v_cmp_gt_u32_e32 vcc_lo, 8, v11
	s_delay_alu instid0(VALU_DEP_2) | instskip(NEXT) | instid1(VALU_DEP_1)
	v_clz_i32_u32_e32 v10, v10
	v_min_u32_e32 v10, 32, v10
	s_delay_alu instid0(VALU_DEP_1) | instskip(SKIP_1) | instid1(VALU_DEP_1)
	v_subrev_nc_u32_e32 v11, 28, v10
	v_sub_nc_u32_e32 v10, 29, v10
	v_dual_cndmask_b32 v16, v16, v10, vcc_lo :: v_dual_cndmask_b32 v10, 0, v11, vcc_lo
	s_delay_alu instid0(VALU_DEP_1) | instskip(NEXT) | instid1(VALU_DEP_2)
	v_lshl_add_u32 v16, v16, 23, 0x3c000000
	v_lshlrev_b64_e32 v[10:11], v10, v[12:13]
	v_lshlrev_b32_e32 v11, 24, v12
	s_delay_alu instid0(VALU_DEP_1) | instskip(NEXT) | instid1(VALU_DEP_3)
	v_and_b32_e32 v11, 0x80000000, v11
	v_lshlrev_b32_e32 v10, 20, v10
	s_delay_alu instid0(VALU_DEP_1) | instskip(NEXT) | instid1(VALU_DEP_1)
	v_and_b32_e32 v10, 0x700000, v10
	v_or3_b32 v10, v10, v11, v16
.LBB6_15923:                            ;   in Loop: Header=BB6_13467 Depth=2
	s_or_b32 exec_lo, exec_lo, s28
.LBB6_15924:                            ;   in Loop: Header=BB6_13467 Depth=2
	s_delay_alu instid0(SALU_CYCLE_1)
	s_or_b32 exec_lo, exec_lo, s27
.LBB6_15925:                            ;   in Loop: Header=BB6_13467 Depth=2
	s_delay_alu instid0(SALU_CYCLE_1) | instskip(NEXT) | instid1(VALU_DEP_1)
	s_or_b32 exec_lo, exec_lo, s10
	v_mul_f32_e32 v10, s26, v10
                                        ; implicit-def: $vgpr43
	s_mov_b32 s10, exec_lo
	s_delay_alu instid0(VALU_DEP_1) | instskip(SKIP_1) | instid1(VALU_DEP_2)
	v_and_b32_e32 v54, 0x7f800000, v10
	v_lshrrev_b32_e32 v11, 24, v10
	v_cmpx_ne_u64_e32 0x7f800000, v[54:55]
	s_xor_b32 s27, exec_lo, s10
	s_cbranch_execz .LBB6_15939
; %bb.15926:                            ;   in Loop: Header=BB6_13467 Depth=2
	v_and_b32_e32 v54, 0x7fffffff, v10
	v_and_b32_e32 v64, 0x80, v11
                                        ; implicit-def: $vgpr43
	s_mov_b32 s10, exec_lo
	s_delay_alu instid0(VALU_DEP_2)
	v_cmpx_gt_u64_e32 0x43e00001, v[54:55]
	s_xor_b32 s28, exec_lo, s10
	s_cbranch_execz .LBB6_15936
; %bb.15927:                            ;   in Loop: Header=BB6_13467 Depth=2
	v_mov_b32_e32 v43, 0
	s_mov_b32 s29, exec_lo
	v_cmpx_ne_u32_e32 0, v10
	s_cbranch_execz .LBB6_15935
; %bb.15928:                            ;   in Loop: Header=BB6_13467 Depth=2
	v_bfe_u32 v65, v10, 23, 8
	v_and_b32_e32 v11, 0x7fffff, v10
	s_delay_alu instid0(VALU_DEP_2) | instskip(SKIP_2) | instid1(VALU_DEP_4)
	v_cmp_gt_u32_e64 s10, 0x7a, v65
	v_sub_nc_u32_e32 v10, 0x79, v65
	v_cmp_eq_u32_e32 vcc_lo, 0, v65
	v_or_b32_e32 v16, 0x800000, v11
	s_delay_alu instid0(VALU_DEP_1) | instskip(NEXT) | instid1(VALU_DEP_1)
	v_dual_cndmask_b32 v10, 0, v10, s10 :: v_dual_cndmask_b32 v54, v16, v11, vcc_lo
	v_cndmask_b32_e64 v86, v10, 0x78, vcc_lo
	s_delay_alu instid0(VALU_DEP_1) | instskip(NEXT) | instid1(VALU_DEP_1)
	v_dual_add_nc_u32 v10, 20, v86 :: v_dual_add_nc_u32 v16, 19, v86
	v_lshlrev_b64_e64 v[10:11], v10, -1
	s_delay_alu instid0(VALU_DEP_2) | instskip(NEXT) | instid1(VALU_DEP_2)
	v_lshlrev_b64_e64 v[16:17], v16, 1
	v_bfi_b32 v11, v11, 0, 0
	s_delay_alu instid0(VALU_DEP_3) | instskip(NEXT) | instid1(VALU_DEP_1)
	v_bfi_b32 v10, v10, 0, v54
	v_cmp_eq_u64_e64 s10, v[10:11], v[16:17]
	v_lshrrev_b64 v[10:11], v86, v[54:55]
	s_delay_alu instid0(VALU_DEP_1)
	v_mov_b64_e32 v[16:17], v[10:11]
	s_and_saveexec_b32 s40, s10
; %bb.15929:                            ;   in Loop: Header=BB6_13467 Depth=2
	v_bfe_u32 v54, v10, 20, 1
	s_delay_alu instid0(VALU_DEP_1) | instskip(NEXT) | instid1(VALU_DEP_1)
	v_add_nc_u64_e32 v[16:17], v[10:11], v[54:55]
	v_add_nc_u64_e32 v[16:17], -1, v[16:17]
; %bb.15930:                            ;   in Loop: Header=BB6_13467 Depth=2
	s_or_b32 exec_lo, exec_lo, s40
	v_add_nc_u32_e32 v11, 0xffffff81, v65
	v_lshrrev_b32_e32 v17, 23, v10
	s_mov_b32 s10, exec_lo
	s_delay_alu instid0(VALU_DEP_2) | instskip(NEXT) | instid1(VALU_DEP_1)
	v_cndmask_b32_e64 v11, v11, 0xffffff82, vcc_lo
	v_add3_u32 v65, v86, v11, v17
	v_and_b32_e32 v11, 0xfffff, v16
                                        ; implicit-def: $vgpr16
	s_delay_alu instid0(VALU_DEP_1) | instskip(NEXT) | instid1(VALU_DEP_1)
	v_dual_add_nc_u32 v17, 6, v65 :: v_dual_add_nc_u32 v54, v11, v10
                                        ; implicit-def: $vgpr10_vgpr11
	v_cmpx_ne_u32_e32 0, v17
	s_xor_b32 s10, exec_lo, s10
; %bb.15931:                            ;   in Loop: Header=BB6_13467 Depth=2
	s_delay_alu instid0(VALU_DEP_2) | instskip(SKIP_1) | instid1(VALU_DEP_1)
	v_cmp_lt_u64_e32 vcc_lo, 0xffffff, v[54:55]
	v_add_nc_u32_e32 v10, 7, v65
	v_cndmask_b32_e32 v16, v17, v10, vcc_lo
	v_cndmask_b32_e64 v10, 0, 1, vcc_lo
	s_delay_alu instid0(VALU_DEP_1)
	v_lshrrev_b64 v[10:11], v10, v[54:55]
; %bb.15932:                            ;   in Loop: Header=BB6_13467 Depth=2
	s_and_not1_saveexec_b32 s10, s10
; %bb.15933:                            ;   in Loop: Header=BB6_13467 Depth=2
	v_mov_b64_e32 v[10:11], v[54:55]
	v_bfe_u32 v16, v54, 23, 1
; %bb.15934:                            ;   in Loop: Header=BB6_13467 Depth=2
	s_or_b32 exec_lo, exec_lo, s10
	s_delay_alu instid0(VALU_DEP_2) | instskip(NEXT) | instid1(VALU_DEP_2)
	v_lshrrev_b64 v[10:11], 20, v[10:11]
	v_cmp_gt_i32_e32 vcc_lo, 16, v16
	v_min_i32_e32 v17, 15, v16
	v_cmp_eq_u32_e64 s10, 0, v16
	s_delay_alu instid0(VALU_DEP_2) | instskip(SKIP_1) | instid1(VALU_DEP_2)
	v_dual_cndmask_b32 v11, 0, v11, vcc_lo :: v_dual_lshlrev_b32 v17, 3, v17
	v_cndmask_b32_e32 v10, 7, v10, vcc_lo
	v_and_b32_e32 v17, 0xf8, v17
	s_delay_alu instid0(VALU_DEP_2) | instskip(NEXT) | instid1(VALU_DEP_2)
	v_cmp_eq_u64_e32 vcc_lo, 0, v[10:11]
	v_and_or_b32 v10, v10, 7, v17
	s_and_b32 s10, s10, vcc_lo
	s_delay_alu instid0(VALU_DEP_1) | instid1(SALU_CYCLE_1)
	v_cndmask_b32_e64 v10, v10, 0, s10
	s_delay_alu instid0(VALU_DEP_1)
	v_or_b32_e32 v43, v10, v64
.LBB6_15935:                            ;   in Loop: Header=BB6_13467 Depth=2
	s_or_b32 exec_lo, exec_lo, s29
                                        ; implicit-def: $vgpr64
.LBB6_15936:                            ;   in Loop: Header=BB6_13467 Depth=2
	s_and_not1_saveexec_b32 s10, s28
; %bb.15937:                            ;   in Loop: Header=BB6_13467 Depth=2
	v_or_b32_e32 v43, 0x7e, v64
; %bb.15938:                            ;   in Loop: Header=BB6_13467 Depth=2
	s_or_b32 exec_lo, exec_lo, s10
                                        ; implicit-def: $vgpr11
.LBB6_15939:                            ;   in Loop: Header=BB6_13467 Depth=2
	s_and_not1_saveexec_b32 s10, s27
; %bb.15940:                            ;   in Loop: Header=BB6_13467 Depth=2
	v_or_b32_e32 v43, 0x7f, v11
; %bb.15941:                            ;   in Loop: Header=BB6_13467 Depth=2
	s_or_b32 exec_lo, exec_lo, s10
	v_lshrrev_b16 v11, 8, v12
	v_mov_b32_e32 v10, 0
	s_mov_b32 s10, exec_lo
	s_delay_alu instid0(VALU_DEP_2)
	v_cmpx_ne_u16_e32 0, v11
	s_cbranch_execz .LBB6_15949
; %bb.15942:                            ;   in Loop: Header=BB6_13467 Depth=2
	v_bfrev_b32_e32 v10, 1
	s_mov_b32 s27, exec_lo
	v_cmpx_ne_u16_e32 0x80, v11
	s_cbranch_execz .LBB6_15948
; %bb.15943:                            ;   in Loop: Header=BB6_13467 Depth=2
	v_and_b32_e32 v16, 0xffff, v11
	v_mov_b32_e32 v10, 0x7f800001
	s_mov_b32 s28, exec_lo
	s_delay_alu instid0(VALU_DEP_2) | instskip(NEXT) | instid1(VALU_DEP_1)
	v_and_b32_e32 v11, 0x7f, v16
	v_cmpx_ne_u32_e32 0x7f, v11
	s_cbranch_execz .LBB6_15947
; %bb.15944:                            ;   in Loop: Header=BB6_13467 Depth=2
	v_dual_lshrrev_b32 v10, 3, v11 :: v_dual_bitop2_b32 v54, 7, v16 bitop3:0x40
	s_mov_b32 s29, exec_lo
	v_cmpx_gt_u32_e32 8, v11
; %bb.15945:                            ;   in Loop: Header=BB6_13467 Depth=2
	s_delay_alu instid0(VALU_DEP_2) | instskip(NEXT) | instid1(VALU_DEP_1)
	v_clz_i32_u32_e32 v10, v54
	v_min_u32_e32 v10, 32, v10
	s_delay_alu instid0(VALU_DEP_1) | instskip(NEXT) | instid1(VALU_DEP_1)
	v_subrev_nc_u32_e32 v11, 28, v10
	v_lshlrev_b64_e32 v[16:17], v11, v[54:55]
	s_delay_alu instid0(VALU_DEP_1)
	v_dual_sub_nc_u32 v10, 29, v10 :: v_dual_bitop2_b32 v54, 7, v16 bitop3:0x40
; %bb.15946:                            ;   in Loop: Header=BB6_13467 Depth=2
	s_or_b32 exec_lo, exec_lo, s29
	s_delay_alu instid0(VALU_DEP_1) | instskip(NEXT) | instid1(VALU_DEP_2)
	v_dual_lshlrev_b32 v11, 16, v12 :: v_dual_lshlrev_b32 v16, 20, v54
	v_lshl_add_u32 v10, v10, 23, 0x3c000000
	s_delay_alu instid0(VALU_DEP_2) | instskip(NEXT) | instid1(VALU_DEP_1)
	v_and_b32_e32 v11, 0x80000000, v11
	v_or3_b32 v10, v16, v11, v10
.LBB6_15947:                            ;   in Loop: Header=BB6_13467 Depth=2
	s_or_b32 exec_lo, exec_lo, s28
.LBB6_15948:                            ;   in Loop: Header=BB6_13467 Depth=2
	s_delay_alu instid0(SALU_CYCLE_1)
	s_or_b32 exec_lo, exec_lo, s27
.LBB6_15949:                            ;   in Loop: Header=BB6_13467 Depth=2
	s_delay_alu instid0(SALU_CYCLE_1) | instskip(NEXT) | instid1(VALU_DEP_1)
	s_or_b32 exec_lo, exec_lo, s10
	v_mul_f32_e32 v10, s26, v10
                                        ; implicit-def: $vgpr44
	s_mov_b32 s10, exec_lo
	s_delay_alu instid0(VALU_DEP_1) | instskip(SKIP_1) | instid1(VALU_DEP_2)
	v_and_b32_e32 v54, 0x7f800000, v10
	v_lshrrev_b32_e32 v11, 24, v10
	v_cmpx_ne_u64_e32 0x7f800000, v[54:55]
	s_xor_b32 s27, exec_lo, s10
	s_cbranch_execz .LBB6_15963
; %bb.15950:                            ;   in Loop: Header=BB6_13467 Depth=2
	v_and_b32_e32 v54, 0x7fffffff, v10
	v_and_b32_e32 v64, 0x80, v11
                                        ; implicit-def: $vgpr44
	s_mov_b32 s10, exec_lo
	s_delay_alu instid0(VALU_DEP_2)
	v_cmpx_gt_u64_e32 0x43e00001, v[54:55]
	s_xor_b32 s28, exec_lo, s10
	s_cbranch_execz .LBB6_15960
; %bb.15951:                            ;   in Loop: Header=BB6_13467 Depth=2
	v_mov_b32_e32 v44, 0
	s_mov_b32 s29, exec_lo
	v_cmpx_ne_u32_e32 0, v10
	s_cbranch_execz .LBB6_15959
; %bb.15952:                            ;   in Loop: Header=BB6_13467 Depth=2
	v_bfe_u32 v65, v10, 23, 8
	v_and_b32_e32 v11, 0x7fffff, v10
	s_delay_alu instid0(VALU_DEP_2) | instskip(SKIP_2) | instid1(VALU_DEP_4)
	v_cmp_gt_u32_e64 s10, 0x7a, v65
	v_sub_nc_u32_e32 v10, 0x79, v65
	v_cmp_eq_u32_e32 vcc_lo, 0, v65
	v_or_b32_e32 v16, 0x800000, v11
	s_delay_alu instid0(VALU_DEP_1) | instskip(NEXT) | instid1(VALU_DEP_1)
	v_dual_cndmask_b32 v10, 0, v10, s10 :: v_dual_cndmask_b32 v54, v16, v11, vcc_lo
	v_cndmask_b32_e64 v86, v10, 0x78, vcc_lo
	s_delay_alu instid0(VALU_DEP_1) | instskip(NEXT) | instid1(VALU_DEP_1)
	v_dual_add_nc_u32 v10, 20, v86 :: v_dual_add_nc_u32 v16, 19, v86
	v_lshlrev_b64_e64 v[10:11], v10, -1
	s_delay_alu instid0(VALU_DEP_2) | instskip(NEXT) | instid1(VALU_DEP_2)
	v_lshlrev_b64_e64 v[16:17], v16, 1
	v_bfi_b32 v11, v11, 0, 0
	s_delay_alu instid0(VALU_DEP_3) | instskip(NEXT) | instid1(VALU_DEP_1)
	v_bfi_b32 v10, v10, 0, v54
	v_cmp_eq_u64_e64 s10, v[10:11], v[16:17]
	v_lshrrev_b64 v[10:11], v86, v[54:55]
	s_delay_alu instid0(VALU_DEP_1)
	v_mov_b64_e32 v[16:17], v[10:11]
	s_and_saveexec_b32 s40, s10
; %bb.15953:                            ;   in Loop: Header=BB6_13467 Depth=2
	v_bfe_u32 v54, v10, 20, 1
	s_delay_alu instid0(VALU_DEP_1) | instskip(NEXT) | instid1(VALU_DEP_1)
	v_add_nc_u64_e32 v[16:17], v[10:11], v[54:55]
	v_add_nc_u64_e32 v[16:17], -1, v[16:17]
; %bb.15954:                            ;   in Loop: Header=BB6_13467 Depth=2
	s_or_b32 exec_lo, exec_lo, s40
	v_add_nc_u32_e32 v11, 0xffffff81, v65
	v_lshrrev_b32_e32 v17, 23, v10
	s_mov_b32 s10, exec_lo
	s_delay_alu instid0(VALU_DEP_2) | instskip(NEXT) | instid1(VALU_DEP_1)
	v_cndmask_b32_e64 v11, v11, 0xffffff82, vcc_lo
	v_add3_u32 v65, v86, v11, v17
	v_and_b32_e32 v11, 0xfffff, v16
                                        ; implicit-def: $vgpr16
	s_delay_alu instid0(VALU_DEP_1) | instskip(NEXT) | instid1(VALU_DEP_1)
	v_dual_add_nc_u32 v17, 6, v65 :: v_dual_add_nc_u32 v54, v11, v10
                                        ; implicit-def: $vgpr10_vgpr11
	v_cmpx_ne_u32_e32 0, v17
	s_xor_b32 s10, exec_lo, s10
; %bb.15955:                            ;   in Loop: Header=BB6_13467 Depth=2
	s_delay_alu instid0(VALU_DEP_2) | instskip(SKIP_1) | instid1(VALU_DEP_1)
	v_cmp_lt_u64_e32 vcc_lo, 0xffffff, v[54:55]
	v_add_nc_u32_e32 v10, 7, v65
	v_cndmask_b32_e32 v16, v17, v10, vcc_lo
	v_cndmask_b32_e64 v10, 0, 1, vcc_lo
	s_delay_alu instid0(VALU_DEP_1)
	v_lshrrev_b64 v[10:11], v10, v[54:55]
; %bb.15956:                            ;   in Loop: Header=BB6_13467 Depth=2
	s_and_not1_saveexec_b32 s10, s10
; %bb.15957:                            ;   in Loop: Header=BB6_13467 Depth=2
	v_mov_b64_e32 v[10:11], v[54:55]
	v_bfe_u32 v16, v54, 23, 1
; %bb.15958:                            ;   in Loop: Header=BB6_13467 Depth=2
	s_or_b32 exec_lo, exec_lo, s10
	s_delay_alu instid0(VALU_DEP_2) | instskip(NEXT) | instid1(VALU_DEP_2)
	v_lshrrev_b64 v[10:11], 20, v[10:11]
	v_cmp_gt_i32_e32 vcc_lo, 16, v16
	v_min_i32_e32 v17, 15, v16
	v_cmp_eq_u32_e64 s10, 0, v16
	s_delay_alu instid0(VALU_DEP_2) | instskip(SKIP_1) | instid1(VALU_DEP_2)
	v_dual_cndmask_b32 v11, 0, v11, vcc_lo :: v_dual_lshlrev_b32 v17, 3, v17
	v_cndmask_b32_e32 v10, 7, v10, vcc_lo
	v_and_b32_e32 v17, 0xf8, v17
	s_delay_alu instid0(VALU_DEP_2) | instskip(NEXT) | instid1(VALU_DEP_2)
	v_cmp_eq_u64_e32 vcc_lo, 0, v[10:11]
	v_and_or_b32 v10, v10, 7, v17
	s_and_b32 s10, s10, vcc_lo
	s_delay_alu instid0(VALU_DEP_1) | instid1(SALU_CYCLE_1)
	v_cndmask_b32_e64 v10, v10, 0, s10
	s_delay_alu instid0(VALU_DEP_1)
	v_or_b32_e32 v44, v10, v64
.LBB6_15959:                            ;   in Loop: Header=BB6_13467 Depth=2
	s_or_b32 exec_lo, exec_lo, s29
                                        ; implicit-def: $vgpr64
.LBB6_15960:                            ;   in Loop: Header=BB6_13467 Depth=2
	s_and_not1_saveexec_b32 s10, s28
; %bb.15961:                            ;   in Loop: Header=BB6_13467 Depth=2
	v_or_b32_e32 v44, 0x7e, v64
; %bb.15962:                            ;   in Loop: Header=BB6_13467 Depth=2
	s_or_b32 exec_lo, exec_lo, s10
                                        ; implicit-def: $vgpr11
.LBB6_15963:                            ;   in Loop: Header=BB6_13467 Depth=2
	s_and_not1_saveexec_b32 s10, s27
; %bb.15964:                            ;   in Loop: Header=BB6_13467 Depth=2
	v_or_b32_e32 v44, 0x7f, v11
; %bb.15965:                            ;   in Loop: Header=BB6_13467 Depth=2
	s_or_b32 exec_lo, exec_lo, s10
	v_dual_mov_b32 v11, 0 :: v_dual_lshrrev_b32 v10, 16, v12
	s_mov_b32 s10, exec_lo
	s_delay_alu instid0(VALU_DEP_1) | instskip(NEXT) | instid1(VALU_DEP_1)
	v_and_b32_e32 v16, 0xff, v10
	v_cmpx_ne_u16_e32 0, v16
	s_cbranch_execz .LBB6_15973
; %bb.15966:                            ;   in Loop: Header=BB6_13467 Depth=2
	v_bfrev_b32_e32 v11, 1
	s_mov_b32 s27, exec_lo
	v_cmpx_ne_u16_e32 0x80, v16
	s_cbranch_execz .LBB6_15972
; %bb.15967:                            ;   in Loop: Header=BB6_13467 Depth=2
	v_bfe_u32 v16, v12, 16, 7
	v_mov_b32_e32 v11, 0x7f800001
	s_mov_b32 s28, exec_lo
	s_delay_alu instid0(VALU_DEP_2)
	v_cmpx_ne_u32_e32 0x7f, v16
	s_cbranch_execz .LBB6_15971
; %bb.15968:                            ;   in Loop: Header=BB6_13467 Depth=2
	v_dual_lshrrev_b32 v11, 3, v16 :: v_dual_bitop2_b32 v54, 7, v10 bitop3:0x40
	s_mov_b32 s29, exec_lo
	v_cmpx_gt_u32_e32 8, v16
; %bb.15969:                            ;   in Loop: Header=BB6_13467 Depth=2
	s_delay_alu instid0(VALU_DEP_2) | instskip(NEXT) | instid1(VALU_DEP_1)
	v_clz_i32_u32_e32 v11, v54
	v_min_u32_e32 v11, 32, v11
	s_delay_alu instid0(VALU_DEP_1) | instskip(NEXT) | instid1(VALU_DEP_1)
	v_subrev_nc_u32_e32 v16, 28, v11
	v_lshlrev_b64_e32 v[16:17], v16, v[54:55]
	s_delay_alu instid0(VALU_DEP_1)
	v_dual_sub_nc_u32 v11, 29, v11 :: v_dual_bitop2_b32 v54, 7, v16 bitop3:0x40
; %bb.15970:                            ;   in Loop: Header=BB6_13467 Depth=2
	s_or_b32 exec_lo, exec_lo, s29
	v_lshlrev_b32_e32 v10, 24, v10
	s_delay_alu instid0(VALU_DEP_2) | instskip(NEXT) | instid1(VALU_DEP_3)
	v_lshlrev_b32_e32 v16, 20, v54
	v_lshl_add_u32 v11, v11, 23, 0x3c000000
	s_delay_alu instid0(VALU_DEP_3) | instskip(NEXT) | instid1(VALU_DEP_1)
	v_and_b32_e32 v10, 0x80000000, v10
	v_or3_b32 v11, v16, v10, v11
.LBB6_15971:                            ;   in Loop: Header=BB6_13467 Depth=2
	s_or_b32 exec_lo, exec_lo, s28
.LBB6_15972:                            ;   in Loop: Header=BB6_13467 Depth=2
	s_delay_alu instid0(SALU_CYCLE_1)
	s_or_b32 exec_lo, exec_lo, s27
.LBB6_15973:                            ;   in Loop: Header=BB6_13467 Depth=2
	s_delay_alu instid0(SALU_CYCLE_1) | instskip(NEXT) | instid1(VALU_DEP_1)
	s_or_b32 exec_lo, exec_lo, s10
	v_mul_f32_e32 v10, s26, v11
                                        ; implicit-def: $vgpr45
	s_mov_b32 s10, exec_lo
	s_delay_alu instid0(VALU_DEP_1) | instskip(SKIP_1) | instid1(VALU_DEP_2)
	v_and_b32_e32 v54, 0x7f800000, v10
	v_lshrrev_b32_e32 v11, 24, v10
	v_cmpx_ne_u64_e32 0x7f800000, v[54:55]
	s_xor_b32 s27, exec_lo, s10
	s_cbranch_execz .LBB6_15987
; %bb.15974:                            ;   in Loop: Header=BB6_13467 Depth=2
	v_and_b32_e32 v54, 0x7fffffff, v10
	v_and_b32_e32 v64, 0x80, v11
                                        ; implicit-def: $vgpr45
	s_mov_b32 s10, exec_lo
	s_delay_alu instid0(VALU_DEP_2)
	v_cmpx_gt_u64_e32 0x43e00001, v[54:55]
	s_xor_b32 s28, exec_lo, s10
	s_cbranch_execz .LBB6_15984
; %bb.15975:                            ;   in Loop: Header=BB6_13467 Depth=2
	v_mov_b32_e32 v45, 0
	s_mov_b32 s29, exec_lo
	v_cmpx_ne_u32_e32 0, v10
	s_cbranch_execz .LBB6_15983
; %bb.15976:                            ;   in Loop: Header=BB6_13467 Depth=2
	v_bfe_u32 v65, v10, 23, 8
	v_and_b32_e32 v11, 0x7fffff, v10
	s_delay_alu instid0(VALU_DEP_2) | instskip(SKIP_2) | instid1(VALU_DEP_4)
	v_cmp_gt_u32_e64 s10, 0x7a, v65
	v_sub_nc_u32_e32 v10, 0x79, v65
	v_cmp_eq_u32_e32 vcc_lo, 0, v65
	v_or_b32_e32 v16, 0x800000, v11
	s_delay_alu instid0(VALU_DEP_1) | instskip(NEXT) | instid1(VALU_DEP_1)
	v_dual_cndmask_b32 v10, 0, v10, s10 :: v_dual_cndmask_b32 v54, v16, v11, vcc_lo
	v_cndmask_b32_e64 v86, v10, 0x78, vcc_lo
	s_delay_alu instid0(VALU_DEP_1) | instskip(NEXT) | instid1(VALU_DEP_1)
	v_dual_add_nc_u32 v10, 20, v86 :: v_dual_add_nc_u32 v16, 19, v86
	v_lshlrev_b64_e64 v[10:11], v10, -1
	s_delay_alu instid0(VALU_DEP_2) | instskip(NEXT) | instid1(VALU_DEP_2)
	v_lshlrev_b64_e64 v[16:17], v16, 1
	v_bfi_b32 v11, v11, 0, 0
	s_delay_alu instid0(VALU_DEP_3) | instskip(NEXT) | instid1(VALU_DEP_1)
	v_bfi_b32 v10, v10, 0, v54
	v_cmp_eq_u64_e64 s10, v[10:11], v[16:17]
	v_lshrrev_b64 v[10:11], v86, v[54:55]
	s_delay_alu instid0(VALU_DEP_1)
	v_mov_b64_e32 v[16:17], v[10:11]
	s_and_saveexec_b32 s40, s10
; %bb.15977:                            ;   in Loop: Header=BB6_13467 Depth=2
	v_bfe_u32 v54, v10, 20, 1
	s_delay_alu instid0(VALU_DEP_1) | instskip(NEXT) | instid1(VALU_DEP_1)
	v_add_nc_u64_e32 v[16:17], v[10:11], v[54:55]
	v_add_nc_u64_e32 v[16:17], -1, v[16:17]
; %bb.15978:                            ;   in Loop: Header=BB6_13467 Depth=2
	s_or_b32 exec_lo, exec_lo, s40
	v_add_nc_u32_e32 v11, 0xffffff81, v65
	v_lshrrev_b32_e32 v17, 23, v10
	s_mov_b32 s10, exec_lo
	s_delay_alu instid0(VALU_DEP_2) | instskip(NEXT) | instid1(VALU_DEP_1)
	v_cndmask_b32_e64 v11, v11, 0xffffff82, vcc_lo
	v_add3_u32 v65, v86, v11, v17
	v_and_b32_e32 v11, 0xfffff, v16
                                        ; implicit-def: $vgpr16
	s_delay_alu instid0(VALU_DEP_1) | instskip(NEXT) | instid1(VALU_DEP_1)
	v_dual_add_nc_u32 v17, 6, v65 :: v_dual_add_nc_u32 v54, v11, v10
                                        ; implicit-def: $vgpr10_vgpr11
	v_cmpx_ne_u32_e32 0, v17
	s_xor_b32 s10, exec_lo, s10
; %bb.15979:                            ;   in Loop: Header=BB6_13467 Depth=2
	s_delay_alu instid0(VALU_DEP_2) | instskip(SKIP_1) | instid1(VALU_DEP_1)
	v_cmp_lt_u64_e32 vcc_lo, 0xffffff, v[54:55]
	v_add_nc_u32_e32 v10, 7, v65
	v_cndmask_b32_e32 v16, v17, v10, vcc_lo
	v_cndmask_b32_e64 v10, 0, 1, vcc_lo
	s_delay_alu instid0(VALU_DEP_1)
	v_lshrrev_b64 v[10:11], v10, v[54:55]
; %bb.15980:                            ;   in Loop: Header=BB6_13467 Depth=2
	s_and_not1_saveexec_b32 s10, s10
; %bb.15981:                            ;   in Loop: Header=BB6_13467 Depth=2
	v_mov_b64_e32 v[10:11], v[54:55]
	v_bfe_u32 v16, v54, 23, 1
; %bb.15982:                            ;   in Loop: Header=BB6_13467 Depth=2
	s_or_b32 exec_lo, exec_lo, s10
	s_delay_alu instid0(VALU_DEP_2) | instskip(NEXT) | instid1(VALU_DEP_2)
	v_lshrrev_b64 v[10:11], 20, v[10:11]
	v_cmp_gt_i32_e32 vcc_lo, 16, v16
	v_min_i32_e32 v17, 15, v16
	v_cmp_eq_u32_e64 s10, 0, v16
	s_delay_alu instid0(VALU_DEP_2) | instskip(SKIP_1) | instid1(VALU_DEP_2)
	v_dual_cndmask_b32 v11, 0, v11, vcc_lo :: v_dual_lshlrev_b32 v17, 3, v17
	v_cndmask_b32_e32 v10, 7, v10, vcc_lo
	v_and_b32_e32 v17, 0xf8, v17
	s_delay_alu instid0(VALU_DEP_2) | instskip(NEXT) | instid1(VALU_DEP_2)
	v_cmp_eq_u64_e32 vcc_lo, 0, v[10:11]
	v_and_or_b32 v10, v10, 7, v17
	s_and_b32 s10, s10, vcc_lo
	s_delay_alu instid0(VALU_DEP_1) | instid1(SALU_CYCLE_1)
	v_cndmask_b32_e64 v10, v10, 0, s10
	s_delay_alu instid0(VALU_DEP_1)
	v_or_b32_e32 v45, v10, v64
.LBB6_15983:                            ;   in Loop: Header=BB6_13467 Depth=2
	s_or_b32 exec_lo, exec_lo, s29
                                        ; implicit-def: $vgpr64
.LBB6_15984:                            ;   in Loop: Header=BB6_13467 Depth=2
	s_and_not1_saveexec_b32 s10, s28
; %bb.15985:                            ;   in Loop: Header=BB6_13467 Depth=2
	v_or_b32_e32 v45, 0x7e, v64
; %bb.15986:                            ;   in Loop: Header=BB6_13467 Depth=2
	s_or_b32 exec_lo, exec_lo, s10
                                        ; implicit-def: $vgpr11
.LBB6_15987:                            ;   in Loop: Header=BB6_13467 Depth=2
	s_and_not1_saveexec_b32 s10, s27
; %bb.15988:                            ;   in Loop: Header=BB6_13467 Depth=2
	v_or_b32_e32 v45, 0x7f, v11
; %bb.15989:                            ;   in Loop: Header=BB6_13467 Depth=2
	s_or_b32 exec_lo, exec_lo, s10
	v_mov_b32_e32 v11, 0
	s_mov_b32 s10, exec_lo
	v_cmpx_lt_u32_e32 0xffffff, v12
	s_cbranch_execz .LBB6_15997
; %bb.15990:                            ;   in Loop: Header=BB6_13467 Depth=2
	v_lshrrev_b32_e32 v10, 24, v12
	v_bfrev_b32_e32 v11, 1
	s_mov_b32 s27, exec_lo
	s_delay_alu instid0(VALU_DEP_2)
	v_cmpx_ne_u32_e32 0x80, v10
	s_cbranch_execz .LBB6_15996
; %bb.15991:                            ;   in Loop: Header=BB6_13467 Depth=2
	v_bfe_u32 v16, v12, 24, 7
	v_mov_b32_e32 v11, 0x7f800001
	s_mov_b32 s28, exec_lo
	s_delay_alu instid0(VALU_DEP_2)
	v_cmpx_ne_u32_e32 0x7f, v16
	s_cbranch_execz .LBB6_15995
; %bb.15992:                            ;   in Loop: Header=BB6_13467 Depth=2
	v_dual_lshrrev_b32 v11, 3, v16 :: v_dual_bitop2_b32 v54, 7, v10 bitop3:0x40
	s_mov_b32 s29, exec_lo
	v_cmpx_gt_u32_e32 8, v16
; %bb.15993:                            ;   in Loop: Header=BB6_13467 Depth=2
	s_delay_alu instid0(VALU_DEP_2) | instskip(NEXT) | instid1(VALU_DEP_1)
	v_clz_i32_u32_e32 v11, v54
	v_min_u32_e32 v11, 32, v11
	s_delay_alu instid0(VALU_DEP_1) | instskip(NEXT) | instid1(VALU_DEP_1)
	v_subrev_nc_u32_e32 v16, 28, v11
	v_lshlrev_b64_e32 v[16:17], v16, v[54:55]
	s_delay_alu instid0(VALU_DEP_1)
	v_dual_sub_nc_u32 v11, 29, v11 :: v_dual_bitop2_b32 v54, 7, v16 bitop3:0x40
; %bb.15994:                            ;   in Loop: Header=BB6_13467 Depth=2
	s_or_b32 exec_lo, exec_lo, s29
	v_lshlrev_b32_e32 v10, 24, v10
	s_delay_alu instid0(VALU_DEP_2) | instskip(NEXT) | instid1(VALU_DEP_3)
	v_lshlrev_b32_e32 v16, 20, v54
	v_lshl_add_u32 v11, v11, 23, 0x3c000000
	s_delay_alu instid0(VALU_DEP_3) | instskip(NEXT) | instid1(VALU_DEP_1)
	v_and_b32_e32 v10, 0x80000000, v10
	v_or3_b32 v11, v16, v10, v11
.LBB6_15995:                            ;   in Loop: Header=BB6_13467 Depth=2
	s_or_b32 exec_lo, exec_lo, s28
.LBB6_15996:                            ;   in Loop: Header=BB6_13467 Depth=2
	s_delay_alu instid0(SALU_CYCLE_1)
	s_or_b32 exec_lo, exec_lo, s27
.LBB6_15997:                            ;   in Loop: Header=BB6_13467 Depth=2
	s_delay_alu instid0(SALU_CYCLE_1) | instskip(NEXT) | instid1(VALU_DEP_1)
	s_or_b32 exec_lo, exec_lo, s10
	v_mul_f32_e32 v10, s26, v11
                                        ; implicit-def: $vgpr46
	s_mov_b32 s10, exec_lo
	s_delay_alu instid0(VALU_DEP_1) | instskip(SKIP_1) | instid1(VALU_DEP_2)
	v_and_b32_e32 v54, 0x7f800000, v10
	v_lshrrev_b32_e32 v11, 24, v10
	v_cmpx_ne_u64_e32 0x7f800000, v[54:55]
	s_xor_b32 s27, exec_lo, s10
	s_cbranch_execz .LBB6_16011
; %bb.15998:                            ;   in Loop: Header=BB6_13467 Depth=2
	v_and_b32_e32 v54, 0x7fffffff, v10
	v_and_b32_e32 v64, 0x80, v11
                                        ; implicit-def: $vgpr46
	s_mov_b32 s10, exec_lo
	s_delay_alu instid0(VALU_DEP_2)
	v_cmpx_gt_u64_e32 0x43e00001, v[54:55]
	s_xor_b32 s28, exec_lo, s10
	s_cbranch_execz .LBB6_16008
; %bb.15999:                            ;   in Loop: Header=BB6_13467 Depth=2
	v_mov_b32_e32 v46, 0
	s_mov_b32 s29, exec_lo
	v_cmpx_ne_u32_e32 0, v10
	s_cbranch_execz .LBB6_16007
; %bb.16000:                            ;   in Loop: Header=BB6_13467 Depth=2
	v_bfe_u32 v65, v10, 23, 8
	v_and_b32_e32 v11, 0x7fffff, v10
	s_delay_alu instid0(VALU_DEP_2) | instskip(SKIP_2) | instid1(VALU_DEP_4)
	v_cmp_gt_u32_e64 s10, 0x7a, v65
	v_sub_nc_u32_e32 v10, 0x79, v65
	v_cmp_eq_u32_e32 vcc_lo, 0, v65
	v_or_b32_e32 v16, 0x800000, v11
	s_delay_alu instid0(VALU_DEP_1) | instskip(NEXT) | instid1(VALU_DEP_1)
	v_dual_cndmask_b32 v10, 0, v10, s10 :: v_dual_cndmask_b32 v54, v16, v11, vcc_lo
	v_cndmask_b32_e64 v86, v10, 0x78, vcc_lo
	s_delay_alu instid0(VALU_DEP_1) | instskip(NEXT) | instid1(VALU_DEP_1)
	v_dual_add_nc_u32 v10, 20, v86 :: v_dual_add_nc_u32 v16, 19, v86
	v_lshlrev_b64_e64 v[10:11], v10, -1
	s_delay_alu instid0(VALU_DEP_2) | instskip(NEXT) | instid1(VALU_DEP_2)
	v_lshlrev_b64_e64 v[16:17], v16, 1
	v_bfi_b32 v11, v11, 0, 0
	s_delay_alu instid0(VALU_DEP_3) | instskip(NEXT) | instid1(VALU_DEP_1)
	v_bfi_b32 v10, v10, 0, v54
	v_cmp_eq_u64_e64 s10, v[10:11], v[16:17]
	v_lshrrev_b64 v[10:11], v86, v[54:55]
	s_delay_alu instid0(VALU_DEP_1)
	v_mov_b64_e32 v[16:17], v[10:11]
	s_and_saveexec_b32 s40, s10
; %bb.16001:                            ;   in Loop: Header=BB6_13467 Depth=2
	v_bfe_u32 v54, v10, 20, 1
	s_delay_alu instid0(VALU_DEP_1) | instskip(NEXT) | instid1(VALU_DEP_1)
	v_add_nc_u64_e32 v[16:17], v[10:11], v[54:55]
	v_add_nc_u64_e32 v[16:17], -1, v[16:17]
; %bb.16002:                            ;   in Loop: Header=BB6_13467 Depth=2
	s_or_b32 exec_lo, exec_lo, s40
	v_add_nc_u32_e32 v11, 0xffffff81, v65
	v_lshrrev_b32_e32 v17, 23, v10
	s_mov_b32 s10, exec_lo
	s_delay_alu instid0(VALU_DEP_2) | instskip(NEXT) | instid1(VALU_DEP_1)
	v_cndmask_b32_e64 v11, v11, 0xffffff82, vcc_lo
	v_add3_u32 v65, v86, v11, v17
	v_and_b32_e32 v11, 0xfffff, v16
                                        ; implicit-def: $vgpr16
	s_delay_alu instid0(VALU_DEP_1) | instskip(NEXT) | instid1(VALU_DEP_1)
	v_dual_add_nc_u32 v17, 6, v65 :: v_dual_add_nc_u32 v54, v11, v10
                                        ; implicit-def: $vgpr10_vgpr11
	v_cmpx_ne_u32_e32 0, v17
	s_xor_b32 s10, exec_lo, s10
; %bb.16003:                            ;   in Loop: Header=BB6_13467 Depth=2
	s_delay_alu instid0(VALU_DEP_2) | instskip(SKIP_1) | instid1(VALU_DEP_1)
	v_cmp_lt_u64_e32 vcc_lo, 0xffffff, v[54:55]
	v_add_nc_u32_e32 v10, 7, v65
	v_cndmask_b32_e32 v16, v17, v10, vcc_lo
	v_cndmask_b32_e64 v10, 0, 1, vcc_lo
	s_delay_alu instid0(VALU_DEP_1)
	v_lshrrev_b64 v[10:11], v10, v[54:55]
; %bb.16004:                            ;   in Loop: Header=BB6_13467 Depth=2
	s_and_not1_saveexec_b32 s10, s10
; %bb.16005:                            ;   in Loop: Header=BB6_13467 Depth=2
	v_mov_b64_e32 v[10:11], v[54:55]
	v_bfe_u32 v16, v54, 23, 1
; %bb.16006:                            ;   in Loop: Header=BB6_13467 Depth=2
	s_or_b32 exec_lo, exec_lo, s10
	s_delay_alu instid0(VALU_DEP_2) | instskip(NEXT) | instid1(VALU_DEP_2)
	v_lshrrev_b64 v[10:11], 20, v[10:11]
	v_cmp_gt_i32_e32 vcc_lo, 16, v16
	v_min_i32_e32 v17, 15, v16
	v_cmp_eq_u32_e64 s10, 0, v16
	s_delay_alu instid0(VALU_DEP_2) | instskip(SKIP_1) | instid1(VALU_DEP_2)
	v_dual_cndmask_b32 v11, 0, v11, vcc_lo :: v_dual_lshlrev_b32 v17, 3, v17
	v_cndmask_b32_e32 v10, 7, v10, vcc_lo
	v_and_b32_e32 v17, 0xf8, v17
	s_delay_alu instid0(VALU_DEP_2) | instskip(NEXT) | instid1(VALU_DEP_2)
	v_cmp_eq_u64_e32 vcc_lo, 0, v[10:11]
	v_and_or_b32 v10, v10, 7, v17
	s_and_b32 s10, s10, vcc_lo
	s_delay_alu instid0(VALU_DEP_1) | instid1(SALU_CYCLE_1)
	v_cndmask_b32_e64 v10, v10, 0, s10
	s_delay_alu instid0(VALU_DEP_1)
	v_or_b32_e32 v46, v10, v64
.LBB6_16007:                            ;   in Loop: Header=BB6_13467 Depth=2
	s_or_b32 exec_lo, exec_lo, s29
                                        ; implicit-def: $vgpr64
.LBB6_16008:                            ;   in Loop: Header=BB6_13467 Depth=2
	s_and_not1_saveexec_b32 s10, s28
; %bb.16009:                            ;   in Loop: Header=BB6_13467 Depth=2
	v_or_b32_e32 v46, 0x7e, v64
; %bb.16010:                            ;   in Loop: Header=BB6_13467 Depth=2
	s_or_b32 exec_lo, exec_lo, s10
                                        ; implicit-def: $vgpr11
.LBB6_16011:                            ;   in Loop: Header=BB6_13467 Depth=2
	s_and_not1_saveexec_b32 s10, s27
; %bb.16012:                            ;   in Loop: Header=BB6_13467 Depth=2
	v_or_b32_e32 v46, 0x7f, v11
; %bb.16013:                            ;   in Loop: Header=BB6_13467 Depth=2
	s_or_b32 exec_lo, exec_lo, s10
	v_and_b32_e32 v11, 0xff, v13
	v_dual_mov_b32 v54, v13 :: v_dual_mov_b32 v10, 0
	s_mov_b32 s10, exec_lo
	s_delay_alu instid0(VALU_DEP_2)
	v_cmpx_ne_u16_e32 0, v11
	s_cbranch_execz .LBB6_16019
; %bb.16014:                            ;   in Loop: Header=BB6_13467 Depth=2
	v_bfrev_b32_e32 v10, 1
	s_mov_b32 s27, exec_lo
	v_cmpx_ne_u16_e32 0x80, v11
	s_cbranch_execz .LBB6_16018
; %bb.16015:                            ;   in Loop: Header=BB6_13467 Depth=2
	v_and_b32_e32 v11, 0x7f, v13
	v_mov_b32_e32 v10, 0x7f800001
	s_mov_b32 s28, exec_lo
	s_delay_alu instid0(VALU_DEP_2)
	v_cmpx_ne_u32_e32 0x7f, v11
	s_cbranch_execz .LBB6_16017
; %bb.16016:                            ;   in Loop: Header=BB6_13467 Depth=2
	v_dual_lshrrev_b32 v16, 3, v11 :: v_dual_bitop2_b32 v10, 7, v13 bitop3:0x40
	v_cmp_gt_u32_e32 vcc_lo, 8, v11
	s_delay_alu instid0(VALU_DEP_2) | instskip(NEXT) | instid1(VALU_DEP_1)
	v_clz_i32_u32_e32 v10, v10
	v_min_u32_e32 v10, 32, v10
	s_delay_alu instid0(VALU_DEP_1) | instskip(SKIP_1) | instid1(VALU_DEP_1)
	v_subrev_nc_u32_e32 v11, 28, v10
	v_sub_nc_u32_e32 v10, 29, v10
	v_dual_cndmask_b32 v16, v16, v10, vcc_lo :: v_dual_cndmask_b32 v10, 0, v11, vcc_lo
	s_delay_alu instid0(VALU_DEP_1) | instskip(NEXT) | instid1(VALU_DEP_2)
	v_lshl_add_u32 v16, v16, 23, 0x3c000000
	v_lshlrev_b64_e32 v[10:11], v10, v[54:55]
	v_lshlrev_b32_e32 v11, 24, v54
	s_delay_alu instid0(VALU_DEP_1) | instskip(NEXT) | instid1(VALU_DEP_3)
	v_and_b32_e32 v11, 0x80000000, v11
	v_lshlrev_b32_e32 v10, 20, v10
	s_delay_alu instid0(VALU_DEP_1) | instskip(NEXT) | instid1(VALU_DEP_1)
	v_and_b32_e32 v10, 0x700000, v10
	v_or3_b32 v10, v10, v11, v16
.LBB6_16017:                            ;   in Loop: Header=BB6_13467 Depth=2
	s_or_b32 exec_lo, exec_lo, s28
.LBB6_16018:                            ;   in Loop: Header=BB6_13467 Depth=2
	s_delay_alu instid0(SALU_CYCLE_1)
	s_or_b32 exec_lo, exec_lo, s27
.LBB6_16019:                            ;   in Loop: Header=BB6_13467 Depth=2
	s_delay_alu instid0(SALU_CYCLE_1) | instskip(NEXT) | instid1(VALU_DEP_1)
	s_or_b32 exec_lo, exec_lo, s10
	v_dual_mul_f32 v10, s26, v10 :: v_dual_mov_b32 v17, v55
                                        ; implicit-def: $vgpr47
	s_mov_b32 s10, exec_lo
	s_delay_alu instid0(VALU_DEP_1) | instskip(SKIP_1) | instid1(VALU_DEP_2)
	v_and_b32_e32 v16, 0x7f800000, v10
	v_lshrrev_b32_e32 v11, 24, v10
	v_cmpx_ne_u64_e32 0x7f800000, v[16:17]
	s_xor_b32 s27, exec_lo, s10
	s_cbranch_execz .LBB6_16033
; %bb.16020:                            ;   in Loop: Header=BB6_13467 Depth=2
	v_and_b32_e32 v16, 0x7fffffff, v10
	v_mov_b32_e32 v17, v55
	v_and_b32_e32 v64, 0x80, v11
                                        ; implicit-def: $vgpr47
	s_mov_b32 s10, exec_lo
	s_delay_alu instid0(VALU_DEP_2)
	v_cmpx_gt_u64_e32 0x43e00001, v[16:17]
	s_xor_b32 s28, exec_lo, s10
	s_cbranch_execz .LBB6_16030
; %bb.16021:                            ;   in Loop: Header=BB6_13467 Depth=2
	v_mov_b32_e32 v47, 0
	s_mov_b32 s29, exec_lo
	v_cmpx_ne_u32_e32 0, v10
	s_cbranch_execz .LBB6_16029
; %bb.16022:                            ;   in Loop: Header=BB6_13467 Depth=2
	v_bfe_u32 v65, v10, 23, 8
	v_and_b32_e32 v11, 0x7fffff, v10
	s_delay_alu instid0(VALU_DEP_2) | instskip(SKIP_2) | instid1(VALU_DEP_4)
	v_cmp_gt_u32_e64 s10, 0x7a, v65
	v_sub_nc_u32_e32 v10, 0x79, v65
	v_cmp_eq_u32_e32 vcc_lo, 0, v65
	v_or_b32_e32 v16, 0x800000, v11
	s_delay_alu instid0(VALU_DEP_3) | instskip(NEXT) | instid1(VALU_DEP_1)
	v_cndmask_b32_e64 v10, 0, v10, s10
	v_cndmask_b32_e64 v86, v10, 0x78, vcc_lo
	s_delay_alu instid0(VALU_DEP_3) | instskip(NEXT) | instid1(VALU_DEP_2)
	v_dual_cndmask_b32 v10, v16, v11 :: v_dual_mov_b32 v11, v55
	v_dual_add_nc_u32 v16, 20, v86 :: v_dual_add_nc_u32 v47, 19, v86
	s_delay_alu instid0(VALU_DEP_1) | instskip(NEXT) | instid1(VALU_DEP_2)
	v_lshlrev_b64_e64 v[16:17], v16, -1
	v_lshlrev_b64_e64 v[56:57], v47, 1
	s_delay_alu instid0(VALU_DEP_2) | instskip(SKIP_1) | instid1(VALU_DEP_4)
	v_bfi_b32 v16, v16, 0, v10
	v_lshrrev_b64 v[10:11], v86, v[10:11]
	v_bfi_b32 v17, v17, 0, 0
	s_delay_alu instid0(VALU_DEP_1) | instskip(NEXT) | instid1(VALU_DEP_3)
	v_cmp_eq_u64_e64 s10, v[16:17], v[56:57]
	v_mov_b64_e32 v[16:17], v[10:11]
	s_and_saveexec_b32 s40, s10
; %bb.16023:                            ;   in Loop: Header=BB6_13467 Depth=2
	v_bfe_u32 v16, v10, 20, 1
	v_mov_b32_e32 v17, v55
	s_delay_alu instid0(VALU_DEP_1) | instskip(NEXT) | instid1(VALU_DEP_1)
	v_add_nc_u64_e32 v[16:17], v[10:11], v[16:17]
	v_add_nc_u64_e32 v[16:17], -1, v[16:17]
; %bb.16024:                            ;   in Loop: Header=BB6_13467 Depth=2
	s_or_b32 exec_lo, exec_lo, s40
	v_add_nc_u32_e32 v11, 0xffffff81, v65
	v_lshrrev_b32_e32 v17, 23, v10
	s_mov_b32 s10, exec_lo
	s_delay_alu instid0(VALU_DEP_2) | instskip(NEXT) | instid1(VALU_DEP_1)
	v_cndmask_b32_e64 v11, v11, 0xffffff82, vcc_lo
	v_add3_u32 v65, v86, v11, v17
	v_and_b32_e32 v11, 0xfffff, v16
                                        ; implicit-def: $vgpr16
	s_delay_alu instid0(VALU_DEP_1) | instskip(SKIP_1) | instid1(VALU_DEP_2)
	v_dual_add_nc_u32 v17, 6, v65 :: v_dual_add_nc_u32 v10, v11, v10
	v_mov_b32_e32 v11, v55
	v_cmpx_ne_u32_e32 0, v17
	s_xor_b32 s10, exec_lo, s10
; %bb.16025:                            ;   in Loop: Header=BB6_13467 Depth=2
	s_delay_alu instid0(VALU_DEP_2) | instskip(SKIP_1) | instid1(VALU_DEP_1)
	v_cmp_lt_u64_e32 vcc_lo, 0xffffff, v[10:11]
	v_add_nc_u32_e32 v16, 7, v65
	v_cndmask_b32_e32 v16, v17, v16, vcc_lo
	v_cndmask_b32_e64 v17, 0, 1, vcc_lo
	s_delay_alu instid0(VALU_DEP_1)
	v_lshrrev_b64 v[10:11], v17, v[10:11]
; %bb.16026:                            ;   in Loop: Header=BB6_13467 Depth=2
	s_and_not1_saveexec_b32 s10, s10
; %bb.16027:                            ;   in Loop: Header=BB6_13467 Depth=2
	s_delay_alu instid0(VALU_DEP_1)
	v_bfe_u32 v16, v10, 23, 1
; %bb.16028:                            ;   in Loop: Header=BB6_13467 Depth=2
	s_or_b32 exec_lo, exec_lo, s10
	s_delay_alu instid0(VALU_DEP_2) | instskip(NEXT) | instid1(VALU_DEP_2)
	v_lshrrev_b64 v[10:11], 20, v[10:11]
	v_cmp_gt_i32_e32 vcc_lo, 16, v16
	v_min_i32_e32 v17, 15, v16
	v_cmp_eq_u32_e64 s10, 0, v16
	s_delay_alu instid0(VALU_DEP_2) | instskip(SKIP_1) | instid1(VALU_DEP_2)
	v_dual_cndmask_b32 v11, 0, v11, vcc_lo :: v_dual_lshlrev_b32 v17, 3, v17
	v_cndmask_b32_e32 v10, 7, v10, vcc_lo
	v_and_b32_e32 v17, 0xf8, v17
	s_delay_alu instid0(VALU_DEP_2) | instskip(NEXT) | instid1(VALU_DEP_2)
	v_cmp_eq_u64_e32 vcc_lo, 0, v[10:11]
	v_and_or_b32 v10, v10, 7, v17
	s_and_b32 s10, s10, vcc_lo
	s_delay_alu instid0(VALU_DEP_1) | instid1(SALU_CYCLE_1)
	v_cndmask_b32_e64 v10, v10, 0, s10
	s_delay_alu instid0(VALU_DEP_1)
	v_or_b32_e32 v47, v10, v64
.LBB6_16029:                            ;   in Loop: Header=BB6_13467 Depth=2
	s_or_b32 exec_lo, exec_lo, s29
                                        ; implicit-def: $vgpr64
.LBB6_16030:                            ;   in Loop: Header=BB6_13467 Depth=2
	s_and_not1_saveexec_b32 s10, s28
; %bb.16031:                            ;   in Loop: Header=BB6_13467 Depth=2
	v_or_b32_e32 v47, 0x7e, v64
; %bb.16032:                            ;   in Loop: Header=BB6_13467 Depth=2
	s_or_b32 exec_lo, exec_lo, s10
                                        ; implicit-def: $vgpr11
.LBB6_16033:                            ;   in Loop: Header=BB6_13467 Depth=2
	s_and_not1_saveexec_b32 s10, s27
; %bb.16034:                            ;   in Loop: Header=BB6_13467 Depth=2
	v_or_b32_e32 v47, 0x7f, v11
; %bb.16035:                            ;   in Loop: Header=BB6_13467 Depth=2
	s_or_b32 exec_lo, exec_lo, s10
	v_lshrrev_b16 v11, 8, v54
	v_mov_b32_e32 v10, 0
	s_mov_b32 s10, exec_lo
	s_delay_alu instid0(VALU_DEP_2)
	v_cmpx_ne_u16_e32 0, v11
	s_cbranch_execz .LBB6_16043
; %bb.16036:                            ;   in Loop: Header=BB6_13467 Depth=2
	v_bfrev_b32_e32 v10, 1
	s_mov_b32 s27, exec_lo
	v_cmpx_ne_u16_e32 0x80, v11
	s_cbranch_execz .LBB6_16042
; %bb.16037:                            ;   in Loop: Header=BB6_13467 Depth=2
	v_and_b32_e32 v11, 0xffff, v11
	v_mov_b32_e32 v10, 0x7f800001
	s_mov_b32 s28, exec_lo
	s_delay_alu instid0(VALU_DEP_2) | instskip(NEXT) | instid1(VALU_DEP_1)
	v_and_b32_e32 v17, 0x7f, v11
	v_cmpx_ne_u32_e32 0x7f, v17
	s_cbranch_execz .LBB6_16041
; %bb.16038:                            ;   in Loop: Header=BB6_13467 Depth=2
	v_dual_mov_b32 v11, v55 :: v_dual_bitop2_b32 v10, 7, v11 bitop3:0x40
	v_lshrrev_b32_e32 v16, 3, v17
	s_mov_b32 s29, exec_lo
	v_cmpx_gt_u32_e32 8, v17
; %bb.16039:                            ;   in Loop: Header=BB6_13467 Depth=2
	s_delay_alu instid0(VALU_DEP_3) | instskip(NEXT) | instid1(VALU_DEP_1)
	v_clz_i32_u32_e32 v16, v10
	v_min_u32_e32 v16, 32, v16
	s_delay_alu instid0(VALU_DEP_1) | instskip(NEXT) | instid1(VALU_DEP_1)
	v_subrev_nc_u32_e32 v17, 28, v16
	v_lshlrev_b64_e32 v[10:11], v17, v[10:11]
	s_delay_alu instid0(VALU_DEP_1)
	v_dual_sub_nc_u32 v16, 29, v16 :: v_dual_bitop2_b32 v10, 7, v10 bitop3:0x40
; %bb.16040:                            ;   in Loop: Header=BB6_13467 Depth=2
	s_or_b32 exec_lo, exec_lo, s29
	v_lshlrev_b32_e32 v11, 16, v54
	s_delay_alu instid0(VALU_DEP_2) | instskip(NEXT) | instid1(VALU_DEP_3)
	v_lshlrev_b32_e32 v10, 20, v10
	v_lshl_add_u32 v16, v16, 23, 0x3c000000
	s_delay_alu instid0(VALU_DEP_3) | instskip(NEXT) | instid1(VALU_DEP_1)
	v_and_b32_e32 v11, 0x80000000, v11
	v_or3_b32 v10, v10, v11, v16
.LBB6_16041:                            ;   in Loop: Header=BB6_13467 Depth=2
	s_or_b32 exec_lo, exec_lo, s28
.LBB6_16042:                            ;   in Loop: Header=BB6_13467 Depth=2
	s_delay_alu instid0(SALU_CYCLE_1)
	s_or_b32 exec_lo, exec_lo, s27
.LBB6_16043:                            ;   in Loop: Header=BB6_13467 Depth=2
	s_delay_alu instid0(SALU_CYCLE_1) | instskip(NEXT) | instid1(VALU_DEP_1)
	s_or_b32 exec_lo, exec_lo, s10
	v_mul_f32_e32 v10, s26, v10
                                        ; implicit-def: $vgpr56
	s_mov_b32 s10, exec_lo
	s_delay_alu instid0(VALU_DEP_1) | instskip(SKIP_1) | instid1(VALU_DEP_2)
	v_and_b32_e32 v54, 0x7f800000, v10
	v_lshrrev_b32_e32 v11, 24, v10
	v_cmpx_ne_u64_e32 0x7f800000, v[54:55]
	s_xor_b32 s27, exec_lo, s10
	s_cbranch_execz .LBB6_16057
; %bb.16044:                            ;   in Loop: Header=BB6_13467 Depth=2
	v_and_b32_e32 v54, 0x7fffffff, v10
	v_and_b32_e32 v64, 0x80, v11
                                        ; implicit-def: $vgpr56
	s_mov_b32 s10, exec_lo
	s_delay_alu instid0(VALU_DEP_2)
	v_cmpx_gt_u64_e32 0x43e00001, v[54:55]
	s_xor_b32 s28, exec_lo, s10
	s_cbranch_execz .LBB6_16054
; %bb.16045:                            ;   in Loop: Header=BB6_13467 Depth=2
	v_mov_b32_e32 v56, 0
	s_mov_b32 s29, exec_lo
	v_cmpx_ne_u32_e32 0, v10
	s_cbranch_execz .LBB6_16053
; %bb.16046:                            ;   in Loop: Header=BB6_13467 Depth=2
	v_bfe_u32 v65, v10, 23, 8
	v_and_b32_e32 v11, 0x7fffff, v10
	s_delay_alu instid0(VALU_DEP_2) | instskip(SKIP_2) | instid1(VALU_DEP_4)
	v_cmp_gt_u32_e64 s10, 0x7a, v65
	v_sub_nc_u32_e32 v10, 0x79, v65
	v_cmp_eq_u32_e32 vcc_lo, 0, v65
	v_or_b32_e32 v16, 0x800000, v11
	s_delay_alu instid0(VALU_DEP_1) | instskip(NEXT) | instid1(VALU_DEP_1)
	v_dual_cndmask_b32 v10, 0, v10, s10 :: v_dual_cndmask_b32 v54, v16, v11, vcc_lo
	v_cndmask_b32_e64 v86, v10, 0x78, vcc_lo
	s_delay_alu instid0(VALU_DEP_1) | instskip(NEXT) | instid1(VALU_DEP_1)
	v_dual_add_nc_u32 v10, 20, v86 :: v_dual_add_nc_u32 v16, 19, v86
	v_lshlrev_b64_e64 v[10:11], v10, -1
	s_delay_alu instid0(VALU_DEP_2) | instskip(NEXT) | instid1(VALU_DEP_2)
	v_lshlrev_b64_e64 v[16:17], v16, 1
	v_bfi_b32 v11, v11, 0, 0
	s_delay_alu instid0(VALU_DEP_3) | instskip(NEXT) | instid1(VALU_DEP_1)
	v_bfi_b32 v10, v10, 0, v54
	v_cmp_eq_u64_e64 s10, v[10:11], v[16:17]
	v_lshrrev_b64 v[10:11], v86, v[54:55]
	s_delay_alu instid0(VALU_DEP_1)
	v_mov_b64_e32 v[16:17], v[10:11]
	s_and_saveexec_b32 s40, s10
; %bb.16047:                            ;   in Loop: Header=BB6_13467 Depth=2
	v_bfe_u32 v54, v10, 20, 1
	s_delay_alu instid0(VALU_DEP_1) | instskip(NEXT) | instid1(VALU_DEP_1)
	v_add_nc_u64_e32 v[16:17], v[10:11], v[54:55]
	v_add_nc_u64_e32 v[16:17], -1, v[16:17]
; %bb.16048:                            ;   in Loop: Header=BB6_13467 Depth=2
	s_or_b32 exec_lo, exec_lo, s40
	v_add_nc_u32_e32 v11, 0xffffff81, v65
	v_lshrrev_b32_e32 v17, 23, v10
	s_mov_b32 s10, exec_lo
	s_delay_alu instid0(VALU_DEP_2) | instskip(NEXT) | instid1(VALU_DEP_1)
	v_cndmask_b32_e64 v11, v11, 0xffffff82, vcc_lo
	v_add3_u32 v65, v86, v11, v17
	v_and_b32_e32 v11, 0xfffff, v16
                                        ; implicit-def: $vgpr16
	s_delay_alu instid0(VALU_DEP_1) | instskip(NEXT) | instid1(VALU_DEP_1)
	v_dual_add_nc_u32 v17, 6, v65 :: v_dual_add_nc_u32 v54, v11, v10
                                        ; implicit-def: $vgpr10_vgpr11
	v_cmpx_ne_u32_e32 0, v17
	s_xor_b32 s10, exec_lo, s10
; %bb.16049:                            ;   in Loop: Header=BB6_13467 Depth=2
	s_delay_alu instid0(VALU_DEP_2) | instskip(SKIP_1) | instid1(VALU_DEP_1)
	v_cmp_lt_u64_e32 vcc_lo, 0xffffff, v[54:55]
	v_add_nc_u32_e32 v10, 7, v65
	v_cndmask_b32_e32 v16, v17, v10, vcc_lo
	v_cndmask_b32_e64 v10, 0, 1, vcc_lo
	s_delay_alu instid0(VALU_DEP_1)
	v_lshrrev_b64 v[10:11], v10, v[54:55]
; %bb.16050:                            ;   in Loop: Header=BB6_13467 Depth=2
	s_and_not1_saveexec_b32 s10, s10
; %bb.16051:                            ;   in Loop: Header=BB6_13467 Depth=2
	v_mov_b64_e32 v[10:11], v[54:55]
	v_bfe_u32 v16, v54, 23, 1
; %bb.16052:                            ;   in Loop: Header=BB6_13467 Depth=2
	s_or_b32 exec_lo, exec_lo, s10
	s_delay_alu instid0(VALU_DEP_2) | instskip(NEXT) | instid1(VALU_DEP_2)
	v_lshrrev_b64 v[10:11], 20, v[10:11]
	v_cmp_gt_i32_e32 vcc_lo, 16, v16
	v_min_i32_e32 v17, 15, v16
	v_cmp_eq_u32_e64 s10, 0, v16
	s_delay_alu instid0(VALU_DEP_2) | instskip(SKIP_1) | instid1(VALU_DEP_2)
	v_dual_cndmask_b32 v11, 0, v11, vcc_lo :: v_dual_lshlrev_b32 v17, 3, v17
	v_cndmask_b32_e32 v10, 7, v10, vcc_lo
	v_and_b32_e32 v17, 0xf8, v17
	s_delay_alu instid0(VALU_DEP_2) | instskip(NEXT) | instid1(VALU_DEP_2)
	v_cmp_eq_u64_e32 vcc_lo, 0, v[10:11]
	v_and_or_b32 v10, v10, 7, v17
	s_and_b32 s10, s10, vcc_lo
	s_delay_alu instid0(VALU_DEP_1) | instid1(SALU_CYCLE_1)
	v_cndmask_b32_e64 v10, v10, 0, s10
	s_delay_alu instid0(VALU_DEP_1)
	v_or_b32_e32 v56, v10, v64
.LBB6_16053:                            ;   in Loop: Header=BB6_13467 Depth=2
	s_or_b32 exec_lo, exec_lo, s29
                                        ; implicit-def: $vgpr64
.LBB6_16054:                            ;   in Loop: Header=BB6_13467 Depth=2
	s_and_not1_saveexec_b32 s10, s28
; %bb.16055:                            ;   in Loop: Header=BB6_13467 Depth=2
	v_or_b32_e32 v56, 0x7e, v64
; %bb.16056:                            ;   in Loop: Header=BB6_13467 Depth=2
	s_or_b32 exec_lo, exec_lo, s10
                                        ; implicit-def: $vgpr11
.LBB6_16057:                            ;   in Loop: Header=BB6_13467 Depth=2
	s_and_not1_saveexec_b32 s10, s27
; %bb.16058:                            ;   in Loop: Header=BB6_13467 Depth=2
	v_or_b32_e32 v56, 0x7f, v11
; %bb.16059:                            ;   in Loop: Header=BB6_13467 Depth=2
	s_or_b32 exec_lo, exec_lo, s10
	v_dual_mov_b32 v11, 0 :: v_dual_lshrrev_b32 v10, 16, v13
	s_mov_b32 s10, exec_lo
	s_delay_alu instid0(VALU_DEP_1) | instskip(NEXT) | instid1(VALU_DEP_1)
	v_and_b32_e32 v16, 0xff, v10
	v_cmpx_ne_u16_e32 0, v16
	s_cbranch_execz .LBB6_16067
; %bb.16060:                            ;   in Loop: Header=BB6_13467 Depth=2
	v_bfrev_b32_e32 v11, 1
	s_mov_b32 s27, exec_lo
	v_cmpx_ne_u16_e32 0x80, v16
	s_cbranch_execz .LBB6_16066
; %bb.16061:                            ;   in Loop: Header=BB6_13467 Depth=2
	v_bfe_u32 v16, v13, 16, 7
	v_mov_b32_e32 v11, 0x7f800001
	s_mov_b32 s28, exec_lo
	s_delay_alu instid0(VALU_DEP_2)
	v_cmpx_ne_u32_e32 0x7f, v16
	s_cbranch_execz .LBB6_16065
; %bb.16062:                            ;   in Loop: Header=BB6_13467 Depth=2
	v_dual_lshrrev_b32 v11, 3, v16 :: v_dual_bitop2_b32 v54, 7, v10 bitop3:0x40
	s_mov_b32 s29, exec_lo
	v_cmpx_gt_u32_e32 8, v16
; %bb.16063:                            ;   in Loop: Header=BB6_13467 Depth=2
	s_delay_alu instid0(VALU_DEP_2) | instskip(NEXT) | instid1(VALU_DEP_1)
	v_clz_i32_u32_e32 v11, v54
	v_min_u32_e32 v11, 32, v11
	s_delay_alu instid0(VALU_DEP_1) | instskip(NEXT) | instid1(VALU_DEP_1)
	v_subrev_nc_u32_e32 v16, 28, v11
	v_lshlrev_b64_e32 v[16:17], v16, v[54:55]
	s_delay_alu instid0(VALU_DEP_1)
	v_dual_sub_nc_u32 v11, 29, v11 :: v_dual_bitop2_b32 v54, 7, v16 bitop3:0x40
; %bb.16064:                            ;   in Loop: Header=BB6_13467 Depth=2
	s_or_b32 exec_lo, exec_lo, s29
	v_lshlrev_b32_e32 v10, 24, v10
	s_delay_alu instid0(VALU_DEP_2) | instskip(NEXT) | instid1(VALU_DEP_3)
	v_lshlrev_b32_e32 v16, 20, v54
	v_lshl_add_u32 v11, v11, 23, 0x3c000000
	s_delay_alu instid0(VALU_DEP_3) | instskip(NEXT) | instid1(VALU_DEP_1)
	v_and_b32_e32 v10, 0x80000000, v10
	v_or3_b32 v11, v16, v10, v11
.LBB6_16065:                            ;   in Loop: Header=BB6_13467 Depth=2
	s_or_b32 exec_lo, exec_lo, s28
.LBB6_16066:                            ;   in Loop: Header=BB6_13467 Depth=2
	s_delay_alu instid0(SALU_CYCLE_1)
	s_or_b32 exec_lo, exec_lo, s27
.LBB6_16067:                            ;   in Loop: Header=BB6_13467 Depth=2
	s_delay_alu instid0(SALU_CYCLE_1) | instskip(NEXT) | instid1(VALU_DEP_1)
	s_or_b32 exec_lo, exec_lo, s10
	v_mul_f32_e32 v10, s26, v11
                                        ; implicit-def: $vgpr57
	s_mov_b32 s10, exec_lo
	s_delay_alu instid0(VALU_DEP_1) | instskip(SKIP_1) | instid1(VALU_DEP_2)
	v_and_b32_e32 v54, 0x7f800000, v10
	v_lshrrev_b32_e32 v11, 24, v10
	v_cmpx_ne_u64_e32 0x7f800000, v[54:55]
	s_xor_b32 s27, exec_lo, s10
	s_cbranch_execz .LBB6_16081
; %bb.16068:                            ;   in Loop: Header=BB6_13467 Depth=2
	v_and_b32_e32 v54, 0x7fffffff, v10
	v_and_b32_e32 v64, 0x80, v11
                                        ; implicit-def: $vgpr57
	s_mov_b32 s10, exec_lo
	s_delay_alu instid0(VALU_DEP_2)
	v_cmpx_gt_u64_e32 0x43e00001, v[54:55]
	s_xor_b32 s28, exec_lo, s10
	s_cbranch_execz .LBB6_16078
; %bb.16069:                            ;   in Loop: Header=BB6_13467 Depth=2
	v_mov_b32_e32 v57, 0
	s_mov_b32 s29, exec_lo
	v_cmpx_ne_u32_e32 0, v10
	s_cbranch_execz .LBB6_16077
; %bb.16070:                            ;   in Loop: Header=BB6_13467 Depth=2
	v_bfe_u32 v65, v10, 23, 8
	v_and_b32_e32 v11, 0x7fffff, v10
	s_delay_alu instid0(VALU_DEP_2) | instskip(SKIP_2) | instid1(VALU_DEP_4)
	v_cmp_gt_u32_e64 s10, 0x7a, v65
	v_sub_nc_u32_e32 v10, 0x79, v65
	v_cmp_eq_u32_e32 vcc_lo, 0, v65
	v_or_b32_e32 v16, 0x800000, v11
	s_delay_alu instid0(VALU_DEP_1) | instskip(NEXT) | instid1(VALU_DEP_1)
	v_dual_cndmask_b32 v10, 0, v10, s10 :: v_dual_cndmask_b32 v54, v16, v11, vcc_lo
	v_cndmask_b32_e64 v86, v10, 0x78, vcc_lo
	s_delay_alu instid0(VALU_DEP_1) | instskip(NEXT) | instid1(VALU_DEP_1)
	v_dual_add_nc_u32 v10, 20, v86 :: v_dual_add_nc_u32 v16, 19, v86
	v_lshlrev_b64_e64 v[10:11], v10, -1
	s_delay_alu instid0(VALU_DEP_2) | instskip(NEXT) | instid1(VALU_DEP_2)
	v_lshlrev_b64_e64 v[16:17], v16, 1
	v_bfi_b32 v11, v11, 0, 0
	s_delay_alu instid0(VALU_DEP_3) | instskip(NEXT) | instid1(VALU_DEP_1)
	v_bfi_b32 v10, v10, 0, v54
	v_cmp_eq_u64_e64 s10, v[10:11], v[16:17]
	v_lshrrev_b64 v[10:11], v86, v[54:55]
	s_delay_alu instid0(VALU_DEP_1)
	v_mov_b64_e32 v[16:17], v[10:11]
	s_and_saveexec_b32 s40, s10
; %bb.16071:                            ;   in Loop: Header=BB6_13467 Depth=2
	v_bfe_u32 v54, v10, 20, 1
	s_delay_alu instid0(VALU_DEP_1) | instskip(NEXT) | instid1(VALU_DEP_1)
	v_add_nc_u64_e32 v[16:17], v[10:11], v[54:55]
	v_add_nc_u64_e32 v[16:17], -1, v[16:17]
; %bb.16072:                            ;   in Loop: Header=BB6_13467 Depth=2
	s_or_b32 exec_lo, exec_lo, s40
	v_add_nc_u32_e32 v11, 0xffffff81, v65
	v_lshrrev_b32_e32 v17, 23, v10
	s_mov_b32 s10, exec_lo
	s_delay_alu instid0(VALU_DEP_2) | instskip(NEXT) | instid1(VALU_DEP_1)
	v_cndmask_b32_e64 v11, v11, 0xffffff82, vcc_lo
	v_add3_u32 v65, v86, v11, v17
	v_and_b32_e32 v11, 0xfffff, v16
                                        ; implicit-def: $vgpr16
	s_delay_alu instid0(VALU_DEP_1) | instskip(NEXT) | instid1(VALU_DEP_1)
	v_dual_add_nc_u32 v17, 6, v65 :: v_dual_add_nc_u32 v54, v11, v10
                                        ; implicit-def: $vgpr10_vgpr11
	v_cmpx_ne_u32_e32 0, v17
	s_xor_b32 s10, exec_lo, s10
; %bb.16073:                            ;   in Loop: Header=BB6_13467 Depth=2
	s_delay_alu instid0(VALU_DEP_2) | instskip(SKIP_1) | instid1(VALU_DEP_1)
	v_cmp_lt_u64_e32 vcc_lo, 0xffffff, v[54:55]
	v_add_nc_u32_e32 v10, 7, v65
	v_cndmask_b32_e32 v16, v17, v10, vcc_lo
	v_cndmask_b32_e64 v10, 0, 1, vcc_lo
	s_delay_alu instid0(VALU_DEP_1)
	v_lshrrev_b64 v[10:11], v10, v[54:55]
; %bb.16074:                            ;   in Loop: Header=BB6_13467 Depth=2
	s_and_not1_saveexec_b32 s10, s10
; %bb.16075:                            ;   in Loop: Header=BB6_13467 Depth=2
	v_mov_b64_e32 v[10:11], v[54:55]
	v_bfe_u32 v16, v54, 23, 1
; %bb.16076:                            ;   in Loop: Header=BB6_13467 Depth=2
	s_or_b32 exec_lo, exec_lo, s10
	s_delay_alu instid0(VALU_DEP_2) | instskip(NEXT) | instid1(VALU_DEP_2)
	v_lshrrev_b64 v[10:11], 20, v[10:11]
	v_cmp_gt_i32_e32 vcc_lo, 16, v16
	v_min_i32_e32 v17, 15, v16
	v_cmp_eq_u32_e64 s10, 0, v16
	s_delay_alu instid0(VALU_DEP_2) | instskip(SKIP_1) | instid1(VALU_DEP_2)
	v_dual_cndmask_b32 v11, 0, v11, vcc_lo :: v_dual_lshlrev_b32 v17, 3, v17
	v_cndmask_b32_e32 v10, 7, v10, vcc_lo
	v_and_b32_e32 v17, 0xf8, v17
	s_delay_alu instid0(VALU_DEP_2) | instskip(NEXT) | instid1(VALU_DEP_2)
	v_cmp_eq_u64_e32 vcc_lo, 0, v[10:11]
	v_and_or_b32 v10, v10, 7, v17
	s_and_b32 s10, s10, vcc_lo
	s_delay_alu instid0(VALU_DEP_1) | instid1(SALU_CYCLE_1)
	v_cndmask_b32_e64 v10, v10, 0, s10
	s_delay_alu instid0(VALU_DEP_1)
	v_or_b32_e32 v57, v10, v64
.LBB6_16077:                            ;   in Loop: Header=BB6_13467 Depth=2
	s_or_b32 exec_lo, exec_lo, s29
                                        ; implicit-def: $vgpr64
.LBB6_16078:                            ;   in Loop: Header=BB6_13467 Depth=2
	s_and_not1_saveexec_b32 s10, s28
; %bb.16079:                            ;   in Loop: Header=BB6_13467 Depth=2
	v_or_b32_e32 v57, 0x7e, v64
; %bb.16080:                            ;   in Loop: Header=BB6_13467 Depth=2
	s_or_b32 exec_lo, exec_lo, s10
                                        ; implicit-def: $vgpr11
.LBB6_16081:                            ;   in Loop: Header=BB6_13467 Depth=2
	s_and_not1_saveexec_b32 s10, s27
; %bb.16082:                            ;   in Loop: Header=BB6_13467 Depth=2
	v_or_b32_e32 v57, 0x7f, v11
; %bb.16083:                            ;   in Loop: Header=BB6_13467 Depth=2
	s_or_b32 exec_lo, exec_lo, s10
	v_mov_b32_e32 v11, 0
	s_mov_b32 s10, exec_lo
	v_cmpx_lt_u64_e64 s[12:13], v[12:13]
	s_cbranch_execz .LBB6_16091
; %bb.16084:                            ;   in Loop: Header=BB6_13467 Depth=2
	v_lshrrev_b32_e32 v10, 24, v13
	v_bfrev_b32_e32 v11, 1
	s_mov_b32 s27, exec_lo
	s_delay_alu instid0(VALU_DEP_2)
	v_cmpx_ne_u32_e32 0x80, v10
	s_cbranch_execz .LBB6_16090
; %bb.16085:                            ;   in Loop: Header=BB6_13467 Depth=2
	v_bfe_u32 v12, v13, 24, 7
	v_mov_b32_e32 v11, 0x7f800001
	s_mov_b32 s28, exec_lo
	s_delay_alu instid0(VALU_DEP_2)
	v_cmpx_ne_u32_e32 0x7f, v12
	s_cbranch_execz .LBB6_16089
; %bb.16086:                            ;   in Loop: Header=BB6_13467 Depth=2
	v_dual_lshrrev_b32 v11, 3, v12 :: v_dual_bitop2_b32 v54, 7, v10 bitop3:0x40
	s_mov_b32 s29, exec_lo
	v_cmpx_gt_u32_e32 8, v12
; %bb.16087:                            ;   in Loop: Header=BB6_13467 Depth=2
	s_delay_alu instid0(VALU_DEP_2) | instskip(NEXT) | instid1(VALU_DEP_1)
	v_clz_i32_u32_e32 v11, v54
	v_min_u32_e32 v11, 32, v11
	s_delay_alu instid0(VALU_DEP_1) | instskip(NEXT) | instid1(VALU_DEP_1)
	v_subrev_nc_u32_e32 v12, 28, v11
	v_lshlrev_b64_e32 v[12:13], v12, v[54:55]
	s_delay_alu instid0(VALU_DEP_1)
	v_dual_sub_nc_u32 v11, 29, v11 :: v_dual_bitop2_b32 v54, 7, v12 bitop3:0x40
; %bb.16088:                            ;   in Loop: Header=BB6_13467 Depth=2
	s_or_b32 exec_lo, exec_lo, s29
	v_lshlrev_b32_e32 v10, 24, v10
	s_delay_alu instid0(VALU_DEP_2) | instskip(NEXT) | instid1(VALU_DEP_3)
	v_lshlrev_b32_e32 v12, 20, v54
	v_lshl_add_u32 v11, v11, 23, 0x3c000000
	s_delay_alu instid0(VALU_DEP_3) | instskip(NEXT) | instid1(VALU_DEP_1)
	v_and_b32_e32 v10, 0x80000000, v10
	v_or3_b32 v11, v12, v10, v11
.LBB6_16089:                            ;   in Loop: Header=BB6_13467 Depth=2
	s_or_b32 exec_lo, exec_lo, s28
.LBB6_16090:                            ;   in Loop: Header=BB6_13467 Depth=2
	s_delay_alu instid0(SALU_CYCLE_1)
	s_or_b32 exec_lo, exec_lo, s27
.LBB6_16091:                            ;   in Loop: Header=BB6_13467 Depth=2
	s_delay_alu instid0(SALU_CYCLE_1) | instskip(NEXT) | instid1(VALU_DEP_1)
	s_or_b32 exec_lo, exec_lo, s10
	v_mul_f32_e32 v10, s26, v11
                                        ; implicit-def: $vgpr64
	s_mov_b32 s10, exec_lo
	s_delay_alu instid0(VALU_DEP_1) | instskip(SKIP_1) | instid1(VALU_DEP_2)
	v_and_b32_e32 v54, 0x7f800000, v10
	v_lshrrev_b32_e32 v11, 24, v10
	v_cmpx_ne_u64_e32 0x7f800000, v[54:55]
	s_xor_b32 s27, exec_lo, s10
	s_cbranch_execz .LBB6_16105
; %bb.16092:                            ;   in Loop: Header=BB6_13467 Depth=2
	v_and_b32_e32 v54, 0x7fffffff, v10
	v_and_b32_e32 v16, 0x80, v11
                                        ; implicit-def: $vgpr64
	s_mov_b32 s10, exec_lo
	s_delay_alu instid0(VALU_DEP_2)
	v_cmpx_gt_u64_e32 0x43e00001, v[54:55]
	s_xor_b32 s28, exec_lo, s10
	s_cbranch_execz .LBB6_16102
; %bb.16093:                            ;   in Loop: Header=BB6_13467 Depth=2
	v_mov_b32_e32 v64, 0
	s_mov_b32 s29, exec_lo
	v_cmpx_ne_u32_e32 0, v10
	s_cbranch_execz .LBB6_16101
; %bb.16094:                            ;   in Loop: Header=BB6_13467 Depth=2
	v_bfe_u32 v17, v10, 23, 8
	v_and_b32_e32 v11, 0x7fffff, v10
	s_delay_alu instid0(VALU_DEP_2) | instskip(SKIP_2) | instid1(VALU_DEP_4)
	v_cmp_gt_u32_e64 s10, 0x7a, v17
	v_sub_nc_u32_e32 v10, 0x79, v17
	v_cmp_eq_u32_e32 vcc_lo, 0, v17
	v_or_b32_e32 v12, 0x800000, v11
	s_delay_alu instid0(VALU_DEP_1) | instskip(NEXT) | instid1(VALU_DEP_1)
	v_dual_cndmask_b32 v10, 0, v10, s10 :: v_dual_cndmask_b32 v54, v12, v11, vcc_lo
	v_cndmask_b32_e64 v64, v10, 0x78, vcc_lo
	s_delay_alu instid0(VALU_DEP_1) | instskip(NEXT) | instid1(VALU_DEP_1)
	v_dual_add_nc_u32 v10, 20, v64 :: v_dual_add_nc_u32 v12, 19, v64
	v_lshlrev_b64_e64 v[10:11], v10, -1
	s_delay_alu instid0(VALU_DEP_2) | instskip(NEXT) | instid1(VALU_DEP_2)
	v_lshlrev_b64_e64 v[12:13], v12, 1
	v_bfi_b32 v11, v11, 0, 0
	s_delay_alu instid0(VALU_DEP_3) | instskip(NEXT) | instid1(VALU_DEP_1)
	v_bfi_b32 v10, v10, 0, v54
	v_cmp_eq_u64_e64 s10, v[10:11], v[12:13]
	v_lshrrev_b64 v[10:11], v64, v[54:55]
	s_delay_alu instid0(VALU_DEP_1)
	v_mov_b64_e32 v[12:13], v[10:11]
	s_and_saveexec_b32 s40, s10
; %bb.16095:                            ;   in Loop: Header=BB6_13467 Depth=2
	v_bfe_u32 v54, v10, 20, 1
	s_delay_alu instid0(VALU_DEP_1) | instskip(NEXT) | instid1(VALU_DEP_1)
	v_add_nc_u64_e32 v[12:13], v[10:11], v[54:55]
	v_add_nc_u64_e32 v[12:13], -1, v[12:13]
; %bb.16096:                            ;   in Loop: Header=BB6_13467 Depth=2
	s_or_b32 exec_lo, exec_lo, s40
	v_add_nc_u32_e32 v11, 0xffffff81, v17
	v_lshrrev_b32_e32 v13, 23, v10
	s_mov_b32 s10, exec_lo
	s_delay_alu instid0(VALU_DEP_2) | instskip(NEXT) | instid1(VALU_DEP_1)
	v_cndmask_b32_e64 v11, v11, 0xffffff82, vcc_lo
	v_add3_u32 v17, v64, v11, v13
	v_and_b32_e32 v11, 0xfffff, v12
                                        ; implicit-def: $vgpr12
	s_delay_alu instid0(VALU_DEP_1) | instskip(NEXT) | instid1(VALU_DEP_1)
	v_dual_add_nc_u32 v13, 6, v17 :: v_dual_add_nc_u32 v54, v11, v10
                                        ; implicit-def: $vgpr10_vgpr11
	v_cmpx_ne_u32_e32 0, v13
	s_xor_b32 s10, exec_lo, s10
; %bb.16097:                            ;   in Loop: Header=BB6_13467 Depth=2
	s_delay_alu instid0(VALU_DEP_2) | instskip(SKIP_1) | instid1(VALU_DEP_1)
	v_cmp_lt_u64_e32 vcc_lo, 0xffffff, v[54:55]
	v_add_nc_u32_e32 v10, 7, v17
	v_cndmask_b32_e32 v12, v13, v10, vcc_lo
	v_cndmask_b32_e64 v10, 0, 1, vcc_lo
	s_delay_alu instid0(VALU_DEP_1)
	v_lshrrev_b64 v[10:11], v10, v[54:55]
; %bb.16098:                            ;   in Loop: Header=BB6_13467 Depth=2
	s_and_not1_saveexec_b32 s10, s10
; %bb.16099:                            ;   in Loop: Header=BB6_13467 Depth=2
	v_mov_b64_e32 v[10:11], v[54:55]
	v_bfe_u32 v12, v54, 23, 1
; %bb.16100:                            ;   in Loop: Header=BB6_13467 Depth=2
	s_or_b32 exec_lo, exec_lo, s10
	s_delay_alu instid0(VALU_DEP_2) | instskip(NEXT) | instid1(VALU_DEP_2)
	v_lshrrev_b64 v[10:11], 20, v[10:11]
	v_cmp_gt_i32_e32 vcc_lo, 16, v12
	v_min_i32_e32 v13, 15, v12
	v_cmp_eq_u32_e64 s10, 0, v12
	s_delay_alu instid0(VALU_DEP_2) | instskip(SKIP_1) | instid1(VALU_DEP_2)
	v_dual_cndmask_b32 v11, 0, v11, vcc_lo :: v_dual_lshlrev_b32 v13, 3, v13
	v_cndmask_b32_e32 v10, 7, v10, vcc_lo
	v_and_b32_e32 v13, 0xf8, v13
	s_delay_alu instid0(VALU_DEP_2) | instskip(NEXT) | instid1(VALU_DEP_2)
	v_cmp_eq_u64_e32 vcc_lo, 0, v[10:11]
	v_and_or_b32 v10, v10, 7, v13
	s_and_b32 s10, s10, vcc_lo
	s_delay_alu instid0(VALU_DEP_1) | instid1(SALU_CYCLE_1)
	v_cndmask_b32_e64 v10, v10, 0, s10
	s_delay_alu instid0(VALU_DEP_1)
	v_or_b32_e32 v64, v10, v16
.LBB6_16101:                            ;   in Loop: Header=BB6_13467 Depth=2
	s_or_b32 exec_lo, exec_lo, s29
                                        ; implicit-def: $vgpr16
.LBB6_16102:                            ;   in Loop: Header=BB6_13467 Depth=2
	s_and_not1_saveexec_b32 s10, s28
; %bb.16103:                            ;   in Loop: Header=BB6_13467 Depth=2
	v_or_b32_e32 v64, 0x7e, v16
; %bb.16104:                            ;   in Loop: Header=BB6_13467 Depth=2
	s_or_b32 exec_lo, exec_lo, s10
                                        ; implicit-def: $vgpr11
.LBB6_16105:                            ;   in Loop: Header=BB6_13467 Depth=2
	s_and_not1_saveexec_b32 s10, s27
; %bb.16106:                            ;   in Loop: Header=BB6_13467 Depth=2
	v_or_b32_e32 v64, 0x7f, v11
; %bb.16107:                            ;   in Loop: Header=BB6_13467 Depth=2
	s_or_b32 exec_lo, exec_lo, s10
	global_load_b128 v[10:13], v[14:15], off offset:3584 th:TH_LOAD_NT
	s_wait_xcnt 0x0
	v_mov_b32_e32 v14, 0
	s_mov_b32 s10, exec_lo
	s_wait_loadcnt 0x0
	v_and_b32_e32 v15, 0xff, v10
	s_delay_alu instid0(VALU_DEP_1)
	v_cmpx_ne_u16_e32 0, v15
	s_cbranch_execz .LBB6_16113
; %bb.16108:                            ;   in Loop: Header=BB6_13467 Depth=2
	v_bfrev_b32_e32 v14, 1
	s_mov_b32 s27, exec_lo
	v_cmpx_ne_u16_e32 0x80, v15
	s_cbranch_execz .LBB6_16112
; %bb.16109:                            ;   in Loop: Header=BB6_13467 Depth=2
	v_and_b32_e32 v15, 0x7f, v10
	v_mov_b32_e32 v14, 0x7f800001
	s_mov_b32 s28, exec_lo
	s_delay_alu instid0(VALU_DEP_2)
	v_cmpx_ne_u32_e32 0x7f, v15
	s_cbranch_execz .LBB6_16111
; %bb.16110:                            ;   in Loop: Header=BB6_13467 Depth=2
	v_dual_lshrrev_b32 v16, 3, v15 :: v_dual_bitop2_b32 v14, 7, v10 bitop3:0x40
	v_cmp_gt_u32_e32 vcc_lo, 8, v15
	s_delay_alu instid0(VALU_DEP_2) | instskip(NEXT) | instid1(VALU_DEP_1)
	v_clz_i32_u32_e32 v14, v14
	v_min_u32_e32 v14, 32, v14
	s_delay_alu instid0(VALU_DEP_1) | instskip(SKIP_1) | instid1(VALU_DEP_1)
	v_subrev_nc_u32_e32 v15, 28, v14
	v_sub_nc_u32_e32 v14, 29, v14
	v_dual_cndmask_b32 v16, v16, v14, vcc_lo :: v_dual_cndmask_b32 v14, 0, v15, vcc_lo
	s_delay_alu instid0(VALU_DEP_1) | instskip(NEXT) | instid1(VALU_DEP_2)
	v_lshl_add_u32 v16, v16, 23, 0x3c000000
	v_lshlrev_b64_e32 v[14:15], v14, v[10:11]
	v_lshlrev_b32_e32 v15, 24, v10
	s_delay_alu instid0(VALU_DEP_1) | instskip(NEXT) | instid1(VALU_DEP_3)
	v_and_b32_e32 v15, 0x80000000, v15
	v_lshlrev_b32_e32 v14, 20, v14
	s_delay_alu instid0(VALU_DEP_1) | instskip(NEXT) | instid1(VALU_DEP_1)
	v_and_b32_e32 v14, 0x700000, v14
	v_or3_b32 v14, v14, v15, v16
.LBB6_16111:                            ;   in Loop: Header=BB6_13467 Depth=2
	s_or_b32 exec_lo, exec_lo, s28
.LBB6_16112:                            ;   in Loop: Header=BB6_13467 Depth=2
	s_delay_alu instid0(SALU_CYCLE_1)
	s_or_b32 exec_lo, exec_lo, s27
.LBB6_16113:                            ;   in Loop: Header=BB6_13467 Depth=2
	s_delay_alu instid0(SALU_CYCLE_1) | instskip(NEXT) | instid1(VALU_DEP_1)
	s_or_b32 exec_lo, exec_lo, s10
	v_mul_f32_e32 v14, s26, v14
                                        ; implicit-def: $vgpr65
	s_mov_b32 s10, exec_lo
	s_delay_alu instid0(VALU_DEP_1) | instskip(SKIP_1) | instid1(VALU_DEP_2)
	v_and_b32_e32 v54, 0x7f800000, v14
	v_lshrrev_b32_e32 v15, 24, v14
	v_cmpx_ne_u64_e32 0x7f800000, v[54:55]
	s_xor_b32 s27, exec_lo, s10
	s_cbranch_execz .LBB6_16127
; %bb.16114:                            ;   in Loop: Header=BB6_13467 Depth=2
	v_and_b32_e32 v54, 0x7fffffff, v14
	v_and_b32_e32 v86, 0x80, v15
                                        ; implicit-def: $vgpr65
	s_mov_b32 s10, exec_lo
	s_delay_alu instid0(VALU_DEP_2)
	v_cmpx_gt_u64_e32 0x43e00001, v[54:55]
	s_xor_b32 s28, exec_lo, s10
	s_cbranch_execz .LBB6_16124
; %bb.16115:                            ;   in Loop: Header=BB6_13467 Depth=2
	v_mov_b32_e32 v65, 0
	s_mov_b32 s29, exec_lo
	v_cmpx_ne_u32_e32 0, v14
	s_cbranch_execz .LBB6_16123
; %bb.16116:                            ;   in Loop: Header=BB6_13467 Depth=2
	v_bfe_u32 v65, v14, 23, 8
	v_and_b32_e32 v15, 0x7fffff, v14
	s_delay_alu instid0(VALU_DEP_2) | instskip(SKIP_2) | instid1(VALU_DEP_4)
	v_cmp_gt_u32_e64 s10, 0x7a, v65
	v_sub_nc_u32_e32 v14, 0x79, v65
	v_cmp_eq_u32_e32 vcc_lo, 0, v65
	v_or_b32_e32 v16, 0x800000, v15
	s_delay_alu instid0(VALU_DEP_1) | instskip(NEXT) | instid1(VALU_DEP_1)
	v_dual_cndmask_b32 v14, 0, v14, s10 :: v_dual_cndmask_b32 v54, v16, v15, vcc_lo
	v_cndmask_b32_e64 v58, v14, 0x78, vcc_lo
	s_delay_alu instid0(VALU_DEP_1) | instskip(NEXT) | instid1(VALU_DEP_1)
	v_dual_add_nc_u32 v14, 20, v58 :: v_dual_add_nc_u32 v16, 19, v58
	v_lshlrev_b64_e64 v[14:15], v14, -1
	s_delay_alu instid0(VALU_DEP_2) | instskip(NEXT) | instid1(VALU_DEP_2)
	v_lshlrev_b64_e64 v[16:17], v16, 1
	v_bfi_b32 v15, v15, 0, 0
	s_delay_alu instid0(VALU_DEP_3) | instskip(NEXT) | instid1(VALU_DEP_1)
	v_bfi_b32 v14, v14, 0, v54
	v_cmp_eq_u64_e64 s10, v[14:15], v[16:17]
	v_lshrrev_b64 v[14:15], v58, v[54:55]
	s_delay_alu instid0(VALU_DEP_1)
	v_mov_b64_e32 v[16:17], v[14:15]
	s_and_saveexec_b32 s40, s10
; %bb.16117:                            ;   in Loop: Header=BB6_13467 Depth=2
	v_bfe_u32 v54, v14, 20, 1
	s_delay_alu instid0(VALU_DEP_1) | instskip(NEXT) | instid1(VALU_DEP_1)
	v_add_nc_u64_e32 v[16:17], v[14:15], v[54:55]
	v_add_nc_u64_e32 v[16:17], -1, v[16:17]
; %bb.16118:                            ;   in Loop: Header=BB6_13467 Depth=2
	s_or_b32 exec_lo, exec_lo, s40
	v_add_nc_u32_e32 v15, 0xffffff81, v65
	v_lshrrev_b32_e32 v17, 23, v14
	s_mov_b32 s10, exec_lo
	s_delay_alu instid0(VALU_DEP_2) | instskip(NEXT) | instid1(VALU_DEP_1)
	v_cndmask_b32_e64 v15, v15, 0xffffff82, vcc_lo
	v_add3_u32 v65, v58, v15, v17
	v_and_b32_e32 v15, 0xfffff, v16
                                        ; implicit-def: $vgpr16
	s_delay_alu instid0(VALU_DEP_1) | instskip(NEXT) | instid1(VALU_DEP_1)
	v_dual_add_nc_u32 v17, 6, v65 :: v_dual_add_nc_u32 v54, v15, v14
                                        ; implicit-def: $vgpr14_vgpr15
	v_cmpx_ne_u32_e32 0, v17
	s_xor_b32 s10, exec_lo, s10
; %bb.16119:                            ;   in Loop: Header=BB6_13467 Depth=2
	s_delay_alu instid0(VALU_DEP_2) | instskip(SKIP_1) | instid1(VALU_DEP_1)
	v_cmp_lt_u64_e32 vcc_lo, 0xffffff, v[54:55]
	v_add_nc_u32_e32 v14, 7, v65
	v_cndmask_b32_e32 v16, v17, v14, vcc_lo
	v_cndmask_b32_e64 v14, 0, 1, vcc_lo
	s_delay_alu instid0(VALU_DEP_1)
	v_lshrrev_b64 v[14:15], v14, v[54:55]
; %bb.16120:                            ;   in Loop: Header=BB6_13467 Depth=2
	s_and_not1_saveexec_b32 s10, s10
; %bb.16121:                            ;   in Loop: Header=BB6_13467 Depth=2
	v_mov_b64_e32 v[14:15], v[54:55]
	v_bfe_u32 v16, v54, 23, 1
; %bb.16122:                            ;   in Loop: Header=BB6_13467 Depth=2
	s_or_b32 exec_lo, exec_lo, s10
	s_delay_alu instid0(VALU_DEP_2) | instskip(NEXT) | instid1(VALU_DEP_2)
	v_lshrrev_b64 v[14:15], 20, v[14:15]
	v_cmp_gt_i32_e32 vcc_lo, 16, v16
	v_min_i32_e32 v17, 15, v16
	v_cmp_eq_u32_e64 s10, 0, v16
	s_delay_alu instid0(VALU_DEP_2) | instskip(SKIP_1) | instid1(VALU_DEP_2)
	v_dual_cndmask_b32 v15, 0, v15, vcc_lo :: v_dual_lshlrev_b32 v17, 3, v17
	v_cndmask_b32_e32 v14, 7, v14, vcc_lo
	v_and_b32_e32 v17, 0xf8, v17
	s_delay_alu instid0(VALU_DEP_2) | instskip(NEXT) | instid1(VALU_DEP_2)
	v_cmp_eq_u64_e32 vcc_lo, 0, v[14:15]
	v_and_or_b32 v14, v14, 7, v17
	s_and_b32 s10, s10, vcc_lo
	s_delay_alu instid0(VALU_DEP_1) | instid1(SALU_CYCLE_1)
	v_cndmask_b32_e64 v14, v14, 0, s10
	s_delay_alu instid0(VALU_DEP_1)
	v_or_b32_e32 v65, v14, v86
.LBB6_16123:                            ;   in Loop: Header=BB6_13467 Depth=2
	s_or_b32 exec_lo, exec_lo, s29
                                        ; implicit-def: $vgpr86
.LBB6_16124:                            ;   in Loop: Header=BB6_13467 Depth=2
	s_and_not1_saveexec_b32 s10, s28
; %bb.16125:                            ;   in Loop: Header=BB6_13467 Depth=2
	v_or_b32_e32 v65, 0x7e, v86
; %bb.16126:                            ;   in Loop: Header=BB6_13467 Depth=2
	s_or_b32 exec_lo, exec_lo, s10
                                        ; implicit-def: $vgpr15
.LBB6_16127:                            ;   in Loop: Header=BB6_13467 Depth=2
	s_and_not1_saveexec_b32 s10, s27
; %bb.16128:                            ;   in Loop: Header=BB6_13467 Depth=2
	v_or_b32_e32 v65, 0x7f, v15
; %bb.16129:                            ;   in Loop: Header=BB6_13467 Depth=2
	s_or_b32 exec_lo, exec_lo, s10
	v_lshrrev_b16 v15, 8, v10
	v_mov_b32_e32 v14, 0
	s_mov_b32 s10, exec_lo
	s_delay_alu instid0(VALU_DEP_2)
	v_cmpx_ne_u16_e32 0, v15
	s_cbranch_execz .LBB6_16137
; %bb.16130:                            ;   in Loop: Header=BB6_13467 Depth=2
	v_bfrev_b32_e32 v14, 1
	s_mov_b32 s27, exec_lo
	v_cmpx_ne_u16_e32 0x80, v15
	s_cbranch_execz .LBB6_16136
; %bb.16131:                            ;   in Loop: Header=BB6_13467 Depth=2
	v_and_b32_e32 v16, 0xffff, v15
	v_mov_b32_e32 v14, 0x7f800001
	s_mov_b32 s28, exec_lo
	s_delay_alu instid0(VALU_DEP_2) | instskip(NEXT) | instid1(VALU_DEP_1)
	v_and_b32_e32 v15, 0x7f, v16
	v_cmpx_ne_u32_e32 0x7f, v15
	s_cbranch_execz .LBB6_16135
; %bb.16132:                            ;   in Loop: Header=BB6_13467 Depth=2
	v_dual_lshrrev_b32 v14, 3, v15 :: v_dual_bitop2_b32 v54, 7, v16 bitop3:0x40
	s_mov_b32 s29, exec_lo
	v_cmpx_gt_u32_e32 8, v15
; %bb.16133:                            ;   in Loop: Header=BB6_13467 Depth=2
	s_delay_alu instid0(VALU_DEP_2) | instskip(NEXT) | instid1(VALU_DEP_1)
	v_clz_i32_u32_e32 v14, v54
	v_min_u32_e32 v14, 32, v14
	s_delay_alu instid0(VALU_DEP_1) | instskip(NEXT) | instid1(VALU_DEP_1)
	v_subrev_nc_u32_e32 v15, 28, v14
	v_lshlrev_b64_e32 v[16:17], v15, v[54:55]
	s_delay_alu instid0(VALU_DEP_1)
	v_dual_sub_nc_u32 v14, 29, v14 :: v_dual_bitop2_b32 v54, 7, v16 bitop3:0x40
; %bb.16134:                            ;   in Loop: Header=BB6_13467 Depth=2
	s_or_b32 exec_lo, exec_lo, s29
	v_lshlrev_b32_e32 v15, 16, v10
	s_delay_alu instid0(VALU_DEP_2) | instskip(NEXT) | instid1(VALU_DEP_3)
	v_lshlrev_b32_e32 v16, 20, v54
	v_lshl_add_u32 v14, v14, 23, 0x3c000000
	s_delay_alu instid0(VALU_DEP_3) | instskip(NEXT) | instid1(VALU_DEP_1)
	v_and_b32_e32 v15, 0x80000000, v15
	v_or3_b32 v14, v16, v15, v14
.LBB6_16135:                            ;   in Loop: Header=BB6_13467 Depth=2
	s_or_b32 exec_lo, exec_lo, s28
.LBB6_16136:                            ;   in Loop: Header=BB6_13467 Depth=2
	s_delay_alu instid0(SALU_CYCLE_1)
	s_or_b32 exec_lo, exec_lo, s27
.LBB6_16137:                            ;   in Loop: Header=BB6_13467 Depth=2
	s_delay_alu instid0(SALU_CYCLE_1) | instskip(NEXT) | instid1(VALU_DEP_1)
	s_or_b32 exec_lo, exec_lo, s10
	v_mul_f32_e32 v14, s26, v14
                                        ; implicit-def: $vgpr58
	s_mov_b32 s10, exec_lo
	s_delay_alu instid0(VALU_DEP_1) | instskip(SKIP_1) | instid1(VALU_DEP_2)
	v_and_b32_e32 v54, 0x7f800000, v14
	v_lshrrev_b32_e32 v15, 24, v14
	v_cmpx_ne_u64_e32 0x7f800000, v[54:55]
	s_xor_b32 s27, exec_lo, s10
	s_cbranch_execz .LBB6_16151
; %bb.16138:                            ;   in Loop: Header=BB6_13467 Depth=2
	v_and_b32_e32 v54, 0x7fffffff, v14
	v_and_b32_e32 v86, 0x80, v15
                                        ; implicit-def: $vgpr58
	s_mov_b32 s10, exec_lo
	s_delay_alu instid0(VALU_DEP_2)
	v_cmpx_gt_u64_e32 0x43e00001, v[54:55]
	s_xor_b32 s28, exec_lo, s10
	s_cbranch_execz .LBB6_16148
; %bb.16139:                            ;   in Loop: Header=BB6_13467 Depth=2
	v_mov_b32_e32 v58, 0
	s_mov_b32 s29, exec_lo
	v_cmpx_ne_u32_e32 0, v14
	s_cbranch_execz .LBB6_16147
; %bb.16140:                            ;   in Loop: Header=BB6_13467 Depth=2
	v_bfe_u32 v58, v14, 23, 8
	v_and_b32_e32 v15, 0x7fffff, v14
	s_delay_alu instid0(VALU_DEP_2) | instskip(SKIP_2) | instid1(VALU_DEP_4)
	v_cmp_gt_u32_e64 s10, 0x7a, v58
	v_sub_nc_u32_e32 v14, 0x79, v58
	v_cmp_eq_u32_e32 vcc_lo, 0, v58
	v_or_b32_e32 v16, 0x800000, v15
	s_delay_alu instid0(VALU_DEP_1) | instskip(NEXT) | instid1(VALU_DEP_1)
	v_dual_cndmask_b32 v14, 0, v14, s10 :: v_dual_cndmask_b32 v54, v16, v15, vcc_lo
	v_cndmask_b32_e64 v59, v14, 0x78, vcc_lo
	s_delay_alu instid0(VALU_DEP_1) | instskip(NEXT) | instid1(VALU_DEP_1)
	v_dual_add_nc_u32 v14, 20, v59 :: v_dual_add_nc_u32 v16, 19, v59
	v_lshlrev_b64_e64 v[14:15], v14, -1
	s_delay_alu instid0(VALU_DEP_2) | instskip(NEXT) | instid1(VALU_DEP_2)
	v_lshlrev_b64_e64 v[16:17], v16, 1
	v_bfi_b32 v15, v15, 0, 0
	s_delay_alu instid0(VALU_DEP_3) | instskip(NEXT) | instid1(VALU_DEP_1)
	v_bfi_b32 v14, v14, 0, v54
	v_cmp_eq_u64_e64 s10, v[14:15], v[16:17]
	v_lshrrev_b64 v[14:15], v59, v[54:55]
	s_delay_alu instid0(VALU_DEP_1)
	v_mov_b64_e32 v[16:17], v[14:15]
	s_and_saveexec_b32 s40, s10
; %bb.16141:                            ;   in Loop: Header=BB6_13467 Depth=2
	v_bfe_u32 v54, v14, 20, 1
	s_delay_alu instid0(VALU_DEP_1) | instskip(NEXT) | instid1(VALU_DEP_1)
	v_add_nc_u64_e32 v[16:17], v[14:15], v[54:55]
	v_add_nc_u64_e32 v[16:17], -1, v[16:17]
; %bb.16142:                            ;   in Loop: Header=BB6_13467 Depth=2
	s_or_b32 exec_lo, exec_lo, s40
	v_add_nc_u32_e32 v15, 0xffffff81, v58
	v_lshrrev_b32_e32 v17, 23, v14
	s_mov_b32 s10, exec_lo
	s_delay_alu instid0(VALU_DEP_2) | instskip(NEXT) | instid1(VALU_DEP_1)
	v_cndmask_b32_e64 v15, v15, 0xffffff82, vcc_lo
	v_add3_u32 v58, v59, v15, v17
	v_and_b32_e32 v15, 0xfffff, v16
                                        ; implicit-def: $vgpr16
	s_delay_alu instid0(VALU_DEP_2) | instskip(NEXT) | instid1(VALU_DEP_2)
	v_add_nc_u32_e32 v17, 6, v58
	v_add_nc_u32_e32 v54, v15, v14
                                        ; implicit-def: $vgpr14_vgpr15
	s_delay_alu instid0(VALU_DEP_2)
	v_cmpx_ne_u32_e32 0, v17
	s_xor_b32 s10, exec_lo, s10
; %bb.16143:                            ;   in Loop: Header=BB6_13467 Depth=2
	s_delay_alu instid0(VALU_DEP_2) | instskip(SKIP_1) | instid1(VALU_DEP_1)
	v_cmp_lt_u64_e32 vcc_lo, 0xffffff, v[54:55]
	v_add_nc_u32_e32 v14, 7, v58
	v_cndmask_b32_e32 v16, v17, v14, vcc_lo
	v_cndmask_b32_e64 v14, 0, 1, vcc_lo
	s_delay_alu instid0(VALU_DEP_1)
	v_lshrrev_b64 v[14:15], v14, v[54:55]
; %bb.16144:                            ;   in Loop: Header=BB6_13467 Depth=2
	s_and_not1_saveexec_b32 s10, s10
; %bb.16145:                            ;   in Loop: Header=BB6_13467 Depth=2
	v_mov_b64_e32 v[14:15], v[54:55]
	v_bfe_u32 v16, v54, 23, 1
; %bb.16146:                            ;   in Loop: Header=BB6_13467 Depth=2
	s_or_b32 exec_lo, exec_lo, s10
	s_delay_alu instid0(VALU_DEP_2) | instskip(NEXT) | instid1(VALU_DEP_2)
	v_lshrrev_b64 v[14:15], 20, v[14:15]
	v_cmp_gt_i32_e32 vcc_lo, 16, v16
	v_min_i32_e32 v17, 15, v16
	v_cmp_eq_u32_e64 s10, 0, v16
	s_delay_alu instid0(VALU_DEP_2) | instskip(SKIP_1) | instid1(VALU_DEP_2)
	v_dual_cndmask_b32 v15, 0, v15, vcc_lo :: v_dual_lshlrev_b32 v17, 3, v17
	v_cndmask_b32_e32 v14, 7, v14, vcc_lo
	v_and_b32_e32 v17, 0xf8, v17
	s_delay_alu instid0(VALU_DEP_2) | instskip(NEXT) | instid1(VALU_DEP_2)
	v_cmp_eq_u64_e32 vcc_lo, 0, v[14:15]
	v_and_or_b32 v14, v14, 7, v17
	s_and_b32 s10, s10, vcc_lo
	s_delay_alu instid0(VALU_DEP_1) | instid1(SALU_CYCLE_1)
	v_cndmask_b32_e64 v14, v14, 0, s10
	s_delay_alu instid0(VALU_DEP_1)
	v_or_b32_e32 v58, v14, v86
.LBB6_16147:                            ;   in Loop: Header=BB6_13467 Depth=2
	s_or_b32 exec_lo, exec_lo, s29
                                        ; implicit-def: $vgpr86
.LBB6_16148:                            ;   in Loop: Header=BB6_13467 Depth=2
	s_and_not1_saveexec_b32 s10, s28
; %bb.16149:                            ;   in Loop: Header=BB6_13467 Depth=2
	v_or_b32_e32 v58, 0x7e, v86
; %bb.16150:                            ;   in Loop: Header=BB6_13467 Depth=2
	s_or_b32 exec_lo, exec_lo, s10
                                        ; implicit-def: $vgpr15
.LBB6_16151:                            ;   in Loop: Header=BB6_13467 Depth=2
	s_and_not1_saveexec_b32 s10, s27
; %bb.16152:                            ;   in Loop: Header=BB6_13467 Depth=2
	v_or_b32_e32 v58, 0x7f, v15
; %bb.16153:                            ;   in Loop: Header=BB6_13467 Depth=2
	s_or_b32 exec_lo, exec_lo, s10
	v_dual_mov_b32 v15, 0 :: v_dual_lshrrev_b32 v14, 16, v10
	s_mov_b32 s10, exec_lo
	s_delay_alu instid0(VALU_DEP_1) | instskip(NEXT) | instid1(VALU_DEP_1)
	v_and_b32_e32 v16, 0xff, v14
	v_cmpx_ne_u16_e32 0, v16
	s_cbranch_execz .LBB6_16161
; %bb.16154:                            ;   in Loop: Header=BB6_13467 Depth=2
	v_bfrev_b32_e32 v15, 1
	s_mov_b32 s27, exec_lo
	v_cmpx_ne_u16_e32 0x80, v16
	s_cbranch_execz .LBB6_16160
; %bb.16155:                            ;   in Loop: Header=BB6_13467 Depth=2
	v_bfe_u32 v16, v10, 16, 7
	v_mov_b32_e32 v15, 0x7f800001
	s_mov_b32 s28, exec_lo
	s_delay_alu instid0(VALU_DEP_2)
	v_cmpx_ne_u32_e32 0x7f, v16
	s_cbranch_execz .LBB6_16159
; %bb.16156:                            ;   in Loop: Header=BB6_13467 Depth=2
	v_dual_lshrrev_b32 v15, 3, v16 :: v_dual_bitop2_b32 v54, 7, v14 bitop3:0x40
	s_mov_b32 s29, exec_lo
	v_cmpx_gt_u32_e32 8, v16
; %bb.16157:                            ;   in Loop: Header=BB6_13467 Depth=2
	s_delay_alu instid0(VALU_DEP_2) | instskip(NEXT) | instid1(VALU_DEP_1)
	v_clz_i32_u32_e32 v15, v54
	v_min_u32_e32 v15, 32, v15
	s_delay_alu instid0(VALU_DEP_1) | instskip(NEXT) | instid1(VALU_DEP_1)
	v_subrev_nc_u32_e32 v16, 28, v15
	v_lshlrev_b64_e32 v[16:17], v16, v[54:55]
	s_delay_alu instid0(VALU_DEP_1)
	v_dual_sub_nc_u32 v15, 29, v15 :: v_dual_bitop2_b32 v54, 7, v16 bitop3:0x40
; %bb.16158:                            ;   in Loop: Header=BB6_13467 Depth=2
	s_or_b32 exec_lo, exec_lo, s29
	v_lshlrev_b32_e32 v14, 24, v14
	s_delay_alu instid0(VALU_DEP_2) | instskip(NEXT) | instid1(VALU_DEP_3)
	v_lshlrev_b32_e32 v16, 20, v54
	v_lshl_add_u32 v15, v15, 23, 0x3c000000
	s_delay_alu instid0(VALU_DEP_3) | instskip(NEXT) | instid1(VALU_DEP_1)
	v_and_b32_e32 v14, 0x80000000, v14
	v_or3_b32 v15, v16, v14, v15
.LBB6_16159:                            ;   in Loop: Header=BB6_13467 Depth=2
	s_or_b32 exec_lo, exec_lo, s28
.LBB6_16160:                            ;   in Loop: Header=BB6_13467 Depth=2
	s_delay_alu instid0(SALU_CYCLE_1)
	s_or_b32 exec_lo, exec_lo, s27
.LBB6_16161:                            ;   in Loop: Header=BB6_13467 Depth=2
	s_delay_alu instid0(SALU_CYCLE_1) | instskip(NEXT) | instid1(VALU_DEP_1)
	s_or_b32 exec_lo, exec_lo, s10
	v_mul_f32_e32 v14, s26, v15
                                        ; implicit-def: $vgpr59
	s_mov_b32 s10, exec_lo
	s_delay_alu instid0(VALU_DEP_1) | instskip(SKIP_1) | instid1(VALU_DEP_2)
	v_and_b32_e32 v54, 0x7f800000, v14
	v_lshrrev_b32_e32 v15, 24, v14
	v_cmpx_ne_u64_e32 0x7f800000, v[54:55]
	s_xor_b32 s27, exec_lo, s10
	s_cbranch_execz .LBB6_16175
; %bb.16162:                            ;   in Loop: Header=BB6_13467 Depth=2
	v_and_b32_e32 v54, 0x7fffffff, v14
	v_and_b32_e32 v86, 0x80, v15
                                        ; implicit-def: $vgpr59
	s_mov_b32 s10, exec_lo
	s_delay_alu instid0(VALU_DEP_2)
	v_cmpx_gt_u64_e32 0x43e00001, v[54:55]
	s_xor_b32 s28, exec_lo, s10
	s_cbranch_execz .LBB6_16172
; %bb.16163:                            ;   in Loop: Header=BB6_13467 Depth=2
	v_mov_b32_e32 v59, 0
	s_mov_b32 s29, exec_lo
	v_cmpx_ne_u32_e32 0, v14
	s_cbranch_execz .LBB6_16171
; %bb.16164:                            ;   in Loop: Header=BB6_13467 Depth=2
	v_bfe_u32 v59, v14, 23, 8
	v_and_b32_e32 v15, 0x7fffff, v14
	s_delay_alu instid0(VALU_DEP_2) | instskip(SKIP_2) | instid1(VALU_DEP_4)
	v_cmp_gt_u32_e64 s10, 0x7a, v59
	v_sub_nc_u32_e32 v14, 0x79, v59
	v_cmp_eq_u32_e32 vcc_lo, 0, v59
	v_or_b32_e32 v16, 0x800000, v15
	s_delay_alu instid0(VALU_DEP_1) | instskip(NEXT) | instid1(VALU_DEP_1)
	v_dual_cndmask_b32 v14, 0, v14, s10 :: v_dual_cndmask_b32 v54, v16, v15, vcc_lo
	v_cndmask_b32_e64 v60, v14, 0x78, vcc_lo
	s_delay_alu instid0(VALU_DEP_1) | instskip(NEXT) | instid1(VALU_DEP_1)
	v_dual_add_nc_u32 v14, 20, v60 :: v_dual_add_nc_u32 v16, 19, v60
	v_lshlrev_b64_e64 v[14:15], v14, -1
	s_delay_alu instid0(VALU_DEP_2) | instskip(NEXT) | instid1(VALU_DEP_2)
	v_lshlrev_b64_e64 v[16:17], v16, 1
	v_bfi_b32 v15, v15, 0, 0
	s_delay_alu instid0(VALU_DEP_3) | instskip(NEXT) | instid1(VALU_DEP_1)
	v_bfi_b32 v14, v14, 0, v54
	v_cmp_eq_u64_e64 s10, v[14:15], v[16:17]
	v_lshrrev_b64 v[14:15], v60, v[54:55]
	s_delay_alu instid0(VALU_DEP_1)
	v_mov_b64_e32 v[16:17], v[14:15]
	s_and_saveexec_b32 s40, s10
; %bb.16165:                            ;   in Loop: Header=BB6_13467 Depth=2
	v_bfe_u32 v54, v14, 20, 1
	s_delay_alu instid0(VALU_DEP_1) | instskip(NEXT) | instid1(VALU_DEP_1)
	v_add_nc_u64_e32 v[16:17], v[14:15], v[54:55]
	v_add_nc_u64_e32 v[16:17], -1, v[16:17]
; %bb.16166:                            ;   in Loop: Header=BB6_13467 Depth=2
	s_or_b32 exec_lo, exec_lo, s40
	v_add_nc_u32_e32 v15, 0xffffff81, v59
	v_lshrrev_b32_e32 v17, 23, v14
	s_mov_b32 s10, exec_lo
	s_delay_alu instid0(VALU_DEP_2) | instskip(NEXT) | instid1(VALU_DEP_1)
	v_cndmask_b32_e64 v15, v15, 0xffffff82, vcc_lo
	v_add3_u32 v59, v60, v15, v17
	v_and_b32_e32 v15, 0xfffff, v16
                                        ; implicit-def: $vgpr16
	s_delay_alu instid0(VALU_DEP_1) | instskip(NEXT) | instid1(VALU_DEP_1)
	v_dual_add_nc_u32 v17, 6, v59 :: v_dual_add_nc_u32 v54, v15, v14
                                        ; implicit-def: $vgpr14_vgpr15
	v_cmpx_ne_u32_e32 0, v17
	s_xor_b32 s10, exec_lo, s10
; %bb.16167:                            ;   in Loop: Header=BB6_13467 Depth=2
	s_delay_alu instid0(VALU_DEP_2) | instskip(SKIP_1) | instid1(VALU_DEP_1)
	v_cmp_lt_u64_e32 vcc_lo, 0xffffff, v[54:55]
	v_add_nc_u32_e32 v14, 7, v59
	v_cndmask_b32_e32 v16, v17, v14, vcc_lo
	v_cndmask_b32_e64 v14, 0, 1, vcc_lo
	s_delay_alu instid0(VALU_DEP_1)
	v_lshrrev_b64 v[14:15], v14, v[54:55]
; %bb.16168:                            ;   in Loop: Header=BB6_13467 Depth=2
	s_and_not1_saveexec_b32 s10, s10
; %bb.16169:                            ;   in Loop: Header=BB6_13467 Depth=2
	v_mov_b64_e32 v[14:15], v[54:55]
	v_bfe_u32 v16, v54, 23, 1
; %bb.16170:                            ;   in Loop: Header=BB6_13467 Depth=2
	s_or_b32 exec_lo, exec_lo, s10
	s_delay_alu instid0(VALU_DEP_2) | instskip(NEXT) | instid1(VALU_DEP_2)
	v_lshrrev_b64 v[14:15], 20, v[14:15]
	v_cmp_gt_i32_e32 vcc_lo, 16, v16
	v_min_i32_e32 v17, 15, v16
	v_cmp_eq_u32_e64 s10, 0, v16
	s_delay_alu instid0(VALU_DEP_2) | instskip(SKIP_1) | instid1(VALU_DEP_2)
	v_dual_cndmask_b32 v15, 0, v15, vcc_lo :: v_dual_lshlrev_b32 v17, 3, v17
	v_cndmask_b32_e32 v14, 7, v14, vcc_lo
	v_and_b32_e32 v17, 0xf8, v17
	s_delay_alu instid0(VALU_DEP_2) | instskip(NEXT) | instid1(VALU_DEP_2)
	v_cmp_eq_u64_e32 vcc_lo, 0, v[14:15]
	v_and_or_b32 v14, v14, 7, v17
	s_and_b32 s10, s10, vcc_lo
	s_delay_alu instid0(VALU_DEP_1) | instid1(SALU_CYCLE_1)
	v_cndmask_b32_e64 v14, v14, 0, s10
	s_delay_alu instid0(VALU_DEP_1)
	v_or_b32_e32 v59, v14, v86
.LBB6_16171:                            ;   in Loop: Header=BB6_13467 Depth=2
	s_or_b32 exec_lo, exec_lo, s29
                                        ; implicit-def: $vgpr86
.LBB6_16172:                            ;   in Loop: Header=BB6_13467 Depth=2
	s_and_not1_saveexec_b32 s10, s28
; %bb.16173:                            ;   in Loop: Header=BB6_13467 Depth=2
	v_or_b32_e32 v59, 0x7e, v86
; %bb.16174:                            ;   in Loop: Header=BB6_13467 Depth=2
	s_or_b32 exec_lo, exec_lo, s10
                                        ; implicit-def: $vgpr15
.LBB6_16175:                            ;   in Loop: Header=BB6_13467 Depth=2
	s_and_not1_saveexec_b32 s10, s27
; %bb.16176:                            ;   in Loop: Header=BB6_13467 Depth=2
	v_or_b32_e32 v59, 0x7f, v15
; %bb.16177:                            ;   in Loop: Header=BB6_13467 Depth=2
	s_or_b32 exec_lo, exec_lo, s10
	v_mov_b32_e32 v15, 0
	s_mov_b32 s10, exec_lo
	v_cmpx_lt_u32_e32 0xffffff, v10
	s_cbranch_execz .LBB6_16185
; %bb.16178:                            ;   in Loop: Header=BB6_13467 Depth=2
	v_lshrrev_b32_e32 v14, 24, v10
	v_bfrev_b32_e32 v15, 1
	s_mov_b32 s27, exec_lo
	s_delay_alu instid0(VALU_DEP_2)
	v_cmpx_ne_u32_e32 0x80, v14
	s_cbranch_execz .LBB6_16184
; %bb.16179:                            ;   in Loop: Header=BB6_13467 Depth=2
	v_bfe_u32 v16, v10, 24, 7
	v_mov_b32_e32 v15, 0x7f800001
	s_mov_b32 s28, exec_lo
	s_delay_alu instid0(VALU_DEP_2)
	v_cmpx_ne_u32_e32 0x7f, v16
	s_cbranch_execz .LBB6_16183
; %bb.16180:                            ;   in Loop: Header=BB6_13467 Depth=2
	v_dual_lshrrev_b32 v15, 3, v16 :: v_dual_bitop2_b32 v54, 7, v14 bitop3:0x40
	s_mov_b32 s29, exec_lo
	v_cmpx_gt_u32_e32 8, v16
; %bb.16181:                            ;   in Loop: Header=BB6_13467 Depth=2
	s_delay_alu instid0(VALU_DEP_2) | instskip(NEXT) | instid1(VALU_DEP_1)
	v_clz_i32_u32_e32 v15, v54
	v_min_u32_e32 v15, 32, v15
	s_delay_alu instid0(VALU_DEP_1) | instskip(NEXT) | instid1(VALU_DEP_1)
	v_subrev_nc_u32_e32 v16, 28, v15
	v_lshlrev_b64_e32 v[16:17], v16, v[54:55]
	s_delay_alu instid0(VALU_DEP_1)
	v_dual_sub_nc_u32 v15, 29, v15 :: v_dual_bitop2_b32 v54, 7, v16 bitop3:0x40
; %bb.16182:                            ;   in Loop: Header=BB6_13467 Depth=2
	s_or_b32 exec_lo, exec_lo, s29
	v_lshlrev_b32_e32 v14, 24, v14
	s_delay_alu instid0(VALU_DEP_2) | instskip(NEXT) | instid1(VALU_DEP_3)
	v_lshlrev_b32_e32 v16, 20, v54
	v_lshl_add_u32 v15, v15, 23, 0x3c000000
	s_delay_alu instid0(VALU_DEP_3) | instskip(NEXT) | instid1(VALU_DEP_1)
	v_and_b32_e32 v14, 0x80000000, v14
	v_or3_b32 v15, v16, v14, v15
.LBB6_16183:                            ;   in Loop: Header=BB6_13467 Depth=2
	s_or_b32 exec_lo, exec_lo, s28
.LBB6_16184:                            ;   in Loop: Header=BB6_13467 Depth=2
	s_delay_alu instid0(SALU_CYCLE_1)
	s_or_b32 exec_lo, exec_lo, s27
.LBB6_16185:                            ;   in Loop: Header=BB6_13467 Depth=2
	s_delay_alu instid0(SALU_CYCLE_1) | instskip(NEXT) | instid1(VALU_DEP_1)
	s_or_b32 exec_lo, exec_lo, s10
	v_mul_f32_e32 v14, s26, v15
                                        ; implicit-def: $vgpr60
	s_mov_b32 s10, exec_lo
	s_delay_alu instid0(VALU_DEP_1) | instskip(SKIP_1) | instid1(VALU_DEP_2)
	v_and_b32_e32 v54, 0x7f800000, v14
	v_lshrrev_b32_e32 v15, 24, v14
	v_cmpx_ne_u64_e32 0x7f800000, v[54:55]
	s_xor_b32 s27, exec_lo, s10
	s_cbranch_execz .LBB6_16199
; %bb.16186:                            ;   in Loop: Header=BB6_13467 Depth=2
	v_and_b32_e32 v54, 0x7fffffff, v14
	v_and_b32_e32 v86, 0x80, v15
                                        ; implicit-def: $vgpr60
	s_mov_b32 s10, exec_lo
	s_delay_alu instid0(VALU_DEP_2)
	v_cmpx_gt_u64_e32 0x43e00001, v[54:55]
	s_xor_b32 s28, exec_lo, s10
	s_cbranch_execz .LBB6_16196
; %bb.16187:                            ;   in Loop: Header=BB6_13467 Depth=2
	v_mov_b32_e32 v60, 0
	s_mov_b32 s29, exec_lo
	v_cmpx_ne_u32_e32 0, v14
	s_cbranch_execz .LBB6_16195
; %bb.16188:                            ;   in Loop: Header=BB6_13467 Depth=2
	v_bfe_u32 v60, v14, 23, 8
	v_and_b32_e32 v15, 0x7fffff, v14
	s_delay_alu instid0(VALU_DEP_2) | instskip(SKIP_2) | instid1(VALU_DEP_4)
	v_cmp_gt_u32_e64 s10, 0x7a, v60
	v_sub_nc_u32_e32 v14, 0x79, v60
	v_cmp_eq_u32_e32 vcc_lo, 0, v60
	v_or_b32_e32 v16, 0x800000, v15
	s_delay_alu instid0(VALU_DEP_1) | instskip(NEXT) | instid1(VALU_DEP_1)
	v_dual_cndmask_b32 v14, 0, v14, s10 :: v_dual_cndmask_b32 v54, v16, v15, vcc_lo
	v_cndmask_b32_e64 v61, v14, 0x78, vcc_lo
	s_delay_alu instid0(VALU_DEP_1) | instskip(NEXT) | instid1(VALU_DEP_1)
	v_dual_add_nc_u32 v14, 20, v61 :: v_dual_add_nc_u32 v16, 19, v61
	v_lshlrev_b64_e64 v[14:15], v14, -1
	s_delay_alu instid0(VALU_DEP_2) | instskip(NEXT) | instid1(VALU_DEP_2)
	v_lshlrev_b64_e64 v[16:17], v16, 1
	v_bfi_b32 v15, v15, 0, 0
	s_delay_alu instid0(VALU_DEP_3) | instskip(NEXT) | instid1(VALU_DEP_1)
	v_bfi_b32 v14, v14, 0, v54
	v_cmp_eq_u64_e64 s10, v[14:15], v[16:17]
	v_lshrrev_b64 v[14:15], v61, v[54:55]
	s_delay_alu instid0(VALU_DEP_1)
	v_mov_b64_e32 v[16:17], v[14:15]
	s_and_saveexec_b32 s40, s10
; %bb.16189:                            ;   in Loop: Header=BB6_13467 Depth=2
	v_bfe_u32 v54, v14, 20, 1
	s_delay_alu instid0(VALU_DEP_1) | instskip(NEXT) | instid1(VALU_DEP_1)
	v_add_nc_u64_e32 v[16:17], v[14:15], v[54:55]
	v_add_nc_u64_e32 v[16:17], -1, v[16:17]
; %bb.16190:                            ;   in Loop: Header=BB6_13467 Depth=2
	s_or_b32 exec_lo, exec_lo, s40
	v_add_nc_u32_e32 v15, 0xffffff81, v60
	v_lshrrev_b32_e32 v17, 23, v14
	s_mov_b32 s10, exec_lo
	s_delay_alu instid0(VALU_DEP_2) | instskip(NEXT) | instid1(VALU_DEP_1)
	v_cndmask_b32_e64 v15, v15, 0xffffff82, vcc_lo
	v_add3_u32 v60, v61, v15, v17
	v_and_b32_e32 v15, 0xfffff, v16
                                        ; implicit-def: $vgpr16
	s_delay_alu instid0(VALU_DEP_1) | instskip(NEXT) | instid1(VALU_DEP_1)
	v_dual_add_nc_u32 v17, 6, v60 :: v_dual_add_nc_u32 v54, v15, v14
                                        ; implicit-def: $vgpr14_vgpr15
	v_cmpx_ne_u32_e32 0, v17
	s_xor_b32 s10, exec_lo, s10
; %bb.16191:                            ;   in Loop: Header=BB6_13467 Depth=2
	s_delay_alu instid0(VALU_DEP_2) | instskip(SKIP_1) | instid1(VALU_DEP_1)
	v_cmp_lt_u64_e32 vcc_lo, 0xffffff, v[54:55]
	v_add_nc_u32_e32 v14, 7, v60
	v_cndmask_b32_e32 v16, v17, v14, vcc_lo
	v_cndmask_b32_e64 v14, 0, 1, vcc_lo
	s_delay_alu instid0(VALU_DEP_1)
	v_lshrrev_b64 v[14:15], v14, v[54:55]
; %bb.16192:                            ;   in Loop: Header=BB6_13467 Depth=2
	s_and_not1_saveexec_b32 s10, s10
; %bb.16193:                            ;   in Loop: Header=BB6_13467 Depth=2
	v_mov_b64_e32 v[14:15], v[54:55]
	v_bfe_u32 v16, v54, 23, 1
; %bb.16194:                            ;   in Loop: Header=BB6_13467 Depth=2
	s_or_b32 exec_lo, exec_lo, s10
	s_delay_alu instid0(VALU_DEP_2) | instskip(NEXT) | instid1(VALU_DEP_2)
	v_lshrrev_b64 v[14:15], 20, v[14:15]
	v_cmp_gt_i32_e32 vcc_lo, 16, v16
	v_min_i32_e32 v17, 15, v16
	v_cmp_eq_u32_e64 s10, 0, v16
	s_delay_alu instid0(VALU_DEP_2) | instskip(SKIP_1) | instid1(VALU_DEP_2)
	v_dual_cndmask_b32 v15, 0, v15, vcc_lo :: v_dual_lshlrev_b32 v17, 3, v17
	v_cndmask_b32_e32 v14, 7, v14, vcc_lo
	v_and_b32_e32 v17, 0xf8, v17
	s_delay_alu instid0(VALU_DEP_2) | instskip(NEXT) | instid1(VALU_DEP_2)
	v_cmp_eq_u64_e32 vcc_lo, 0, v[14:15]
	v_and_or_b32 v14, v14, 7, v17
	s_and_b32 s10, s10, vcc_lo
	s_delay_alu instid0(VALU_DEP_1) | instid1(SALU_CYCLE_1)
	v_cndmask_b32_e64 v14, v14, 0, s10
	s_delay_alu instid0(VALU_DEP_1)
	v_or_b32_e32 v60, v14, v86
.LBB6_16195:                            ;   in Loop: Header=BB6_13467 Depth=2
	s_or_b32 exec_lo, exec_lo, s29
                                        ; implicit-def: $vgpr86
.LBB6_16196:                            ;   in Loop: Header=BB6_13467 Depth=2
	s_and_not1_saveexec_b32 s10, s28
; %bb.16197:                            ;   in Loop: Header=BB6_13467 Depth=2
	v_or_b32_e32 v60, 0x7e, v86
; %bb.16198:                            ;   in Loop: Header=BB6_13467 Depth=2
	s_or_b32 exec_lo, exec_lo, s10
                                        ; implicit-def: $vgpr15
.LBB6_16199:                            ;   in Loop: Header=BB6_13467 Depth=2
	s_and_not1_saveexec_b32 s10, s27
; %bb.16200:                            ;   in Loop: Header=BB6_13467 Depth=2
	v_or_b32_e32 v60, 0x7f, v15
; %bb.16201:                            ;   in Loop: Header=BB6_13467 Depth=2
	s_or_b32 exec_lo, exec_lo, s10
	v_and_b32_e32 v15, 0xff, v11
	v_dual_mov_b32 v54, v11 :: v_dual_mov_b32 v14, 0
	s_mov_b32 s10, exec_lo
	s_delay_alu instid0(VALU_DEP_2)
	v_cmpx_ne_u16_e32 0, v15
	s_cbranch_execz .LBB6_16207
; %bb.16202:                            ;   in Loop: Header=BB6_13467 Depth=2
	v_bfrev_b32_e32 v14, 1
	s_mov_b32 s27, exec_lo
	v_cmpx_ne_u16_e32 0x80, v15
	s_cbranch_execz .LBB6_16206
; %bb.16203:                            ;   in Loop: Header=BB6_13467 Depth=2
	v_and_b32_e32 v15, 0x7f, v11
	v_mov_b32_e32 v14, 0x7f800001
	s_mov_b32 s28, exec_lo
	s_delay_alu instid0(VALU_DEP_2)
	v_cmpx_ne_u32_e32 0x7f, v15
	s_cbranch_execz .LBB6_16205
; %bb.16204:                            ;   in Loop: Header=BB6_13467 Depth=2
	v_and_b32_e32 v14, 7, v11
	v_cmp_gt_u32_e32 vcc_lo, 8, v15
	s_delay_alu instid0(VALU_DEP_2) | instskip(NEXT) | instid1(VALU_DEP_1)
	v_clz_i32_u32_e32 v14, v14
	v_min_u32_e32 v14, 32, v14
	v_lshrrev_b32_e32 v16, 3, v15
	s_delay_alu instid0(VALU_DEP_2) | instskip(SKIP_1) | instid1(VALU_DEP_1)
	v_subrev_nc_u32_e32 v15, 28, v14
	v_sub_nc_u32_e32 v14, 29, v14
	v_dual_cndmask_b32 v16, v16, v14, vcc_lo :: v_dual_cndmask_b32 v14, 0, v15, vcc_lo
	s_delay_alu instid0(VALU_DEP_1) | instskip(NEXT) | instid1(VALU_DEP_2)
	v_lshl_add_u32 v16, v16, 23, 0x3c000000
	v_lshlrev_b64_e32 v[14:15], v14, v[54:55]
	v_lshlrev_b32_e32 v15, 24, v54
	s_delay_alu instid0(VALU_DEP_1) | instskip(NEXT) | instid1(VALU_DEP_3)
	v_and_b32_e32 v15, 0x80000000, v15
	v_lshlrev_b32_e32 v14, 20, v14
	s_delay_alu instid0(VALU_DEP_1) | instskip(NEXT) | instid1(VALU_DEP_1)
	v_and_b32_e32 v14, 0x700000, v14
	v_or3_b32 v14, v14, v15, v16
.LBB6_16205:                            ;   in Loop: Header=BB6_13467 Depth=2
	s_or_b32 exec_lo, exec_lo, s28
.LBB6_16206:                            ;   in Loop: Header=BB6_13467 Depth=2
	s_delay_alu instid0(SALU_CYCLE_1)
	s_or_b32 exec_lo, exec_lo, s27
.LBB6_16207:                            ;   in Loop: Header=BB6_13467 Depth=2
	s_delay_alu instid0(SALU_CYCLE_1) | instskip(NEXT) | instid1(VALU_DEP_1)
	s_or_b32 exec_lo, exec_lo, s10
	v_dual_mul_f32 v14, s26, v14 :: v_dual_mov_b32 v17, v55
                                        ; implicit-def: $vgpr61
	s_mov_b32 s10, exec_lo
	s_delay_alu instid0(VALU_DEP_1) | instskip(SKIP_1) | instid1(VALU_DEP_2)
	v_and_b32_e32 v16, 0x7f800000, v14
	v_lshrrev_b32_e32 v15, 24, v14
	v_cmpx_ne_u64_e32 0x7f800000, v[16:17]
	s_xor_b32 s27, exec_lo, s10
	s_cbranch_execz .LBB6_16221
; %bb.16208:                            ;   in Loop: Header=BB6_13467 Depth=2
	v_and_b32_e32 v16, 0x7fffffff, v14
	v_mov_b32_e32 v17, v55
	v_and_b32_e32 v86, 0x80, v15
                                        ; implicit-def: $vgpr61
	s_mov_b32 s10, exec_lo
	s_delay_alu instid0(VALU_DEP_2)
	v_cmpx_gt_u64_e32 0x43e00001, v[16:17]
	s_xor_b32 s28, exec_lo, s10
	s_cbranch_execz .LBB6_16218
; %bb.16209:                            ;   in Loop: Header=BB6_13467 Depth=2
	v_mov_b32_e32 v61, 0
	s_mov_b32 s29, exec_lo
	v_cmpx_ne_u32_e32 0, v14
	s_cbranch_execz .LBB6_16217
; %bb.16210:                            ;   in Loop: Header=BB6_13467 Depth=2
	v_bfe_u32 v61, v14, 23, 8
	v_and_b32_e32 v15, 0x7fffff, v14
	s_delay_alu instid0(VALU_DEP_2) | instskip(SKIP_2) | instid1(VALU_DEP_4)
	v_cmp_gt_u32_e64 s10, 0x7a, v61
	v_sub_nc_u32_e32 v14, 0x79, v61
	v_cmp_eq_u32_e32 vcc_lo, 0, v61
	v_or_b32_e32 v16, 0x800000, v15
	s_delay_alu instid0(VALU_DEP_3) | instskip(NEXT) | instid1(VALU_DEP_1)
	v_cndmask_b32_e64 v14, 0, v14, s10
	v_cndmask_b32_e64 v62, v14, 0x78, vcc_lo
	s_delay_alu instid0(VALU_DEP_3) | instskip(NEXT) | instid1(VALU_DEP_2)
	v_dual_cndmask_b32 v14, v16, v15 :: v_dual_mov_b32 v15, v55
	v_dual_add_nc_u32 v16, 20, v62 :: v_dual_add_nc_u32 v63, 19, v62
	s_delay_alu instid0(VALU_DEP_1) | instskip(NEXT) | instid1(VALU_DEP_2)
	v_lshlrev_b64_e64 v[16:17], v16, -1
	v_lshlrev_b64_e64 v[72:73], v63, 1
	s_delay_alu instid0(VALU_DEP_2) | instskip(SKIP_1) | instid1(VALU_DEP_4)
	v_bfi_b32 v16, v16, 0, v14
	v_lshrrev_b64 v[14:15], v62, v[14:15]
	v_bfi_b32 v17, v17, 0, 0
	s_delay_alu instid0(VALU_DEP_1) | instskip(NEXT) | instid1(VALU_DEP_3)
	v_cmp_eq_u64_e64 s10, v[16:17], v[72:73]
	v_mov_b64_e32 v[16:17], v[14:15]
	s_and_saveexec_b32 s40, s10
; %bb.16211:                            ;   in Loop: Header=BB6_13467 Depth=2
	v_bfe_u32 v16, v14, 20, 1
	v_mov_b32_e32 v17, v55
	s_delay_alu instid0(VALU_DEP_1) | instskip(NEXT) | instid1(VALU_DEP_1)
	v_add_nc_u64_e32 v[16:17], v[14:15], v[16:17]
	v_add_nc_u64_e32 v[16:17], -1, v[16:17]
; %bb.16212:                            ;   in Loop: Header=BB6_13467 Depth=2
	s_or_b32 exec_lo, exec_lo, s40
	v_add_nc_u32_e32 v15, 0xffffff81, v61
	v_lshrrev_b32_e32 v17, 23, v14
	s_mov_b32 s10, exec_lo
	s_delay_alu instid0(VALU_DEP_2) | instskip(NEXT) | instid1(VALU_DEP_1)
	v_cndmask_b32_e64 v15, v15, 0xffffff82, vcc_lo
	v_add3_u32 v61, v62, v15, v17
	v_and_b32_e32 v15, 0xfffff, v16
                                        ; implicit-def: $vgpr16
	s_delay_alu instid0(VALU_DEP_1) | instskip(SKIP_1) | instid1(VALU_DEP_2)
	v_dual_add_nc_u32 v17, 6, v61 :: v_dual_add_nc_u32 v14, v15, v14
	v_mov_b32_e32 v15, v55
	v_cmpx_ne_u32_e32 0, v17
	s_xor_b32 s10, exec_lo, s10
; %bb.16213:                            ;   in Loop: Header=BB6_13467 Depth=2
	s_delay_alu instid0(VALU_DEP_2) | instskip(SKIP_1) | instid1(VALU_DEP_1)
	v_cmp_lt_u64_e32 vcc_lo, 0xffffff, v[14:15]
	v_add_nc_u32_e32 v16, 7, v61
	v_cndmask_b32_e32 v16, v17, v16, vcc_lo
	v_cndmask_b32_e64 v17, 0, 1, vcc_lo
	s_delay_alu instid0(VALU_DEP_1)
	v_lshrrev_b64 v[14:15], v17, v[14:15]
; %bb.16214:                            ;   in Loop: Header=BB6_13467 Depth=2
	s_and_not1_saveexec_b32 s10, s10
; %bb.16215:                            ;   in Loop: Header=BB6_13467 Depth=2
	s_delay_alu instid0(VALU_DEP_1)
	v_bfe_u32 v16, v14, 23, 1
; %bb.16216:                            ;   in Loop: Header=BB6_13467 Depth=2
	s_or_b32 exec_lo, exec_lo, s10
	s_delay_alu instid0(VALU_DEP_2) | instskip(NEXT) | instid1(VALU_DEP_2)
	v_lshrrev_b64 v[14:15], 20, v[14:15]
	v_cmp_gt_i32_e32 vcc_lo, 16, v16
	v_min_i32_e32 v17, 15, v16
	v_cmp_eq_u32_e64 s10, 0, v16
	s_delay_alu instid0(VALU_DEP_2) | instskip(SKIP_1) | instid1(VALU_DEP_2)
	v_dual_cndmask_b32 v15, 0, v15, vcc_lo :: v_dual_lshlrev_b32 v17, 3, v17
	v_cndmask_b32_e32 v14, 7, v14, vcc_lo
	v_and_b32_e32 v17, 0xf8, v17
	s_delay_alu instid0(VALU_DEP_2) | instskip(NEXT) | instid1(VALU_DEP_2)
	v_cmp_eq_u64_e32 vcc_lo, 0, v[14:15]
	v_and_or_b32 v14, v14, 7, v17
	s_and_b32 s10, s10, vcc_lo
	s_delay_alu instid0(VALU_DEP_1) | instid1(SALU_CYCLE_1)
	v_cndmask_b32_e64 v14, v14, 0, s10
	s_delay_alu instid0(VALU_DEP_1)
	v_or_b32_e32 v61, v14, v86
.LBB6_16217:                            ;   in Loop: Header=BB6_13467 Depth=2
	s_or_b32 exec_lo, exec_lo, s29
                                        ; implicit-def: $vgpr86
.LBB6_16218:                            ;   in Loop: Header=BB6_13467 Depth=2
	s_and_not1_saveexec_b32 s10, s28
; %bb.16219:                            ;   in Loop: Header=BB6_13467 Depth=2
	v_or_b32_e32 v61, 0x7e, v86
; %bb.16220:                            ;   in Loop: Header=BB6_13467 Depth=2
	s_or_b32 exec_lo, exec_lo, s10
                                        ; implicit-def: $vgpr15
.LBB6_16221:                            ;   in Loop: Header=BB6_13467 Depth=2
	s_and_not1_saveexec_b32 s10, s27
; %bb.16222:                            ;   in Loop: Header=BB6_13467 Depth=2
	v_or_b32_e32 v61, 0x7f, v15
; %bb.16223:                            ;   in Loop: Header=BB6_13467 Depth=2
	s_or_b32 exec_lo, exec_lo, s10
	v_lshrrev_b16 v15, 8, v54
	v_mov_b32_e32 v14, 0
	s_mov_b32 s10, exec_lo
	s_delay_alu instid0(VALU_DEP_2)
	v_cmpx_ne_u16_e32 0, v15
	s_cbranch_execz .LBB6_16231
; %bb.16224:                            ;   in Loop: Header=BB6_13467 Depth=2
	v_bfrev_b32_e32 v14, 1
	s_mov_b32 s27, exec_lo
	v_cmpx_ne_u16_e32 0x80, v15
	s_cbranch_execz .LBB6_16230
; %bb.16225:                            ;   in Loop: Header=BB6_13467 Depth=2
	v_and_b32_e32 v15, 0xffff, v15
	v_mov_b32_e32 v14, 0x7f800001
	s_mov_b32 s28, exec_lo
	s_delay_alu instid0(VALU_DEP_2) | instskip(NEXT) | instid1(VALU_DEP_1)
	v_and_b32_e32 v17, 0x7f, v15
	v_cmpx_ne_u32_e32 0x7f, v17
	s_cbranch_execz .LBB6_16229
; %bb.16226:                            ;   in Loop: Header=BB6_13467 Depth=2
	v_dual_mov_b32 v15, v55 :: v_dual_bitop2_b32 v14, 7, v15 bitop3:0x40
	v_lshrrev_b32_e32 v16, 3, v17
	s_mov_b32 s29, exec_lo
	v_cmpx_gt_u32_e32 8, v17
; %bb.16227:                            ;   in Loop: Header=BB6_13467 Depth=2
	s_delay_alu instid0(VALU_DEP_3) | instskip(NEXT) | instid1(VALU_DEP_1)
	v_clz_i32_u32_e32 v16, v14
	v_min_u32_e32 v16, 32, v16
	s_delay_alu instid0(VALU_DEP_1) | instskip(NEXT) | instid1(VALU_DEP_1)
	v_subrev_nc_u32_e32 v17, 28, v16
	v_lshlrev_b64_e32 v[14:15], v17, v[14:15]
	s_delay_alu instid0(VALU_DEP_1)
	v_dual_sub_nc_u32 v16, 29, v16 :: v_dual_bitop2_b32 v14, 7, v14 bitop3:0x40
; %bb.16228:                            ;   in Loop: Header=BB6_13467 Depth=2
	s_or_b32 exec_lo, exec_lo, s29
	v_lshlrev_b32_e32 v15, 16, v54
	s_delay_alu instid0(VALU_DEP_2) | instskip(NEXT) | instid1(VALU_DEP_3)
	v_lshlrev_b32_e32 v14, 20, v14
	v_lshl_add_u32 v16, v16, 23, 0x3c000000
	s_delay_alu instid0(VALU_DEP_3) | instskip(NEXT) | instid1(VALU_DEP_1)
	v_and_b32_e32 v15, 0x80000000, v15
	v_or3_b32 v14, v14, v15, v16
.LBB6_16229:                            ;   in Loop: Header=BB6_13467 Depth=2
	s_or_b32 exec_lo, exec_lo, s28
.LBB6_16230:                            ;   in Loop: Header=BB6_13467 Depth=2
	s_delay_alu instid0(SALU_CYCLE_1)
	s_or_b32 exec_lo, exec_lo, s27
.LBB6_16231:                            ;   in Loop: Header=BB6_13467 Depth=2
	s_delay_alu instid0(SALU_CYCLE_1) | instskip(NEXT) | instid1(VALU_DEP_1)
	s_or_b32 exec_lo, exec_lo, s10
	v_mul_f32_e32 v14, s26, v14
                                        ; implicit-def: $vgpr62
	s_mov_b32 s10, exec_lo
	s_delay_alu instid0(VALU_DEP_1) | instskip(SKIP_1) | instid1(VALU_DEP_2)
	v_and_b32_e32 v54, 0x7f800000, v14
	v_lshrrev_b32_e32 v15, 24, v14
	v_cmpx_ne_u64_e32 0x7f800000, v[54:55]
	s_xor_b32 s27, exec_lo, s10
	s_cbranch_execz .LBB6_16245
; %bb.16232:                            ;   in Loop: Header=BB6_13467 Depth=2
	v_and_b32_e32 v54, 0x7fffffff, v14
	v_and_b32_e32 v86, 0x80, v15
                                        ; implicit-def: $vgpr62
	s_mov_b32 s10, exec_lo
	s_delay_alu instid0(VALU_DEP_2)
	v_cmpx_gt_u64_e32 0x43e00001, v[54:55]
	s_xor_b32 s28, exec_lo, s10
	s_cbranch_execz .LBB6_16242
; %bb.16233:                            ;   in Loop: Header=BB6_13467 Depth=2
	v_mov_b32_e32 v62, 0
	s_mov_b32 s29, exec_lo
	v_cmpx_ne_u32_e32 0, v14
	s_cbranch_execz .LBB6_16241
; %bb.16234:                            ;   in Loop: Header=BB6_13467 Depth=2
	v_bfe_u32 v62, v14, 23, 8
	v_and_b32_e32 v15, 0x7fffff, v14
	s_delay_alu instid0(VALU_DEP_2) | instskip(SKIP_2) | instid1(VALU_DEP_4)
	v_cmp_gt_u32_e64 s10, 0x7a, v62
	v_sub_nc_u32_e32 v14, 0x79, v62
	v_cmp_eq_u32_e32 vcc_lo, 0, v62
	v_or_b32_e32 v16, 0x800000, v15
	s_delay_alu instid0(VALU_DEP_1) | instskip(NEXT) | instid1(VALU_DEP_1)
	v_dual_cndmask_b32 v14, 0, v14, s10 :: v_dual_cndmask_b32 v54, v16, v15, vcc_lo
	v_cndmask_b32_e64 v63, v14, 0x78, vcc_lo
	s_delay_alu instid0(VALU_DEP_1) | instskip(NEXT) | instid1(VALU_DEP_1)
	v_dual_add_nc_u32 v14, 20, v63 :: v_dual_add_nc_u32 v16, 19, v63
	v_lshlrev_b64_e64 v[14:15], v14, -1
	s_delay_alu instid0(VALU_DEP_2) | instskip(NEXT) | instid1(VALU_DEP_2)
	v_lshlrev_b64_e64 v[16:17], v16, 1
	v_bfi_b32 v15, v15, 0, 0
	s_delay_alu instid0(VALU_DEP_3) | instskip(NEXT) | instid1(VALU_DEP_1)
	v_bfi_b32 v14, v14, 0, v54
	v_cmp_eq_u64_e64 s10, v[14:15], v[16:17]
	v_lshrrev_b64 v[14:15], v63, v[54:55]
	s_delay_alu instid0(VALU_DEP_1)
	v_mov_b64_e32 v[16:17], v[14:15]
	s_and_saveexec_b32 s40, s10
; %bb.16235:                            ;   in Loop: Header=BB6_13467 Depth=2
	v_bfe_u32 v54, v14, 20, 1
	s_delay_alu instid0(VALU_DEP_1) | instskip(NEXT) | instid1(VALU_DEP_1)
	v_add_nc_u64_e32 v[16:17], v[14:15], v[54:55]
	v_add_nc_u64_e32 v[16:17], -1, v[16:17]
; %bb.16236:                            ;   in Loop: Header=BB6_13467 Depth=2
	s_or_b32 exec_lo, exec_lo, s40
	v_add_nc_u32_e32 v15, 0xffffff81, v62
	v_lshrrev_b32_e32 v17, 23, v14
	s_mov_b32 s10, exec_lo
	s_delay_alu instid0(VALU_DEP_2) | instskip(NEXT) | instid1(VALU_DEP_1)
	v_cndmask_b32_e64 v15, v15, 0xffffff82, vcc_lo
	v_add3_u32 v62, v63, v15, v17
	v_and_b32_e32 v15, 0xfffff, v16
                                        ; implicit-def: $vgpr16
	s_delay_alu instid0(VALU_DEP_2) | instskip(NEXT) | instid1(VALU_DEP_2)
	v_add_nc_u32_e32 v17, 6, v62
	v_add_nc_u32_e32 v54, v15, v14
                                        ; implicit-def: $vgpr14_vgpr15
	s_delay_alu instid0(VALU_DEP_2)
	v_cmpx_ne_u32_e32 0, v17
	s_xor_b32 s10, exec_lo, s10
; %bb.16237:                            ;   in Loop: Header=BB6_13467 Depth=2
	s_delay_alu instid0(VALU_DEP_2) | instskip(SKIP_1) | instid1(VALU_DEP_1)
	v_cmp_lt_u64_e32 vcc_lo, 0xffffff, v[54:55]
	v_add_nc_u32_e32 v14, 7, v62
	v_cndmask_b32_e32 v16, v17, v14, vcc_lo
	v_cndmask_b32_e64 v14, 0, 1, vcc_lo
	s_delay_alu instid0(VALU_DEP_1)
	v_lshrrev_b64 v[14:15], v14, v[54:55]
; %bb.16238:                            ;   in Loop: Header=BB6_13467 Depth=2
	s_and_not1_saveexec_b32 s10, s10
; %bb.16239:                            ;   in Loop: Header=BB6_13467 Depth=2
	v_mov_b64_e32 v[14:15], v[54:55]
	v_bfe_u32 v16, v54, 23, 1
; %bb.16240:                            ;   in Loop: Header=BB6_13467 Depth=2
	s_or_b32 exec_lo, exec_lo, s10
	s_delay_alu instid0(VALU_DEP_2) | instskip(NEXT) | instid1(VALU_DEP_2)
	v_lshrrev_b64 v[14:15], 20, v[14:15]
	v_cmp_gt_i32_e32 vcc_lo, 16, v16
	v_min_i32_e32 v17, 15, v16
	v_cmp_eq_u32_e64 s10, 0, v16
	s_delay_alu instid0(VALU_DEP_2) | instskip(SKIP_1) | instid1(VALU_DEP_2)
	v_dual_cndmask_b32 v15, 0, v15, vcc_lo :: v_dual_lshlrev_b32 v17, 3, v17
	v_cndmask_b32_e32 v14, 7, v14, vcc_lo
	v_and_b32_e32 v17, 0xf8, v17
	s_delay_alu instid0(VALU_DEP_2) | instskip(NEXT) | instid1(VALU_DEP_2)
	v_cmp_eq_u64_e32 vcc_lo, 0, v[14:15]
	v_and_or_b32 v14, v14, 7, v17
	s_and_b32 s10, s10, vcc_lo
	s_delay_alu instid0(VALU_DEP_1) | instid1(SALU_CYCLE_1)
	v_cndmask_b32_e64 v14, v14, 0, s10
	s_delay_alu instid0(VALU_DEP_1)
	v_or_b32_e32 v62, v14, v86
.LBB6_16241:                            ;   in Loop: Header=BB6_13467 Depth=2
	s_or_b32 exec_lo, exec_lo, s29
                                        ; implicit-def: $vgpr86
.LBB6_16242:                            ;   in Loop: Header=BB6_13467 Depth=2
	s_and_not1_saveexec_b32 s10, s28
; %bb.16243:                            ;   in Loop: Header=BB6_13467 Depth=2
	v_or_b32_e32 v62, 0x7e, v86
; %bb.16244:                            ;   in Loop: Header=BB6_13467 Depth=2
	s_or_b32 exec_lo, exec_lo, s10
                                        ; implicit-def: $vgpr15
.LBB6_16245:                            ;   in Loop: Header=BB6_13467 Depth=2
	s_and_not1_saveexec_b32 s10, s27
; %bb.16246:                            ;   in Loop: Header=BB6_13467 Depth=2
	v_or_b32_e32 v62, 0x7f, v15
; %bb.16247:                            ;   in Loop: Header=BB6_13467 Depth=2
	s_or_b32 exec_lo, exec_lo, s10
	v_dual_mov_b32 v15, 0 :: v_dual_lshrrev_b32 v14, 16, v11
	s_mov_b32 s10, exec_lo
	s_delay_alu instid0(VALU_DEP_1) | instskip(NEXT) | instid1(VALU_DEP_1)
	v_and_b32_e32 v16, 0xff, v14
	v_cmpx_ne_u16_e32 0, v16
	s_cbranch_execz .LBB6_16255
; %bb.16248:                            ;   in Loop: Header=BB6_13467 Depth=2
	v_bfrev_b32_e32 v15, 1
	s_mov_b32 s27, exec_lo
	v_cmpx_ne_u16_e32 0x80, v16
	s_cbranch_execz .LBB6_16254
; %bb.16249:                            ;   in Loop: Header=BB6_13467 Depth=2
	v_bfe_u32 v16, v11, 16, 7
	v_mov_b32_e32 v15, 0x7f800001
	s_mov_b32 s28, exec_lo
	s_delay_alu instid0(VALU_DEP_2)
	v_cmpx_ne_u32_e32 0x7f, v16
	s_cbranch_execz .LBB6_16253
; %bb.16250:                            ;   in Loop: Header=BB6_13467 Depth=2
	v_dual_lshrrev_b32 v15, 3, v16 :: v_dual_bitop2_b32 v54, 7, v14 bitop3:0x40
	s_mov_b32 s29, exec_lo
	v_cmpx_gt_u32_e32 8, v16
; %bb.16251:                            ;   in Loop: Header=BB6_13467 Depth=2
	s_delay_alu instid0(VALU_DEP_2) | instskip(NEXT) | instid1(VALU_DEP_1)
	v_clz_i32_u32_e32 v15, v54
	v_min_u32_e32 v15, 32, v15
	s_delay_alu instid0(VALU_DEP_1) | instskip(NEXT) | instid1(VALU_DEP_1)
	v_subrev_nc_u32_e32 v16, 28, v15
	v_lshlrev_b64_e32 v[16:17], v16, v[54:55]
	s_delay_alu instid0(VALU_DEP_1)
	v_dual_sub_nc_u32 v15, 29, v15 :: v_dual_bitop2_b32 v54, 7, v16 bitop3:0x40
; %bb.16252:                            ;   in Loop: Header=BB6_13467 Depth=2
	s_or_b32 exec_lo, exec_lo, s29
	v_lshlrev_b32_e32 v14, 24, v14
	s_delay_alu instid0(VALU_DEP_2) | instskip(NEXT) | instid1(VALU_DEP_3)
	v_lshlrev_b32_e32 v16, 20, v54
	v_lshl_add_u32 v15, v15, 23, 0x3c000000
	s_delay_alu instid0(VALU_DEP_3) | instskip(NEXT) | instid1(VALU_DEP_1)
	v_and_b32_e32 v14, 0x80000000, v14
	v_or3_b32 v15, v16, v14, v15
.LBB6_16253:                            ;   in Loop: Header=BB6_13467 Depth=2
	s_or_b32 exec_lo, exec_lo, s28
.LBB6_16254:                            ;   in Loop: Header=BB6_13467 Depth=2
	s_delay_alu instid0(SALU_CYCLE_1)
	s_or_b32 exec_lo, exec_lo, s27
.LBB6_16255:                            ;   in Loop: Header=BB6_13467 Depth=2
	s_delay_alu instid0(SALU_CYCLE_1) | instskip(NEXT) | instid1(VALU_DEP_1)
	s_or_b32 exec_lo, exec_lo, s10
	v_mul_f32_e32 v14, s26, v15
                                        ; implicit-def: $vgpr63
	s_mov_b32 s10, exec_lo
	s_delay_alu instid0(VALU_DEP_1) | instskip(SKIP_1) | instid1(VALU_DEP_2)
	v_and_b32_e32 v54, 0x7f800000, v14
	v_lshrrev_b32_e32 v15, 24, v14
	v_cmpx_ne_u64_e32 0x7f800000, v[54:55]
	s_xor_b32 s27, exec_lo, s10
	s_cbranch_execz .LBB6_16269
; %bb.16256:                            ;   in Loop: Header=BB6_13467 Depth=2
	v_and_b32_e32 v54, 0x7fffffff, v14
	v_and_b32_e32 v86, 0x80, v15
                                        ; implicit-def: $vgpr63
	s_mov_b32 s10, exec_lo
	s_delay_alu instid0(VALU_DEP_2)
	v_cmpx_gt_u64_e32 0x43e00001, v[54:55]
	s_xor_b32 s28, exec_lo, s10
	s_cbranch_execz .LBB6_16266
; %bb.16257:                            ;   in Loop: Header=BB6_13467 Depth=2
	v_mov_b32_e32 v63, 0
	s_mov_b32 s29, exec_lo
	v_cmpx_ne_u32_e32 0, v14
	s_cbranch_execz .LBB6_16265
; %bb.16258:                            ;   in Loop: Header=BB6_13467 Depth=2
	v_bfe_u32 v63, v14, 23, 8
	v_and_b32_e32 v15, 0x7fffff, v14
	s_delay_alu instid0(VALU_DEP_2) | instskip(SKIP_2) | instid1(VALU_DEP_4)
	v_cmp_gt_u32_e64 s10, 0x7a, v63
	v_sub_nc_u32_e32 v14, 0x79, v63
	v_cmp_eq_u32_e32 vcc_lo, 0, v63
	v_or_b32_e32 v16, 0x800000, v15
	s_delay_alu instid0(VALU_DEP_1) | instskip(NEXT) | instid1(VALU_DEP_1)
	v_dual_cndmask_b32 v14, 0, v14, s10 :: v_dual_cndmask_b32 v54, v16, v15, vcc_lo
	v_cndmask_b32_e64 v72, v14, 0x78, vcc_lo
	s_delay_alu instid0(VALU_DEP_1) | instskip(NEXT) | instid1(VALU_DEP_1)
	v_dual_add_nc_u32 v14, 20, v72 :: v_dual_add_nc_u32 v16, 19, v72
	v_lshlrev_b64_e64 v[14:15], v14, -1
	s_delay_alu instid0(VALU_DEP_2) | instskip(NEXT) | instid1(VALU_DEP_2)
	v_lshlrev_b64_e64 v[16:17], v16, 1
	v_bfi_b32 v15, v15, 0, 0
	s_delay_alu instid0(VALU_DEP_3) | instskip(NEXT) | instid1(VALU_DEP_1)
	v_bfi_b32 v14, v14, 0, v54
	v_cmp_eq_u64_e64 s10, v[14:15], v[16:17]
	v_lshrrev_b64 v[14:15], v72, v[54:55]
	s_delay_alu instid0(VALU_DEP_1)
	v_mov_b64_e32 v[16:17], v[14:15]
	s_and_saveexec_b32 s40, s10
; %bb.16259:                            ;   in Loop: Header=BB6_13467 Depth=2
	v_bfe_u32 v54, v14, 20, 1
	s_delay_alu instid0(VALU_DEP_1) | instskip(NEXT) | instid1(VALU_DEP_1)
	v_add_nc_u64_e32 v[16:17], v[14:15], v[54:55]
	v_add_nc_u64_e32 v[16:17], -1, v[16:17]
; %bb.16260:                            ;   in Loop: Header=BB6_13467 Depth=2
	s_or_b32 exec_lo, exec_lo, s40
	v_add_nc_u32_e32 v15, 0xffffff81, v63
	v_lshrrev_b32_e32 v17, 23, v14
	s_mov_b32 s10, exec_lo
	s_delay_alu instid0(VALU_DEP_2) | instskip(NEXT) | instid1(VALU_DEP_1)
	v_cndmask_b32_e64 v15, v15, 0xffffff82, vcc_lo
	v_add3_u32 v63, v72, v15, v17
	v_and_b32_e32 v15, 0xfffff, v16
                                        ; implicit-def: $vgpr16
	s_delay_alu instid0(VALU_DEP_1) | instskip(NEXT) | instid1(VALU_DEP_1)
	v_dual_add_nc_u32 v17, 6, v63 :: v_dual_add_nc_u32 v54, v15, v14
                                        ; implicit-def: $vgpr14_vgpr15
	v_cmpx_ne_u32_e32 0, v17
	s_xor_b32 s10, exec_lo, s10
; %bb.16261:                            ;   in Loop: Header=BB6_13467 Depth=2
	s_delay_alu instid0(VALU_DEP_2) | instskip(SKIP_1) | instid1(VALU_DEP_1)
	v_cmp_lt_u64_e32 vcc_lo, 0xffffff, v[54:55]
	v_add_nc_u32_e32 v14, 7, v63
	v_cndmask_b32_e32 v16, v17, v14, vcc_lo
	v_cndmask_b32_e64 v14, 0, 1, vcc_lo
	s_delay_alu instid0(VALU_DEP_1)
	v_lshrrev_b64 v[14:15], v14, v[54:55]
; %bb.16262:                            ;   in Loop: Header=BB6_13467 Depth=2
	s_and_not1_saveexec_b32 s10, s10
; %bb.16263:                            ;   in Loop: Header=BB6_13467 Depth=2
	v_mov_b64_e32 v[14:15], v[54:55]
	v_bfe_u32 v16, v54, 23, 1
; %bb.16264:                            ;   in Loop: Header=BB6_13467 Depth=2
	s_or_b32 exec_lo, exec_lo, s10
	s_delay_alu instid0(VALU_DEP_2) | instskip(NEXT) | instid1(VALU_DEP_2)
	v_lshrrev_b64 v[14:15], 20, v[14:15]
	v_cmp_gt_i32_e32 vcc_lo, 16, v16
	v_min_i32_e32 v17, 15, v16
	v_cmp_eq_u32_e64 s10, 0, v16
	s_delay_alu instid0(VALU_DEP_2) | instskip(SKIP_1) | instid1(VALU_DEP_2)
	v_dual_cndmask_b32 v15, 0, v15, vcc_lo :: v_dual_lshlrev_b32 v17, 3, v17
	v_cndmask_b32_e32 v14, 7, v14, vcc_lo
	v_and_b32_e32 v17, 0xf8, v17
	s_delay_alu instid0(VALU_DEP_2) | instskip(NEXT) | instid1(VALU_DEP_2)
	v_cmp_eq_u64_e32 vcc_lo, 0, v[14:15]
	v_and_or_b32 v14, v14, 7, v17
	s_and_b32 s10, s10, vcc_lo
	s_delay_alu instid0(VALU_DEP_1) | instid1(SALU_CYCLE_1)
	v_cndmask_b32_e64 v14, v14, 0, s10
	s_delay_alu instid0(VALU_DEP_1)
	v_or_b32_e32 v63, v14, v86
.LBB6_16265:                            ;   in Loop: Header=BB6_13467 Depth=2
	s_or_b32 exec_lo, exec_lo, s29
                                        ; implicit-def: $vgpr86
.LBB6_16266:                            ;   in Loop: Header=BB6_13467 Depth=2
	s_and_not1_saveexec_b32 s10, s28
; %bb.16267:                            ;   in Loop: Header=BB6_13467 Depth=2
	v_or_b32_e32 v63, 0x7e, v86
; %bb.16268:                            ;   in Loop: Header=BB6_13467 Depth=2
	s_or_b32 exec_lo, exec_lo, s10
                                        ; implicit-def: $vgpr15
.LBB6_16269:                            ;   in Loop: Header=BB6_13467 Depth=2
	s_and_not1_saveexec_b32 s10, s27
; %bb.16270:                            ;   in Loop: Header=BB6_13467 Depth=2
	v_or_b32_e32 v63, 0x7f, v15
; %bb.16271:                            ;   in Loop: Header=BB6_13467 Depth=2
	s_or_b32 exec_lo, exec_lo, s10
	v_mov_b32_e32 v14, 0
	s_mov_b32 s10, exec_lo
	v_cmpx_lt_u64_e64 s[12:13], v[10:11]
	s_cbranch_execz .LBB6_16279
; %bb.16272:                            ;   in Loop: Header=BB6_13467 Depth=2
	v_lshrrev_b32_e32 v10, 24, v11
	v_bfrev_b32_e32 v14, 1
	s_mov_b32 s27, exec_lo
	s_delay_alu instid0(VALU_DEP_2)
	v_cmpx_ne_u32_e32 0x80, v10
	s_cbranch_execz .LBB6_16278
; %bb.16273:                            ;   in Loop: Header=BB6_13467 Depth=2
	v_bfe_u32 v15, v11, 24, 7
	v_mov_b32_e32 v14, 0x7f800001
	s_mov_b32 s28, exec_lo
	s_delay_alu instid0(VALU_DEP_2)
	v_cmpx_ne_u32_e32 0x7f, v15
	s_cbranch_execz .LBB6_16277
; %bb.16274:                            ;   in Loop: Header=BB6_13467 Depth=2
	v_dual_lshrrev_b32 v11, 3, v15 :: v_dual_bitop2_b32 v54, 7, v10 bitop3:0x40
	s_mov_b32 s29, exec_lo
	v_cmpx_gt_u32_e32 8, v15
; %bb.16275:                            ;   in Loop: Header=BB6_13467 Depth=2
	s_delay_alu instid0(VALU_DEP_2) | instskip(NEXT) | instid1(VALU_DEP_1)
	v_clz_i32_u32_e32 v11, v54
	v_min_u32_e32 v11, 32, v11
	s_delay_alu instid0(VALU_DEP_1) | instskip(NEXT) | instid1(VALU_DEP_1)
	v_subrev_nc_u32_e32 v14, 28, v11
	v_lshlrev_b64_e32 v[14:15], v14, v[54:55]
	s_delay_alu instid0(VALU_DEP_1)
	v_dual_sub_nc_u32 v11, 29, v11 :: v_dual_bitop2_b32 v54, 7, v14 bitop3:0x40
; %bb.16276:                            ;   in Loop: Header=BB6_13467 Depth=2
	s_or_b32 exec_lo, exec_lo, s29
	v_lshlrev_b32_e32 v10, 24, v10
	s_delay_alu instid0(VALU_DEP_2) | instskip(NEXT) | instid1(VALU_DEP_3)
	v_lshlrev_b32_e32 v14, 20, v54
	v_lshl_add_u32 v11, v11, 23, 0x3c000000
	s_delay_alu instid0(VALU_DEP_3) | instskip(NEXT) | instid1(VALU_DEP_1)
	v_and_b32_e32 v10, 0x80000000, v10
	v_or3_b32 v14, v14, v10, v11
.LBB6_16277:                            ;   in Loop: Header=BB6_13467 Depth=2
	s_or_b32 exec_lo, exec_lo, s28
.LBB6_16278:                            ;   in Loop: Header=BB6_13467 Depth=2
	s_delay_alu instid0(SALU_CYCLE_1)
	s_or_b32 exec_lo, exec_lo, s27
.LBB6_16279:                            ;   in Loop: Header=BB6_13467 Depth=2
	s_delay_alu instid0(SALU_CYCLE_1) | instskip(NEXT) | instid1(VALU_DEP_1)
	s_or_b32 exec_lo, exec_lo, s10
	v_mul_f32_e32 v10, s26, v14
                                        ; implicit-def: $vgpr72
	s_mov_b32 s10, exec_lo
	s_delay_alu instid0(VALU_DEP_1) | instskip(SKIP_1) | instid1(VALU_DEP_2)
	v_and_b32_e32 v54, 0x7f800000, v10
	v_lshrrev_b32_e32 v11, 24, v10
	v_cmpx_ne_u64_e32 0x7f800000, v[54:55]
	s_xor_b32 s27, exec_lo, s10
	s_cbranch_execz .LBB6_16293
; %bb.16280:                            ;   in Loop: Header=BB6_13467 Depth=2
	v_and_b32_e32 v54, 0x7fffffff, v10
	v_and_b32_e32 v16, 0x80, v11
                                        ; implicit-def: $vgpr72
	s_mov_b32 s10, exec_lo
	s_delay_alu instid0(VALU_DEP_2)
	v_cmpx_gt_u64_e32 0x43e00001, v[54:55]
	s_xor_b32 s28, exec_lo, s10
	s_cbranch_execz .LBB6_16290
; %bb.16281:                            ;   in Loop: Header=BB6_13467 Depth=2
	v_mov_b32_e32 v72, 0
	s_mov_b32 s29, exec_lo
	v_cmpx_ne_u32_e32 0, v10
	s_cbranch_execz .LBB6_16289
; %bb.16282:                            ;   in Loop: Header=BB6_13467 Depth=2
	v_bfe_u32 v17, v10, 23, 8
	v_and_b32_e32 v11, 0x7fffff, v10
	s_delay_alu instid0(VALU_DEP_2) | instskip(SKIP_2) | instid1(VALU_DEP_4)
	v_cmp_gt_u32_e64 s10, 0x7a, v17
	v_sub_nc_u32_e32 v10, 0x79, v17
	v_cmp_eq_u32_e32 vcc_lo, 0, v17
	v_or_b32_e32 v14, 0x800000, v11
	s_delay_alu instid0(VALU_DEP_1) | instskip(NEXT) | instid1(VALU_DEP_1)
	v_dual_cndmask_b32 v10, 0, v10, s10 :: v_dual_cndmask_b32 v54, v14, v11, vcc_lo
	v_cndmask_b32_e64 v86, v10, 0x78, vcc_lo
	s_delay_alu instid0(VALU_DEP_1) | instskip(NEXT) | instid1(VALU_DEP_1)
	v_dual_add_nc_u32 v10, 20, v86 :: v_dual_add_nc_u32 v14, 19, v86
	v_lshlrev_b64_e64 v[10:11], v10, -1
	s_delay_alu instid0(VALU_DEP_2) | instskip(NEXT) | instid1(VALU_DEP_2)
	v_lshlrev_b64_e64 v[14:15], v14, 1
	v_bfi_b32 v11, v11, 0, 0
	s_delay_alu instid0(VALU_DEP_3) | instskip(NEXT) | instid1(VALU_DEP_1)
	v_bfi_b32 v10, v10, 0, v54
	v_cmp_eq_u64_e64 s10, v[10:11], v[14:15]
	v_lshrrev_b64 v[10:11], v86, v[54:55]
	s_delay_alu instid0(VALU_DEP_1)
	v_mov_b64_e32 v[14:15], v[10:11]
	s_and_saveexec_b32 s40, s10
; %bb.16283:                            ;   in Loop: Header=BB6_13467 Depth=2
	v_bfe_u32 v54, v10, 20, 1
	s_delay_alu instid0(VALU_DEP_1) | instskip(NEXT) | instid1(VALU_DEP_1)
	v_add_nc_u64_e32 v[14:15], v[10:11], v[54:55]
	v_add_nc_u64_e32 v[14:15], -1, v[14:15]
; %bb.16284:                            ;   in Loop: Header=BB6_13467 Depth=2
	s_or_b32 exec_lo, exec_lo, s40
	v_add_nc_u32_e32 v11, 0xffffff81, v17
	v_lshrrev_b32_e32 v15, 23, v10
	s_mov_b32 s10, exec_lo
	s_delay_alu instid0(VALU_DEP_2) | instskip(NEXT) | instid1(VALU_DEP_1)
	v_cndmask_b32_e64 v11, v11, 0xffffff82, vcc_lo
	v_add3_u32 v17, v86, v11, v15
	v_and_b32_e32 v11, 0xfffff, v14
                                        ; implicit-def: $vgpr14
	s_delay_alu instid0(VALU_DEP_1) | instskip(NEXT) | instid1(VALU_DEP_1)
	v_dual_add_nc_u32 v15, 6, v17 :: v_dual_add_nc_u32 v54, v11, v10
                                        ; implicit-def: $vgpr10_vgpr11
	v_cmpx_ne_u32_e32 0, v15
	s_xor_b32 s10, exec_lo, s10
; %bb.16285:                            ;   in Loop: Header=BB6_13467 Depth=2
	s_delay_alu instid0(VALU_DEP_2) | instskip(SKIP_1) | instid1(VALU_DEP_1)
	v_cmp_lt_u64_e32 vcc_lo, 0xffffff, v[54:55]
	v_add_nc_u32_e32 v10, 7, v17
	v_cndmask_b32_e32 v14, v15, v10, vcc_lo
	v_cndmask_b32_e64 v10, 0, 1, vcc_lo
	s_delay_alu instid0(VALU_DEP_1)
	v_lshrrev_b64 v[10:11], v10, v[54:55]
; %bb.16286:                            ;   in Loop: Header=BB6_13467 Depth=2
	s_and_not1_saveexec_b32 s10, s10
; %bb.16287:                            ;   in Loop: Header=BB6_13467 Depth=2
	v_mov_b64_e32 v[10:11], v[54:55]
	v_bfe_u32 v14, v54, 23, 1
; %bb.16288:                            ;   in Loop: Header=BB6_13467 Depth=2
	s_or_b32 exec_lo, exec_lo, s10
	s_delay_alu instid0(VALU_DEP_2) | instskip(NEXT) | instid1(VALU_DEP_2)
	v_lshrrev_b64 v[10:11], 20, v[10:11]
	v_cmp_gt_i32_e32 vcc_lo, 16, v14
	v_min_i32_e32 v15, 15, v14
	v_cmp_eq_u32_e64 s10, 0, v14
	s_delay_alu instid0(VALU_DEP_4) | instskip(NEXT) | instid1(VALU_DEP_3)
	v_cndmask_b32_e32 v11, 0, v11, vcc_lo
	v_dual_cndmask_b32 v10, 7, v10 :: v_dual_lshlrev_b32 v15, 3, v15
	s_delay_alu instid0(VALU_DEP_1) | instskip(NEXT) | instid1(VALU_DEP_2)
	v_and_b32_e32 v15, 0xf8, v15
	v_cmp_eq_u64_e32 vcc_lo, 0, v[10:11]
	s_delay_alu instid0(VALU_DEP_2)
	v_and_or_b32 v10, v10, 7, v15
	s_and_b32 s10, s10, vcc_lo
	s_delay_alu instid0(VALU_DEP_1) | instid1(SALU_CYCLE_1)
	v_cndmask_b32_e64 v10, v10, 0, s10
	s_delay_alu instid0(VALU_DEP_1)
	v_or_b32_e32 v72, v10, v16
.LBB6_16289:                            ;   in Loop: Header=BB6_13467 Depth=2
	s_or_b32 exec_lo, exec_lo, s29
                                        ; implicit-def: $vgpr16
.LBB6_16290:                            ;   in Loop: Header=BB6_13467 Depth=2
	s_and_not1_saveexec_b32 s10, s28
; %bb.16291:                            ;   in Loop: Header=BB6_13467 Depth=2
	v_or_b32_e32 v72, 0x7e, v16
; %bb.16292:                            ;   in Loop: Header=BB6_13467 Depth=2
	s_or_b32 exec_lo, exec_lo, s10
                                        ; implicit-def: $vgpr11
.LBB6_16293:                            ;   in Loop: Header=BB6_13467 Depth=2
	s_and_not1_saveexec_b32 s10, s27
; %bb.16294:                            ;   in Loop: Header=BB6_13467 Depth=2
	v_or_b32_e32 v72, 0x7f, v11
; %bb.16295:                            ;   in Loop: Header=BB6_13467 Depth=2
	s_or_b32 exec_lo, exec_lo, s10
	v_and_b32_e32 v11, 0xff, v12
	v_mov_b32_e32 v10, 0
	s_mov_b32 s10, exec_lo
	s_delay_alu instid0(VALU_DEP_2)
	v_cmpx_ne_u16_e32 0, v11
	s_cbranch_execz .LBB6_16301
; %bb.16296:                            ;   in Loop: Header=BB6_13467 Depth=2
	v_bfrev_b32_e32 v10, 1
	s_mov_b32 s27, exec_lo
	v_cmpx_ne_u16_e32 0x80, v11
	s_cbranch_execz .LBB6_16300
; %bb.16297:                            ;   in Loop: Header=BB6_13467 Depth=2
	v_and_b32_e32 v11, 0x7f, v12
	v_mov_b32_e32 v10, 0x7f800001
	s_mov_b32 s28, exec_lo
	s_delay_alu instid0(VALU_DEP_2)
	v_cmpx_ne_u32_e32 0x7f, v11
	s_cbranch_execz .LBB6_16299
; %bb.16298:                            ;   in Loop: Header=BB6_13467 Depth=2
	v_dual_lshrrev_b32 v14, 3, v11 :: v_dual_bitop2_b32 v10, 7, v12 bitop3:0x40
	v_cmp_gt_u32_e32 vcc_lo, 8, v11
	s_delay_alu instid0(VALU_DEP_2) | instskip(NEXT) | instid1(VALU_DEP_1)
	v_clz_i32_u32_e32 v10, v10
	v_min_u32_e32 v10, 32, v10
	s_delay_alu instid0(VALU_DEP_1) | instskip(SKIP_1) | instid1(VALU_DEP_1)
	v_subrev_nc_u32_e32 v11, 28, v10
	v_sub_nc_u32_e32 v10, 29, v10
	v_dual_cndmask_b32 v14, v14, v10, vcc_lo :: v_dual_cndmask_b32 v10, 0, v11, vcc_lo
	s_delay_alu instid0(VALU_DEP_1) | instskip(NEXT) | instid1(VALU_DEP_2)
	v_lshl_add_u32 v14, v14, 23, 0x3c000000
	v_lshlrev_b64_e32 v[10:11], v10, v[12:13]
	v_lshlrev_b32_e32 v11, 24, v12
	s_delay_alu instid0(VALU_DEP_1) | instskip(NEXT) | instid1(VALU_DEP_3)
	v_and_b32_e32 v11, 0x80000000, v11
	v_lshlrev_b32_e32 v10, 20, v10
	s_delay_alu instid0(VALU_DEP_1) | instskip(NEXT) | instid1(VALU_DEP_1)
	v_and_b32_e32 v10, 0x700000, v10
	v_or3_b32 v10, v10, v11, v14
.LBB6_16299:                            ;   in Loop: Header=BB6_13467 Depth=2
	s_or_b32 exec_lo, exec_lo, s28
.LBB6_16300:                            ;   in Loop: Header=BB6_13467 Depth=2
	s_delay_alu instid0(SALU_CYCLE_1)
	s_or_b32 exec_lo, exec_lo, s27
.LBB6_16301:                            ;   in Loop: Header=BB6_13467 Depth=2
	s_delay_alu instid0(SALU_CYCLE_1) | instskip(NEXT) | instid1(VALU_DEP_1)
	s_or_b32 exec_lo, exec_lo, s10
	v_mul_f32_e32 v10, s26, v10
                                        ; implicit-def: $vgpr86
	s_mov_b32 s10, exec_lo
	s_delay_alu instid0(VALU_DEP_1) | instskip(SKIP_1) | instid1(VALU_DEP_2)
	v_and_b32_e32 v54, 0x7f800000, v10
	v_lshrrev_b32_e32 v11, 24, v10
	v_cmpx_ne_u64_e32 0x7f800000, v[54:55]
	s_xor_b32 s27, exec_lo, s10
	s_cbranch_execz .LBB6_16315
; %bb.16302:                            ;   in Loop: Header=BB6_13467 Depth=2
	v_and_b32_e32 v54, 0x7fffffff, v10
	v_and_b32_e32 v16, 0x80, v11
                                        ; implicit-def: $vgpr86
	s_mov_b32 s10, exec_lo
	s_delay_alu instid0(VALU_DEP_2)
	v_cmpx_gt_u64_e32 0x43e00001, v[54:55]
	s_xor_b32 s28, exec_lo, s10
	s_cbranch_execz .LBB6_16312
; %bb.16303:                            ;   in Loop: Header=BB6_13467 Depth=2
	v_mov_b32_e32 v86, 0
	s_mov_b32 s29, exec_lo
	v_cmpx_ne_u32_e32 0, v10
	s_cbranch_execz .LBB6_16311
; %bb.16304:                            ;   in Loop: Header=BB6_13467 Depth=2
	v_bfe_u32 v17, v10, 23, 8
	v_and_b32_e32 v11, 0x7fffff, v10
	s_delay_alu instid0(VALU_DEP_2) | instskip(SKIP_2) | instid1(VALU_DEP_4)
	v_cmp_gt_u32_e64 s10, 0x7a, v17
	v_sub_nc_u32_e32 v10, 0x79, v17
	v_cmp_eq_u32_e32 vcc_lo, 0, v17
	v_or_b32_e32 v14, 0x800000, v11
	s_delay_alu instid0(VALU_DEP_1) | instskip(NEXT) | instid1(VALU_DEP_1)
	v_dual_cndmask_b32 v10, 0, v10, s10 :: v_dual_cndmask_b32 v54, v14, v11, vcc_lo
	v_cndmask_b32_e64 v86, v10, 0x78, vcc_lo
	s_delay_alu instid0(VALU_DEP_1) | instskip(NEXT) | instid1(VALU_DEP_1)
	v_dual_add_nc_u32 v10, 20, v86 :: v_dual_add_nc_u32 v14, 19, v86
	v_lshlrev_b64_e64 v[10:11], v10, -1
	s_delay_alu instid0(VALU_DEP_2) | instskip(NEXT) | instid1(VALU_DEP_2)
	v_lshlrev_b64_e64 v[14:15], v14, 1
	v_bfi_b32 v11, v11, 0, 0
	s_delay_alu instid0(VALU_DEP_3) | instskip(NEXT) | instid1(VALU_DEP_1)
	v_bfi_b32 v10, v10, 0, v54
	v_cmp_eq_u64_e64 s10, v[10:11], v[14:15]
	v_lshrrev_b64 v[10:11], v86, v[54:55]
	s_delay_alu instid0(VALU_DEP_1)
	v_mov_b64_e32 v[14:15], v[10:11]
	s_and_saveexec_b32 s40, s10
; %bb.16305:                            ;   in Loop: Header=BB6_13467 Depth=2
	v_bfe_u32 v54, v10, 20, 1
	s_delay_alu instid0(VALU_DEP_1) | instskip(NEXT) | instid1(VALU_DEP_1)
	v_add_nc_u64_e32 v[14:15], v[10:11], v[54:55]
	v_add_nc_u64_e32 v[14:15], -1, v[14:15]
; %bb.16306:                            ;   in Loop: Header=BB6_13467 Depth=2
	s_or_b32 exec_lo, exec_lo, s40
	v_add_nc_u32_e32 v11, 0xffffff81, v17
	v_lshrrev_b32_e32 v15, 23, v10
	s_mov_b32 s10, exec_lo
	s_delay_alu instid0(VALU_DEP_2) | instskip(NEXT) | instid1(VALU_DEP_1)
	v_cndmask_b32_e64 v11, v11, 0xffffff82, vcc_lo
	v_add3_u32 v17, v86, v11, v15
	v_and_b32_e32 v11, 0xfffff, v14
                                        ; implicit-def: $vgpr14
	s_delay_alu instid0(VALU_DEP_1) | instskip(NEXT) | instid1(VALU_DEP_1)
	v_dual_add_nc_u32 v15, 6, v17 :: v_dual_add_nc_u32 v54, v11, v10
                                        ; implicit-def: $vgpr10_vgpr11
	v_cmpx_ne_u32_e32 0, v15
	s_xor_b32 s10, exec_lo, s10
; %bb.16307:                            ;   in Loop: Header=BB6_13467 Depth=2
	s_delay_alu instid0(VALU_DEP_2) | instskip(SKIP_1) | instid1(VALU_DEP_1)
	v_cmp_lt_u64_e32 vcc_lo, 0xffffff, v[54:55]
	v_add_nc_u32_e32 v10, 7, v17
	v_cndmask_b32_e32 v14, v15, v10, vcc_lo
	v_cndmask_b32_e64 v10, 0, 1, vcc_lo
	s_delay_alu instid0(VALU_DEP_1)
	v_lshrrev_b64 v[10:11], v10, v[54:55]
; %bb.16308:                            ;   in Loop: Header=BB6_13467 Depth=2
	s_and_not1_saveexec_b32 s10, s10
; %bb.16309:                            ;   in Loop: Header=BB6_13467 Depth=2
	v_mov_b64_e32 v[10:11], v[54:55]
	v_bfe_u32 v14, v54, 23, 1
; %bb.16310:                            ;   in Loop: Header=BB6_13467 Depth=2
	s_or_b32 exec_lo, exec_lo, s10
	s_delay_alu instid0(VALU_DEP_2) | instskip(NEXT) | instid1(VALU_DEP_2)
	v_lshrrev_b64 v[10:11], 20, v[10:11]
	v_cmp_gt_i32_e32 vcc_lo, 16, v14
	v_min_i32_e32 v15, 15, v14
	v_cmp_eq_u32_e64 s10, 0, v14
	s_delay_alu instid0(VALU_DEP_4) | instskip(NEXT) | instid1(VALU_DEP_3)
	v_cndmask_b32_e32 v11, 0, v11, vcc_lo
	v_dual_cndmask_b32 v10, 7, v10 :: v_dual_lshlrev_b32 v15, 3, v15
	s_delay_alu instid0(VALU_DEP_1) | instskip(NEXT) | instid1(VALU_DEP_2)
	v_and_b32_e32 v15, 0xf8, v15
	v_cmp_eq_u64_e32 vcc_lo, 0, v[10:11]
	s_delay_alu instid0(VALU_DEP_2)
	v_and_or_b32 v10, v10, 7, v15
	s_and_b32 s10, s10, vcc_lo
	s_delay_alu instid0(VALU_DEP_1) | instid1(SALU_CYCLE_1)
	v_cndmask_b32_e64 v10, v10, 0, s10
	s_delay_alu instid0(VALU_DEP_1)
	v_or_b32_e32 v86, v10, v16
.LBB6_16311:                            ;   in Loop: Header=BB6_13467 Depth=2
	s_or_b32 exec_lo, exec_lo, s29
                                        ; implicit-def: $vgpr16
.LBB6_16312:                            ;   in Loop: Header=BB6_13467 Depth=2
	s_and_not1_saveexec_b32 s10, s28
; %bb.16313:                            ;   in Loop: Header=BB6_13467 Depth=2
	v_or_b32_e32 v86, 0x7e, v16
; %bb.16314:                            ;   in Loop: Header=BB6_13467 Depth=2
	s_or_b32 exec_lo, exec_lo, s10
                                        ; implicit-def: $vgpr11
.LBB6_16315:                            ;   in Loop: Header=BB6_13467 Depth=2
	s_and_not1_saveexec_b32 s10, s27
; %bb.16316:                            ;   in Loop: Header=BB6_13467 Depth=2
	v_or_b32_e32 v86, 0x7f, v11
; %bb.16317:                            ;   in Loop: Header=BB6_13467 Depth=2
	s_or_b32 exec_lo, exec_lo, s10
	v_lshrrev_b16 v11, 8, v12
	v_mov_b32_e32 v10, 0
	s_mov_b32 s10, exec_lo
	s_delay_alu instid0(VALU_DEP_2)
	v_cmpx_ne_u16_e32 0, v11
	s_cbranch_execz .LBB6_16325
; %bb.16318:                            ;   in Loop: Header=BB6_13467 Depth=2
	v_bfrev_b32_e32 v10, 1
	s_mov_b32 s27, exec_lo
	v_cmpx_ne_u16_e32 0x80, v11
	s_cbranch_execz .LBB6_16324
; %bb.16319:                            ;   in Loop: Header=BB6_13467 Depth=2
	v_and_b32_e32 v14, 0xffff, v11
	v_mov_b32_e32 v10, 0x7f800001
	s_mov_b32 s28, exec_lo
	s_delay_alu instid0(VALU_DEP_2) | instskip(NEXT) | instid1(VALU_DEP_1)
	v_and_b32_e32 v11, 0x7f, v14
	v_cmpx_ne_u32_e32 0x7f, v11
	s_cbranch_execz .LBB6_16323
; %bb.16320:                            ;   in Loop: Header=BB6_13467 Depth=2
	v_dual_lshrrev_b32 v10, 3, v11 :: v_dual_bitop2_b32 v54, 7, v14 bitop3:0x40
	s_mov_b32 s29, exec_lo
	v_cmpx_gt_u32_e32 8, v11
; %bb.16321:                            ;   in Loop: Header=BB6_13467 Depth=2
	s_delay_alu instid0(VALU_DEP_2) | instskip(NEXT) | instid1(VALU_DEP_1)
	v_clz_i32_u32_e32 v10, v54
	v_min_u32_e32 v10, 32, v10
	s_delay_alu instid0(VALU_DEP_1) | instskip(SKIP_1) | instid1(VALU_DEP_2)
	v_subrev_nc_u32_e32 v11, 28, v10
	v_sub_nc_u32_e32 v10, 29, v10
	v_lshlrev_b64_e32 v[14:15], v11, v[54:55]
	s_delay_alu instid0(VALU_DEP_1)
	v_and_b32_e32 v54, 7, v14
; %bb.16322:                            ;   in Loop: Header=BB6_13467 Depth=2
	s_or_b32 exec_lo, exec_lo, s29
	s_delay_alu instid0(VALU_DEP_1) | instskip(SKIP_1) | instid1(VALU_DEP_2)
	v_dual_lshlrev_b32 v11, 16, v12 :: v_dual_lshlrev_b32 v14, 20, v54
	v_lshl_add_u32 v10, v10, 23, 0x3c000000
	v_and_b32_e32 v11, 0x80000000, v11
	s_delay_alu instid0(VALU_DEP_1)
	v_or3_b32 v10, v14, v11, v10
.LBB6_16323:                            ;   in Loop: Header=BB6_13467 Depth=2
	s_or_b32 exec_lo, exec_lo, s28
.LBB6_16324:                            ;   in Loop: Header=BB6_13467 Depth=2
	s_delay_alu instid0(SALU_CYCLE_1)
	s_or_b32 exec_lo, exec_lo, s27
.LBB6_16325:                            ;   in Loop: Header=BB6_13467 Depth=2
	s_delay_alu instid0(SALU_CYCLE_1) | instskip(NEXT) | instid1(VALU_DEP_1)
	s_or_b32 exec_lo, exec_lo, s10
	v_mul_f32_e32 v10, s26, v10
                                        ; implicit-def: $vgpr73
	s_mov_b32 s10, exec_lo
	s_delay_alu instid0(VALU_DEP_1) | instskip(SKIP_1) | instid1(VALU_DEP_2)
	v_and_b32_e32 v54, 0x7f800000, v10
	v_lshrrev_b32_e32 v11, 24, v10
	v_cmpx_ne_u64_e32 0x7f800000, v[54:55]
	s_xor_b32 s27, exec_lo, s10
	s_cbranch_execz .LBB6_16339
; %bb.16326:                            ;   in Loop: Header=BB6_13467 Depth=2
	v_and_b32_e32 v54, 0x7fffffff, v10
	v_and_b32_e32 v16, 0x80, v11
                                        ; implicit-def: $vgpr73
	s_mov_b32 s10, exec_lo
	s_delay_alu instid0(VALU_DEP_2)
	v_cmpx_gt_u64_e32 0x43e00001, v[54:55]
	s_xor_b32 s28, exec_lo, s10
	s_cbranch_execz .LBB6_16336
; %bb.16327:                            ;   in Loop: Header=BB6_13467 Depth=2
	v_mov_b32_e32 v73, 0
	s_mov_b32 s29, exec_lo
	v_cmpx_ne_u32_e32 0, v10
	s_cbranch_execz .LBB6_16335
; %bb.16328:                            ;   in Loop: Header=BB6_13467 Depth=2
	v_bfe_u32 v17, v10, 23, 8
	v_and_b32_e32 v11, 0x7fffff, v10
	s_delay_alu instid0(VALU_DEP_2) | instskip(SKIP_2) | instid1(VALU_DEP_4)
	v_cmp_gt_u32_e64 s10, 0x7a, v17
	v_sub_nc_u32_e32 v10, 0x79, v17
	v_cmp_eq_u32_e32 vcc_lo, 0, v17
	v_or_b32_e32 v14, 0x800000, v11
	s_delay_alu instid0(VALU_DEP_1) | instskip(NEXT) | instid1(VALU_DEP_1)
	v_dual_cndmask_b32 v10, 0, v10, s10 :: v_dual_cndmask_b32 v54, v14, v11, vcc_lo
	v_cndmask_b32_e64 v73, v10, 0x78, vcc_lo
	s_delay_alu instid0(VALU_DEP_1) | instskip(NEXT) | instid1(VALU_DEP_1)
	v_dual_add_nc_u32 v10, 20, v73 :: v_dual_add_nc_u32 v14, 19, v73
	v_lshlrev_b64_e64 v[10:11], v10, -1
	s_delay_alu instid0(VALU_DEP_2) | instskip(NEXT) | instid1(VALU_DEP_2)
	v_lshlrev_b64_e64 v[14:15], v14, 1
	v_bfi_b32 v11, v11, 0, 0
	s_delay_alu instid0(VALU_DEP_3) | instskip(NEXT) | instid1(VALU_DEP_1)
	v_bfi_b32 v10, v10, 0, v54
	v_cmp_eq_u64_e64 s10, v[10:11], v[14:15]
	v_lshrrev_b64 v[10:11], v73, v[54:55]
	s_delay_alu instid0(VALU_DEP_1)
	v_mov_b64_e32 v[14:15], v[10:11]
	s_and_saveexec_b32 s40, s10
; %bb.16329:                            ;   in Loop: Header=BB6_13467 Depth=2
	v_bfe_u32 v54, v10, 20, 1
	s_delay_alu instid0(VALU_DEP_1) | instskip(NEXT) | instid1(VALU_DEP_1)
	v_add_nc_u64_e32 v[14:15], v[10:11], v[54:55]
	v_add_nc_u64_e32 v[14:15], -1, v[14:15]
; %bb.16330:                            ;   in Loop: Header=BB6_13467 Depth=2
	s_or_b32 exec_lo, exec_lo, s40
	v_add_nc_u32_e32 v11, 0xffffff81, v17
	v_lshrrev_b32_e32 v15, 23, v10
	s_mov_b32 s10, exec_lo
	s_delay_alu instid0(VALU_DEP_2) | instskip(NEXT) | instid1(VALU_DEP_1)
	v_cndmask_b32_e64 v11, v11, 0xffffff82, vcc_lo
	v_add3_u32 v17, v73, v11, v15
	v_and_b32_e32 v11, 0xfffff, v14
                                        ; implicit-def: $vgpr14
	s_delay_alu instid0(VALU_DEP_1) | instskip(NEXT) | instid1(VALU_DEP_1)
	v_dual_add_nc_u32 v15, 6, v17 :: v_dual_add_nc_u32 v54, v11, v10
                                        ; implicit-def: $vgpr10_vgpr11
	v_cmpx_ne_u32_e32 0, v15
	s_xor_b32 s10, exec_lo, s10
; %bb.16331:                            ;   in Loop: Header=BB6_13467 Depth=2
	s_delay_alu instid0(VALU_DEP_2) | instskip(SKIP_1) | instid1(VALU_DEP_1)
	v_cmp_lt_u64_e32 vcc_lo, 0xffffff, v[54:55]
	v_add_nc_u32_e32 v10, 7, v17
	v_cndmask_b32_e32 v14, v15, v10, vcc_lo
	v_cndmask_b32_e64 v10, 0, 1, vcc_lo
	s_delay_alu instid0(VALU_DEP_1)
	v_lshrrev_b64 v[10:11], v10, v[54:55]
; %bb.16332:                            ;   in Loop: Header=BB6_13467 Depth=2
	s_and_not1_saveexec_b32 s10, s10
; %bb.16333:                            ;   in Loop: Header=BB6_13467 Depth=2
	v_mov_b64_e32 v[10:11], v[54:55]
	v_bfe_u32 v14, v54, 23, 1
; %bb.16334:                            ;   in Loop: Header=BB6_13467 Depth=2
	s_or_b32 exec_lo, exec_lo, s10
	s_delay_alu instid0(VALU_DEP_2) | instskip(NEXT) | instid1(VALU_DEP_2)
	v_lshrrev_b64 v[10:11], 20, v[10:11]
	v_cmp_gt_i32_e32 vcc_lo, 16, v14
	v_min_i32_e32 v15, 15, v14
	v_cmp_eq_u32_e64 s10, 0, v14
	s_delay_alu instid0(VALU_DEP_4) | instskip(NEXT) | instid1(VALU_DEP_3)
	v_cndmask_b32_e32 v11, 0, v11, vcc_lo
	v_dual_cndmask_b32 v10, 7, v10 :: v_dual_lshlrev_b32 v15, 3, v15
	s_delay_alu instid0(VALU_DEP_1) | instskip(NEXT) | instid1(VALU_DEP_2)
	v_and_b32_e32 v15, 0xf8, v15
	v_cmp_eq_u64_e32 vcc_lo, 0, v[10:11]
	s_delay_alu instid0(VALU_DEP_2)
	v_and_or_b32 v10, v10, 7, v15
	s_and_b32 s10, s10, vcc_lo
	s_delay_alu instid0(VALU_DEP_1) | instid1(SALU_CYCLE_1)
	v_cndmask_b32_e64 v10, v10, 0, s10
	s_delay_alu instid0(VALU_DEP_1)
	v_or_b32_e32 v73, v10, v16
.LBB6_16335:                            ;   in Loop: Header=BB6_13467 Depth=2
	s_or_b32 exec_lo, exec_lo, s29
                                        ; implicit-def: $vgpr16
.LBB6_16336:                            ;   in Loop: Header=BB6_13467 Depth=2
	s_and_not1_saveexec_b32 s10, s28
; %bb.16337:                            ;   in Loop: Header=BB6_13467 Depth=2
	v_or_b32_e32 v73, 0x7e, v16
; %bb.16338:                            ;   in Loop: Header=BB6_13467 Depth=2
	s_or_b32 exec_lo, exec_lo, s10
                                        ; implicit-def: $vgpr11
.LBB6_16339:                            ;   in Loop: Header=BB6_13467 Depth=2
	s_and_not1_saveexec_b32 s10, s27
; %bb.16340:                            ;   in Loop: Header=BB6_13467 Depth=2
	v_or_b32_e32 v73, 0x7f, v11
; %bb.16341:                            ;   in Loop: Header=BB6_13467 Depth=2
	s_or_b32 exec_lo, exec_lo, s10
	v_dual_mov_b32 v11, 0 :: v_dual_lshrrev_b32 v10, 16, v12
	s_mov_b32 s10, exec_lo
	s_delay_alu instid0(VALU_DEP_1) | instskip(NEXT) | instid1(VALU_DEP_1)
	v_and_b32_e32 v14, 0xff, v10
	v_cmpx_ne_u16_e32 0, v14
	s_cbranch_execz .LBB6_16349
; %bb.16342:                            ;   in Loop: Header=BB6_13467 Depth=2
	v_bfrev_b32_e32 v11, 1
	s_mov_b32 s27, exec_lo
	v_cmpx_ne_u16_e32 0x80, v14
	s_cbranch_execz .LBB6_16348
; %bb.16343:                            ;   in Loop: Header=BB6_13467 Depth=2
	v_bfe_u32 v14, v12, 16, 7
	v_mov_b32_e32 v11, 0x7f800001
	s_mov_b32 s28, exec_lo
	s_delay_alu instid0(VALU_DEP_2)
	v_cmpx_ne_u32_e32 0x7f, v14
	s_cbranch_execz .LBB6_16347
; %bb.16344:                            ;   in Loop: Header=BB6_13467 Depth=2
	v_and_b32_e32 v54, 7, v10
	v_lshrrev_b32_e32 v11, 3, v14
	s_mov_b32 s29, exec_lo
	v_cmpx_gt_u32_e32 8, v14
; %bb.16345:                            ;   in Loop: Header=BB6_13467 Depth=2
	s_delay_alu instid0(VALU_DEP_3) | instskip(NEXT) | instid1(VALU_DEP_1)
	v_clz_i32_u32_e32 v11, v54
	v_min_u32_e32 v11, 32, v11
	s_delay_alu instid0(VALU_DEP_1) | instskip(NEXT) | instid1(VALU_DEP_1)
	v_subrev_nc_u32_e32 v14, 28, v11
	v_lshlrev_b64_e32 v[14:15], v14, v[54:55]
	s_delay_alu instid0(VALU_DEP_1)
	v_dual_sub_nc_u32 v11, 29, v11 :: v_dual_bitop2_b32 v54, 7, v14 bitop3:0x40
; %bb.16346:                            ;   in Loop: Header=BB6_13467 Depth=2
	s_or_b32 exec_lo, exec_lo, s29
	v_lshlrev_b32_e32 v10, 24, v10
	s_delay_alu instid0(VALU_DEP_2) | instskip(NEXT) | instid1(VALU_DEP_3)
	v_lshlrev_b32_e32 v14, 20, v54
	v_lshl_add_u32 v11, v11, 23, 0x3c000000
	s_delay_alu instid0(VALU_DEP_3) | instskip(NEXT) | instid1(VALU_DEP_1)
	v_and_b32_e32 v10, 0x80000000, v10
	v_or3_b32 v11, v14, v10, v11
.LBB6_16347:                            ;   in Loop: Header=BB6_13467 Depth=2
	s_or_b32 exec_lo, exec_lo, s28
.LBB6_16348:                            ;   in Loop: Header=BB6_13467 Depth=2
	s_delay_alu instid0(SALU_CYCLE_1)
	s_or_b32 exec_lo, exec_lo, s27
.LBB6_16349:                            ;   in Loop: Header=BB6_13467 Depth=2
	s_delay_alu instid0(SALU_CYCLE_1) | instskip(NEXT) | instid1(VALU_DEP_1)
	s_or_b32 exec_lo, exec_lo, s10
	v_mul_f32_e32 v10, s26, v11
                                        ; implicit-def: $vgpr74
	s_mov_b32 s10, exec_lo
	s_delay_alu instid0(VALU_DEP_1) | instskip(SKIP_1) | instid1(VALU_DEP_2)
	v_and_b32_e32 v54, 0x7f800000, v10
	v_lshrrev_b32_e32 v11, 24, v10
	v_cmpx_ne_u64_e32 0x7f800000, v[54:55]
	s_xor_b32 s27, exec_lo, s10
	s_cbranch_execz .LBB6_16363
; %bb.16350:                            ;   in Loop: Header=BB6_13467 Depth=2
	v_and_b32_e32 v54, 0x7fffffff, v10
	v_and_b32_e32 v16, 0x80, v11
                                        ; implicit-def: $vgpr74
	s_mov_b32 s10, exec_lo
	s_delay_alu instid0(VALU_DEP_2)
	v_cmpx_gt_u64_e32 0x43e00001, v[54:55]
	s_xor_b32 s28, exec_lo, s10
	s_cbranch_execz .LBB6_16360
; %bb.16351:                            ;   in Loop: Header=BB6_13467 Depth=2
	v_mov_b32_e32 v74, 0
	s_mov_b32 s29, exec_lo
	v_cmpx_ne_u32_e32 0, v10
	s_cbranch_execz .LBB6_16359
; %bb.16352:                            ;   in Loop: Header=BB6_13467 Depth=2
	v_bfe_u32 v17, v10, 23, 8
	v_and_b32_e32 v11, 0x7fffff, v10
	s_delay_alu instid0(VALU_DEP_2) | instskip(SKIP_2) | instid1(VALU_DEP_4)
	v_cmp_gt_u32_e64 s10, 0x7a, v17
	v_sub_nc_u32_e32 v10, 0x79, v17
	v_cmp_eq_u32_e32 vcc_lo, 0, v17
	v_or_b32_e32 v14, 0x800000, v11
	s_delay_alu instid0(VALU_DEP_1) | instskip(NEXT) | instid1(VALU_DEP_1)
	v_dual_cndmask_b32 v10, 0, v10, s10 :: v_dual_cndmask_b32 v54, v14, v11, vcc_lo
	v_cndmask_b32_e64 v74, v10, 0x78, vcc_lo
	s_delay_alu instid0(VALU_DEP_1) | instskip(NEXT) | instid1(VALU_DEP_1)
	v_dual_add_nc_u32 v10, 20, v74 :: v_dual_add_nc_u32 v14, 19, v74
	v_lshlrev_b64_e64 v[10:11], v10, -1
	s_delay_alu instid0(VALU_DEP_2) | instskip(NEXT) | instid1(VALU_DEP_2)
	v_lshlrev_b64_e64 v[14:15], v14, 1
	v_bfi_b32 v11, v11, 0, 0
	s_delay_alu instid0(VALU_DEP_3) | instskip(NEXT) | instid1(VALU_DEP_1)
	v_bfi_b32 v10, v10, 0, v54
	v_cmp_eq_u64_e64 s10, v[10:11], v[14:15]
	v_lshrrev_b64 v[10:11], v74, v[54:55]
	s_delay_alu instid0(VALU_DEP_1)
	v_mov_b64_e32 v[14:15], v[10:11]
	s_and_saveexec_b32 s40, s10
; %bb.16353:                            ;   in Loop: Header=BB6_13467 Depth=2
	v_bfe_u32 v54, v10, 20, 1
	s_delay_alu instid0(VALU_DEP_1) | instskip(NEXT) | instid1(VALU_DEP_1)
	v_add_nc_u64_e32 v[14:15], v[10:11], v[54:55]
	v_add_nc_u64_e32 v[14:15], -1, v[14:15]
; %bb.16354:                            ;   in Loop: Header=BB6_13467 Depth=2
	s_or_b32 exec_lo, exec_lo, s40
	v_add_nc_u32_e32 v11, 0xffffff81, v17
	v_lshrrev_b32_e32 v15, 23, v10
	s_mov_b32 s10, exec_lo
	s_delay_alu instid0(VALU_DEP_2) | instskip(NEXT) | instid1(VALU_DEP_1)
	v_cndmask_b32_e64 v11, v11, 0xffffff82, vcc_lo
	v_add3_u32 v17, v74, v11, v15
	v_and_b32_e32 v11, 0xfffff, v14
                                        ; implicit-def: $vgpr14
	s_delay_alu instid0(VALU_DEP_1) | instskip(NEXT) | instid1(VALU_DEP_1)
	v_dual_add_nc_u32 v15, 6, v17 :: v_dual_add_nc_u32 v54, v11, v10
                                        ; implicit-def: $vgpr10_vgpr11
	v_cmpx_ne_u32_e32 0, v15
	s_xor_b32 s10, exec_lo, s10
; %bb.16355:                            ;   in Loop: Header=BB6_13467 Depth=2
	s_delay_alu instid0(VALU_DEP_2) | instskip(SKIP_1) | instid1(VALU_DEP_1)
	v_cmp_lt_u64_e32 vcc_lo, 0xffffff, v[54:55]
	v_add_nc_u32_e32 v10, 7, v17
	v_cndmask_b32_e32 v14, v15, v10, vcc_lo
	v_cndmask_b32_e64 v10, 0, 1, vcc_lo
	s_delay_alu instid0(VALU_DEP_1)
	v_lshrrev_b64 v[10:11], v10, v[54:55]
; %bb.16356:                            ;   in Loop: Header=BB6_13467 Depth=2
	s_and_not1_saveexec_b32 s10, s10
; %bb.16357:                            ;   in Loop: Header=BB6_13467 Depth=2
	v_mov_b64_e32 v[10:11], v[54:55]
	v_bfe_u32 v14, v54, 23, 1
; %bb.16358:                            ;   in Loop: Header=BB6_13467 Depth=2
	s_or_b32 exec_lo, exec_lo, s10
	s_delay_alu instid0(VALU_DEP_2) | instskip(NEXT) | instid1(VALU_DEP_2)
	v_lshrrev_b64 v[10:11], 20, v[10:11]
	v_cmp_gt_i32_e32 vcc_lo, 16, v14
	v_min_i32_e32 v15, 15, v14
	v_cmp_eq_u32_e64 s10, 0, v14
	s_delay_alu instid0(VALU_DEP_4) | instskip(NEXT) | instid1(VALU_DEP_3)
	v_cndmask_b32_e32 v11, 0, v11, vcc_lo
	v_dual_cndmask_b32 v10, 7, v10 :: v_dual_lshlrev_b32 v15, 3, v15
	s_delay_alu instid0(VALU_DEP_1) | instskip(NEXT) | instid1(VALU_DEP_2)
	v_and_b32_e32 v15, 0xf8, v15
	v_cmp_eq_u64_e32 vcc_lo, 0, v[10:11]
	s_delay_alu instid0(VALU_DEP_2)
	v_and_or_b32 v10, v10, 7, v15
	s_and_b32 s10, s10, vcc_lo
	s_delay_alu instid0(VALU_DEP_1) | instid1(SALU_CYCLE_1)
	v_cndmask_b32_e64 v10, v10, 0, s10
	s_delay_alu instid0(VALU_DEP_1)
	v_or_b32_e32 v74, v10, v16
.LBB6_16359:                            ;   in Loop: Header=BB6_13467 Depth=2
	s_or_b32 exec_lo, exec_lo, s29
                                        ; implicit-def: $vgpr16
.LBB6_16360:                            ;   in Loop: Header=BB6_13467 Depth=2
	s_and_not1_saveexec_b32 s10, s28
; %bb.16361:                            ;   in Loop: Header=BB6_13467 Depth=2
	v_or_b32_e32 v74, 0x7e, v16
; %bb.16362:                            ;   in Loop: Header=BB6_13467 Depth=2
	s_or_b32 exec_lo, exec_lo, s10
                                        ; implicit-def: $vgpr11
.LBB6_16363:                            ;   in Loop: Header=BB6_13467 Depth=2
	s_and_not1_saveexec_b32 s10, s27
; %bb.16364:                            ;   in Loop: Header=BB6_13467 Depth=2
	v_or_b32_e32 v74, 0x7f, v11
; %bb.16365:                            ;   in Loop: Header=BB6_13467 Depth=2
	s_or_b32 exec_lo, exec_lo, s10
	v_mov_b32_e32 v11, 0
	s_mov_b32 s10, exec_lo
	v_cmpx_lt_u32_e32 0xffffff, v12
	s_cbranch_execz .LBB6_16373
; %bb.16366:                            ;   in Loop: Header=BB6_13467 Depth=2
	v_lshrrev_b32_e32 v10, 24, v12
	v_bfrev_b32_e32 v11, 1
	s_mov_b32 s27, exec_lo
	s_delay_alu instid0(VALU_DEP_2)
	v_cmpx_ne_u32_e32 0x80, v10
	s_cbranch_execz .LBB6_16372
; %bb.16367:                            ;   in Loop: Header=BB6_13467 Depth=2
	v_bfe_u32 v14, v12, 24, 7
	v_mov_b32_e32 v11, 0x7f800001
	s_mov_b32 s28, exec_lo
	s_delay_alu instid0(VALU_DEP_2)
	v_cmpx_ne_u32_e32 0x7f, v14
	s_cbranch_execz .LBB6_16371
; %bb.16368:                            ;   in Loop: Header=BB6_13467 Depth=2
	v_and_b32_e32 v54, 7, v10
	v_lshrrev_b32_e32 v11, 3, v14
	s_mov_b32 s29, exec_lo
	v_cmpx_gt_u32_e32 8, v14
; %bb.16369:                            ;   in Loop: Header=BB6_13467 Depth=2
	s_delay_alu instid0(VALU_DEP_3) | instskip(NEXT) | instid1(VALU_DEP_1)
	v_clz_i32_u32_e32 v11, v54
	v_min_u32_e32 v11, 32, v11
	s_delay_alu instid0(VALU_DEP_1) | instskip(NEXT) | instid1(VALU_DEP_1)
	v_subrev_nc_u32_e32 v14, 28, v11
	v_lshlrev_b64_e32 v[14:15], v14, v[54:55]
	s_delay_alu instid0(VALU_DEP_1)
	v_dual_sub_nc_u32 v11, 29, v11 :: v_dual_bitop2_b32 v54, 7, v14 bitop3:0x40
; %bb.16370:                            ;   in Loop: Header=BB6_13467 Depth=2
	s_or_b32 exec_lo, exec_lo, s29
	v_lshlrev_b32_e32 v10, 24, v10
	s_delay_alu instid0(VALU_DEP_2) | instskip(NEXT) | instid1(VALU_DEP_3)
	v_lshlrev_b32_e32 v14, 20, v54
	v_lshl_add_u32 v11, v11, 23, 0x3c000000
	s_delay_alu instid0(VALU_DEP_3) | instskip(NEXT) | instid1(VALU_DEP_1)
	v_and_b32_e32 v10, 0x80000000, v10
	v_or3_b32 v11, v14, v10, v11
.LBB6_16371:                            ;   in Loop: Header=BB6_13467 Depth=2
	s_or_b32 exec_lo, exec_lo, s28
.LBB6_16372:                            ;   in Loop: Header=BB6_13467 Depth=2
	s_delay_alu instid0(SALU_CYCLE_1)
	s_or_b32 exec_lo, exec_lo, s27
.LBB6_16373:                            ;   in Loop: Header=BB6_13467 Depth=2
	s_delay_alu instid0(SALU_CYCLE_1) | instskip(NEXT) | instid1(VALU_DEP_1)
	s_or_b32 exec_lo, exec_lo, s10
	v_mul_f32_e32 v10, s26, v11
                                        ; implicit-def: $vgpr75
	s_mov_b32 s10, exec_lo
	s_delay_alu instid0(VALU_DEP_1) | instskip(SKIP_1) | instid1(VALU_DEP_2)
	v_and_b32_e32 v54, 0x7f800000, v10
	v_lshrrev_b32_e32 v11, 24, v10
	v_cmpx_ne_u64_e32 0x7f800000, v[54:55]
	s_xor_b32 s27, exec_lo, s10
	s_cbranch_execz .LBB6_16387
; %bb.16374:                            ;   in Loop: Header=BB6_13467 Depth=2
	v_and_b32_e32 v54, 0x7fffffff, v10
	v_and_b32_e32 v16, 0x80, v11
                                        ; implicit-def: $vgpr75
	s_mov_b32 s10, exec_lo
	s_delay_alu instid0(VALU_DEP_2)
	v_cmpx_gt_u64_e32 0x43e00001, v[54:55]
	s_xor_b32 s28, exec_lo, s10
	s_cbranch_execz .LBB6_16384
; %bb.16375:                            ;   in Loop: Header=BB6_13467 Depth=2
	v_mov_b32_e32 v75, 0
	s_mov_b32 s29, exec_lo
	v_cmpx_ne_u32_e32 0, v10
	s_cbranch_execz .LBB6_16383
; %bb.16376:                            ;   in Loop: Header=BB6_13467 Depth=2
	v_bfe_u32 v17, v10, 23, 8
	v_and_b32_e32 v11, 0x7fffff, v10
	s_delay_alu instid0(VALU_DEP_2) | instskip(SKIP_2) | instid1(VALU_DEP_4)
	v_cmp_gt_u32_e64 s10, 0x7a, v17
	v_sub_nc_u32_e32 v10, 0x79, v17
	v_cmp_eq_u32_e32 vcc_lo, 0, v17
	v_or_b32_e32 v14, 0x800000, v11
	s_delay_alu instid0(VALU_DEP_1) | instskip(NEXT) | instid1(VALU_DEP_1)
	v_dual_cndmask_b32 v10, 0, v10, s10 :: v_dual_cndmask_b32 v54, v14, v11, vcc_lo
	v_cndmask_b32_e64 v75, v10, 0x78, vcc_lo
	s_delay_alu instid0(VALU_DEP_1) | instskip(NEXT) | instid1(VALU_DEP_1)
	v_dual_add_nc_u32 v10, 20, v75 :: v_dual_add_nc_u32 v14, 19, v75
	v_lshlrev_b64_e64 v[10:11], v10, -1
	s_delay_alu instid0(VALU_DEP_2) | instskip(NEXT) | instid1(VALU_DEP_2)
	v_lshlrev_b64_e64 v[14:15], v14, 1
	v_bfi_b32 v11, v11, 0, 0
	s_delay_alu instid0(VALU_DEP_3) | instskip(NEXT) | instid1(VALU_DEP_1)
	v_bfi_b32 v10, v10, 0, v54
	v_cmp_eq_u64_e64 s10, v[10:11], v[14:15]
	v_lshrrev_b64 v[10:11], v75, v[54:55]
	s_delay_alu instid0(VALU_DEP_1)
	v_mov_b64_e32 v[14:15], v[10:11]
	s_and_saveexec_b32 s40, s10
; %bb.16377:                            ;   in Loop: Header=BB6_13467 Depth=2
	v_bfe_u32 v54, v10, 20, 1
	s_delay_alu instid0(VALU_DEP_1) | instskip(NEXT) | instid1(VALU_DEP_1)
	v_add_nc_u64_e32 v[14:15], v[10:11], v[54:55]
	v_add_nc_u64_e32 v[14:15], -1, v[14:15]
; %bb.16378:                            ;   in Loop: Header=BB6_13467 Depth=2
	s_or_b32 exec_lo, exec_lo, s40
	v_add_nc_u32_e32 v11, 0xffffff81, v17
	v_lshrrev_b32_e32 v15, 23, v10
	s_mov_b32 s10, exec_lo
	s_delay_alu instid0(VALU_DEP_2) | instskip(NEXT) | instid1(VALU_DEP_1)
	v_cndmask_b32_e64 v11, v11, 0xffffff82, vcc_lo
	v_add3_u32 v17, v75, v11, v15
	v_and_b32_e32 v11, 0xfffff, v14
                                        ; implicit-def: $vgpr14
	s_delay_alu instid0(VALU_DEP_1) | instskip(NEXT) | instid1(VALU_DEP_1)
	v_dual_add_nc_u32 v15, 6, v17 :: v_dual_add_nc_u32 v54, v11, v10
                                        ; implicit-def: $vgpr10_vgpr11
	v_cmpx_ne_u32_e32 0, v15
	s_xor_b32 s10, exec_lo, s10
; %bb.16379:                            ;   in Loop: Header=BB6_13467 Depth=2
	s_delay_alu instid0(VALU_DEP_2) | instskip(SKIP_1) | instid1(VALU_DEP_1)
	v_cmp_lt_u64_e32 vcc_lo, 0xffffff, v[54:55]
	v_add_nc_u32_e32 v10, 7, v17
	v_cndmask_b32_e32 v14, v15, v10, vcc_lo
	v_cndmask_b32_e64 v10, 0, 1, vcc_lo
	s_delay_alu instid0(VALU_DEP_1)
	v_lshrrev_b64 v[10:11], v10, v[54:55]
; %bb.16380:                            ;   in Loop: Header=BB6_13467 Depth=2
	s_and_not1_saveexec_b32 s10, s10
; %bb.16381:                            ;   in Loop: Header=BB6_13467 Depth=2
	v_mov_b64_e32 v[10:11], v[54:55]
	v_bfe_u32 v14, v54, 23, 1
; %bb.16382:                            ;   in Loop: Header=BB6_13467 Depth=2
	s_or_b32 exec_lo, exec_lo, s10
	s_delay_alu instid0(VALU_DEP_2) | instskip(NEXT) | instid1(VALU_DEP_2)
	v_lshrrev_b64 v[10:11], 20, v[10:11]
	v_cmp_gt_i32_e32 vcc_lo, 16, v14
	v_min_i32_e32 v15, 15, v14
	v_cmp_eq_u32_e64 s10, 0, v14
	s_delay_alu instid0(VALU_DEP_4) | instskip(NEXT) | instid1(VALU_DEP_3)
	v_cndmask_b32_e32 v11, 0, v11, vcc_lo
	v_dual_cndmask_b32 v10, 7, v10 :: v_dual_lshlrev_b32 v15, 3, v15
	s_delay_alu instid0(VALU_DEP_1) | instskip(NEXT) | instid1(VALU_DEP_2)
	v_and_b32_e32 v15, 0xf8, v15
	v_cmp_eq_u64_e32 vcc_lo, 0, v[10:11]
	s_delay_alu instid0(VALU_DEP_2)
	v_and_or_b32 v10, v10, 7, v15
	s_and_b32 s10, s10, vcc_lo
	s_delay_alu instid0(VALU_DEP_1) | instid1(SALU_CYCLE_1)
	v_cndmask_b32_e64 v10, v10, 0, s10
	s_delay_alu instid0(VALU_DEP_1)
	v_or_b32_e32 v75, v10, v16
.LBB6_16383:                            ;   in Loop: Header=BB6_13467 Depth=2
	s_or_b32 exec_lo, exec_lo, s29
                                        ; implicit-def: $vgpr16
.LBB6_16384:                            ;   in Loop: Header=BB6_13467 Depth=2
	s_and_not1_saveexec_b32 s10, s28
; %bb.16385:                            ;   in Loop: Header=BB6_13467 Depth=2
	v_or_b32_e32 v75, 0x7e, v16
; %bb.16386:                            ;   in Loop: Header=BB6_13467 Depth=2
	s_or_b32 exec_lo, exec_lo, s10
                                        ; implicit-def: $vgpr11
.LBB6_16387:                            ;   in Loop: Header=BB6_13467 Depth=2
	s_and_not1_saveexec_b32 s10, s27
; %bb.16388:                            ;   in Loop: Header=BB6_13467 Depth=2
	v_or_b32_e32 v75, 0x7f, v11
; %bb.16389:                            ;   in Loop: Header=BB6_13467 Depth=2
	s_or_b32 exec_lo, exec_lo, s10
	v_and_b32_e32 v11, 0xff, v13
	v_dual_mov_b32 v54, v13 :: v_dual_mov_b32 v10, 0
	s_mov_b32 s10, exec_lo
	s_delay_alu instid0(VALU_DEP_2)
	v_cmpx_ne_u16_e32 0, v11
	s_cbranch_execz .LBB6_16395
; %bb.16390:                            ;   in Loop: Header=BB6_13467 Depth=2
	v_bfrev_b32_e32 v10, 1
	s_mov_b32 s27, exec_lo
	v_cmpx_ne_u16_e32 0x80, v11
	s_cbranch_execz .LBB6_16394
; %bb.16391:                            ;   in Loop: Header=BB6_13467 Depth=2
	v_and_b32_e32 v11, 0x7f, v13
	v_mov_b32_e32 v10, 0x7f800001
	s_mov_b32 s28, exec_lo
	s_delay_alu instid0(VALU_DEP_2)
	v_cmpx_ne_u32_e32 0x7f, v11
	s_cbranch_execz .LBB6_16393
; %bb.16392:                            ;   in Loop: Header=BB6_13467 Depth=2
	v_dual_lshrrev_b32 v14, 3, v11 :: v_dual_bitop2_b32 v10, 7, v13 bitop3:0x40
	v_cmp_gt_u32_e32 vcc_lo, 8, v11
	s_delay_alu instid0(VALU_DEP_2) | instskip(NEXT) | instid1(VALU_DEP_1)
	v_clz_i32_u32_e32 v10, v10
	v_min_u32_e32 v10, 32, v10
	s_delay_alu instid0(VALU_DEP_1) | instskip(SKIP_1) | instid1(VALU_DEP_1)
	v_subrev_nc_u32_e32 v11, 28, v10
	v_sub_nc_u32_e32 v10, 29, v10
	v_dual_cndmask_b32 v14, v14, v10, vcc_lo :: v_dual_cndmask_b32 v10, 0, v11, vcc_lo
	s_delay_alu instid0(VALU_DEP_1) | instskip(NEXT) | instid1(VALU_DEP_2)
	v_lshl_add_u32 v14, v14, 23, 0x3c000000
	v_lshlrev_b64_e32 v[10:11], v10, v[54:55]
	v_lshlrev_b32_e32 v11, 24, v54
	s_delay_alu instid0(VALU_DEP_1) | instskip(NEXT) | instid1(VALU_DEP_3)
	v_and_b32_e32 v11, 0x80000000, v11
	v_lshlrev_b32_e32 v10, 20, v10
	s_delay_alu instid0(VALU_DEP_1) | instskip(NEXT) | instid1(VALU_DEP_1)
	v_and_b32_e32 v10, 0x700000, v10
	v_or3_b32 v10, v10, v11, v14
.LBB6_16393:                            ;   in Loop: Header=BB6_13467 Depth=2
	s_or_b32 exec_lo, exec_lo, s28
.LBB6_16394:                            ;   in Loop: Header=BB6_13467 Depth=2
	s_delay_alu instid0(SALU_CYCLE_1)
	s_or_b32 exec_lo, exec_lo, s27
.LBB6_16395:                            ;   in Loop: Header=BB6_13467 Depth=2
	s_delay_alu instid0(SALU_CYCLE_1) | instskip(NEXT) | instid1(VALU_DEP_1)
	s_or_b32 exec_lo, exec_lo, s10
	v_dual_mul_f32 v10, s26, v10 :: v_dual_mov_b32 v15, v55
                                        ; implicit-def: $vgpr76
	s_mov_b32 s10, exec_lo
	s_delay_alu instid0(VALU_DEP_1) | instskip(SKIP_1) | instid1(VALU_DEP_2)
	v_and_b32_e32 v14, 0x7f800000, v10
	v_lshrrev_b32_e32 v11, 24, v10
	v_cmpx_ne_u64_e32 0x7f800000, v[14:15]
	s_xor_b32 s27, exec_lo, s10
	s_cbranch_execz .LBB6_16409
; %bb.16396:                            ;   in Loop: Header=BB6_13467 Depth=2
	v_and_b32_e32 v14, 0x7fffffff, v10
	v_mov_b32_e32 v15, v55
	v_and_b32_e32 v16, 0x80, v11
                                        ; implicit-def: $vgpr76
	s_mov_b32 s10, exec_lo
	s_delay_alu instid0(VALU_DEP_2)
	v_cmpx_gt_u64_e32 0x43e00001, v[14:15]
	s_xor_b32 s28, exec_lo, s10
	s_cbranch_execz .LBB6_16406
; %bb.16397:                            ;   in Loop: Header=BB6_13467 Depth=2
	v_mov_b32_e32 v76, 0
	s_mov_b32 s29, exec_lo
	v_cmpx_ne_u32_e32 0, v10
	s_cbranch_execz .LBB6_16405
; %bb.16398:                            ;   in Loop: Header=BB6_13467 Depth=2
	v_bfe_u32 v17, v10, 23, 8
	v_and_b32_e32 v11, 0x7fffff, v10
	s_delay_alu instid0(VALU_DEP_2) | instskip(SKIP_2) | instid1(VALU_DEP_4)
	v_cmp_gt_u32_e64 s10, 0x7a, v17
	v_sub_nc_u32_e32 v10, 0x79, v17
	v_cmp_eq_u32_e32 vcc_lo, 0, v17
	v_or_b32_e32 v14, 0x800000, v11
	s_delay_alu instid0(VALU_DEP_3) | instskip(NEXT) | instid1(VALU_DEP_1)
	v_cndmask_b32_e64 v10, 0, v10, s10
	v_cndmask_b32_e64 v76, v10, 0x78, vcc_lo
	s_delay_alu instid0(VALU_DEP_3) | instskip(NEXT) | instid1(VALU_DEP_2)
	v_dual_cndmask_b32 v10, v14, v11 :: v_dual_mov_b32 v11, v55
	v_dual_add_nc_u32 v14, 20, v76 :: v_dual_add_nc_u32 v77, 19, v76
	s_delay_alu instid0(VALU_DEP_1) | instskip(NEXT) | instid1(VALU_DEP_2)
	v_lshlrev_b64_e64 v[14:15], v14, -1
	v_lshlrev_b64_e64 v[78:79], v77, 1
	s_delay_alu instid0(VALU_DEP_2) | instskip(SKIP_1) | instid1(VALU_DEP_4)
	v_bfi_b32 v14, v14, 0, v10
	v_lshrrev_b64 v[10:11], v76, v[10:11]
	v_bfi_b32 v15, v15, 0, 0
	s_delay_alu instid0(VALU_DEP_1) | instskip(NEXT) | instid1(VALU_DEP_3)
	v_cmp_eq_u64_e64 s10, v[14:15], v[78:79]
	v_mov_b64_e32 v[14:15], v[10:11]
	s_and_saveexec_b32 s40, s10
; %bb.16399:                            ;   in Loop: Header=BB6_13467 Depth=2
	v_bfe_u32 v14, v10, 20, 1
	v_mov_b32_e32 v15, v55
	s_delay_alu instid0(VALU_DEP_1) | instskip(NEXT) | instid1(VALU_DEP_1)
	v_add_nc_u64_e32 v[14:15], v[10:11], v[14:15]
	v_add_nc_u64_e32 v[14:15], -1, v[14:15]
; %bb.16400:                            ;   in Loop: Header=BB6_13467 Depth=2
	s_or_b32 exec_lo, exec_lo, s40
	v_add_nc_u32_e32 v11, 0xffffff81, v17
	v_lshrrev_b32_e32 v15, 23, v10
	s_mov_b32 s10, exec_lo
	s_delay_alu instid0(VALU_DEP_2) | instskip(NEXT) | instid1(VALU_DEP_1)
	v_cndmask_b32_e64 v11, v11, 0xffffff82, vcc_lo
	v_add3_u32 v17, v76, v11, v15
	v_and_b32_e32 v11, 0xfffff, v14
                                        ; implicit-def: $vgpr14
	s_delay_alu instid0(VALU_DEP_1) | instskip(SKIP_1) | instid1(VALU_DEP_2)
	v_dual_add_nc_u32 v15, 6, v17 :: v_dual_add_nc_u32 v10, v11, v10
	v_mov_b32_e32 v11, v55
	v_cmpx_ne_u32_e32 0, v15
	s_xor_b32 s10, exec_lo, s10
; %bb.16401:                            ;   in Loop: Header=BB6_13467 Depth=2
	s_delay_alu instid0(VALU_DEP_2) | instskip(SKIP_1) | instid1(VALU_DEP_1)
	v_cmp_lt_u64_e32 vcc_lo, 0xffffff, v[10:11]
	v_add_nc_u32_e32 v14, 7, v17
	v_cndmask_b32_e32 v14, v15, v14, vcc_lo
	v_cndmask_b32_e64 v15, 0, 1, vcc_lo
	s_delay_alu instid0(VALU_DEP_1)
	v_lshrrev_b64 v[10:11], v15, v[10:11]
; %bb.16402:                            ;   in Loop: Header=BB6_13467 Depth=2
	s_and_not1_saveexec_b32 s10, s10
; %bb.16403:                            ;   in Loop: Header=BB6_13467 Depth=2
	s_delay_alu instid0(VALU_DEP_1)
	v_bfe_u32 v14, v10, 23, 1
; %bb.16404:                            ;   in Loop: Header=BB6_13467 Depth=2
	s_or_b32 exec_lo, exec_lo, s10
	s_delay_alu instid0(VALU_DEP_2) | instskip(NEXT) | instid1(VALU_DEP_2)
	v_lshrrev_b64 v[10:11], 20, v[10:11]
	v_cmp_gt_i32_e32 vcc_lo, 16, v14
	v_min_i32_e32 v15, 15, v14
	v_cmp_eq_u32_e64 s10, 0, v14
	s_delay_alu instid0(VALU_DEP_4) | instskip(NEXT) | instid1(VALU_DEP_3)
	v_cndmask_b32_e32 v11, 0, v11, vcc_lo
	v_dual_cndmask_b32 v10, 7, v10 :: v_dual_lshlrev_b32 v15, 3, v15
	s_delay_alu instid0(VALU_DEP_1) | instskip(NEXT) | instid1(VALU_DEP_2)
	v_and_b32_e32 v15, 0xf8, v15
	v_cmp_eq_u64_e32 vcc_lo, 0, v[10:11]
	s_delay_alu instid0(VALU_DEP_2)
	v_and_or_b32 v10, v10, 7, v15
	s_and_b32 s10, s10, vcc_lo
	s_delay_alu instid0(VALU_DEP_1) | instid1(SALU_CYCLE_1)
	v_cndmask_b32_e64 v10, v10, 0, s10
	s_delay_alu instid0(VALU_DEP_1)
	v_or_b32_e32 v76, v10, v16
.LBB6_16405:                            ;   in Loop: Header=BB6_13467 Depth=2
	s_or_b32 exec_lo, exec_lo, s29
                                        ; implicit-def: $vgpr16
.LBB6_16406:                            ;   in Loop: Header=BB6_13467 Depth=2
	s_and_not1_saveexec_b32 s10, s28
; %bb.16407:                            ;   in Loop: Header=BB6_13467 Depth=2
	v_or_b32_e32 v76, 0x7e, v16
; %bb.16408:                            ;   in Loop: Header=BB6_13467 Depth=2
	s_or_b32 exec_lo, exec_lo, s10
                                        ; implicit-def: $vgpr11
.LBB6_16409:                            ;   in Loop: Header=BB6_13467 Depth=2
	s_and_not1_saveexec_b32 s10, s27
; %bb.16410:                            ;   in Loop: Header=BB6_13467 Depth=2
	v_or_b32_e32 v76, 0x7f, v11
; %bb.16411:                            ;   in Loop: Header=BB6_13467 Depth=2
	s_or_b32 exec_lo, exec_lo, s10
	v_lshrrev_b16 v11, 8, v54
	v_mov_b32_e32 v10, 0
	s_mov_b32 s10, exec_lo
	s_delay_alu instid0(VALU_DEP_2)
	v_cmpx_ne_u16_e32 0, v11
	s_cbranch_execz .LBB6_16419
; %bb.16412:                            ;   in Loop: Header=BB6_13467 Depth=2
	v_bfrev_b32_e32 v10, 1
	s_mov_b32 s27, exec_lo
	v_cmpx_ne_u16_e32 0x80, v11
	s_cbranch_execz .LBB6_16418
; %bb.16413:                            ;   in Loop: Header=BB6_13467 Depth=2
	v_and_b32_e32 v11, 0xffff, v11
	v_mov_b32_e32 v10, 0x7f800001
	s_mov_b32 s28, exec_lo
	s_delay_alu instid0(VALU_DEP_2) | instskip(NEXT) | instid1(VALU_DEP_1)
	v_and_b32_e32 v15, 0x7f, v11
	v_cmpx_ne_u32_e32 0x7f, v15
	s_cbranch_execz .LBB6_16417
; %bb.16414:                            ;   in Loop: Header=BB6_13467 Depth=2
	v_dual_mov_b32 v11, v55 :: v_dual_bitop2_b32 v10, 7, v11 bitop3:0x40
	v_lshrrev_b32_e32 v14, 3, v15
	s_mov_b32 s29, exec_lo
	v_cmpx_gt_u32_e32 8, v15
; %bb.16415:                            ;   in Loop: Header=BB6_13467 Depth=2
	s_delay_alu instid0(VALU_DEP_3) | instskip(NEXT) | instid1(VALU_DEP_1)
	v_clz_i32_u32_e32 v14, v10
	v_min_u32_e32 v14, 32, v14
	s_delay_alu instid0(VALU_DEP_1) | instskip(SKIP_1) | instid1(VALU_DEP_2)
	v_subrev_nc_u32_e32 v15, 28, v14
	v_sub_nc_u32_e32 v14, 29, v14
	v_lshlrev_b64_e32 v[10:11], v15, v[10:11]
	s_delay_alu instid0(VALU_DEP_1)
	v_and_b32_e32 v10, 7, v10
; %bb.16416:                            ;   in Loop: Header=BB6_13467 Depth=2
	s_or_b32 exec_lo, exec_lo, s29
	v_lshlrev_b32_e32 v11, 16, v54
	s_delay_alu instid0(VALU_DEP_2) | instskip(SKIP_1) | instid1(VALU_DEP_3)
	v_lshlrev_b32_e32 v10, 20, v10
	v_lshl_add_u32 v14, v14, 23, 0x3c000000
	v_and_b32_e32 v11, 0x80000000, v11
	s_delay_alu instid0(VALU_DEP_1)
	v_or3_b32 v10, v10, v11, v14
.LBB6_16417:                            ;   in Loop: Header=BB6_13467 Depth=2
	s_or_b32 exec_lo, exec_lo, s28
.LBB6_16418:                            ;   in Loop: Header=BB6_13467 Depth=2
	s_delay_alu instid0(SALU_CYCLE_1)
	s_or_b32 exec_lo, exec_lo, s27
.LBB6_16419:                            ;   in Loop: Header=BB6_13467 Depth=2
	s_delay_alu instid0(SALU_CYCLE_1) | instskip(NEXT) | instid1(VALU_DEP_1)
	s_or_b32 exec_lo, exec_lo, s10
	v_mul_f32_e32 v10, s26, v10
                                        ; implicit-def: $vgpr77
	s_mov_b32 s10, exec_lo
	s_delay_alu instid0(VALU_DEP_1) | instskip(SKIP_1) | instid1(VALU_DEP_2)
	v_and_b32_e32 v54, 0x7f800000, v10
	v_lshrrev_b32_e32 v11, 24, v10
	v_cmpx_ne_u64_e32 0x7f800000, v[54:55]
	s_xor_b32 s27, exec_lo, s10
	s_cbranch_execz .LBB6_16433
; %bb.16420:                            ;   in Loop: Header=BB6_13467 Depth=2
	v_and_b32_e32 v54, 0x7fffffff, v10
	v_and_b32_e32 v16, 0x80, v11
                                        ; implicit-def: $vgpr77
	s_mov_b32 s10, exec_lo
	s_delay_alu instid0(VALU_DEP_2)
	v_cmpx_gt_u64_e32 0x43e00001, v[54:55]
	s_xor_b32 s28, exec_lo, s10
	s_cbranch_execz .LBB6_16430
; %bb.16421:                            ;   in Loop: Header=BB6_13467 Depth=2
	v_mov_b32_e32 v77, 0
	s_mov_b32 s29, exec_lo
	v_cmpx_ne_u32_e32 0, v10
	s_cbranch_execz .LBB6_16429
; %bb.16422:                            ;   in Loop: Header=BB6_13467 Depth=2
	v_bfe_u32 v17, v10, 23, 8
	v_and_b32_e32 v11, 0x7fffff, v10
	s_delay_alu instid0(VALU_DEP_2) | instskip(SKIP_2) | instid1(VALU_DEP_4)
	v_cmp_gt_u32_e64 s10, 0x7a, v17
	v_sub_nc_u32_e32 v10, 0x79, v17
	v_cmp_eq_u32_e32 vcc_lo, 0, v17
	v_or_b32_e32 v14, 0x800000, v11
	s_delay_alu instid0(VALU_DEP_1) | instskip(NEXT) | instid1(VALU_DEP_1)
	v_dual_cndmask_b32 v10, 0, v10, s10 :: v_dual_cndmask_b32 v54, v14, v11, vcc_lo
	v_cndmask_b32_e64 v77, v10, 0x78, vcc_lo
	s_delay_alu instid0(VALU_DEP_1) | instskip(NEXT) | instid1(VALU_DEP_1)
	v_dual_add_nc_u32 v10, 20, v77 :: v_dual_add_nc_u32 v14, 19, v77
	v_lshlrev_b64_e64 v[10:11], v10, -1
	s_delay_alu instid0(VALU_DEP_2) | instskip(NEXT) | instid1(VALU_DEP_2)
	v_lshlrev_b64_e64 v[14:15], v14, 1
	v_bfi_b32 v11, v11, 0, 0
	s_delay_alu instid0(VALU_DEP_3) | instskip(NEXT) | instid1(VALU_DEP_1)
	v_bfi_b32 v10, v10, 0, v54
	v_cmp_eq_u64_e64 s10, v[10:11], v[14:15]
	v_lshrrev_b64 v[10:11], v77, v[54:55]
	s_delay_alu instid0(VALU_DEP_1)
	v_mov_b64_e32 v[14:15], v[10:11]
	s_and_saveexec_b32 s40, s10
; %bb.16423:                            ;   in Loop: Header=BB6_13467 Depth=2
	v_bfe_u32 v54, v10, 20, 1
	s_delay_alu instid0(VALU_DEP_1) | instskip(NEXT) | instid1(VALU_DEP_1)
	v_add_nc_u64_e32 v[14:15], v[10:11], v[54:55]
	v_add_nc_u64_e32 v[14:15], -1, v[14:15]
; %bb.16424:                            ;   in Loop: Header=BB6_13467 Depth=2
	s_or_b32 exec_lo, exec_lo, s40
	v_add_nc_u32_e32 v11, 0xffffff81, v17
	v_lshrrev_b32_e32 v15, 23, v10
	s_mov_b32 s10, exec_lo
	s_delay_alu instid0(VALU_DEP_2) | instskip(NEXT) | instid1(VALU_DEP_1)
	v_cndmask_b32_e64 v11, v11, 0xffffff82, vcc_lo
	v_add3_u32 v17, v77, v11, v15
	v_and_b32_e32 v11, 0xfffff, v14
                                        ; implicit-def: $vgpr14
	s_delay_alu instid0(VALU_DEP_1) | instskip(NEXT) | instid1(VALU_DEP_1)
	v_dual_add_nc_u32 v15, 6, v17 :: v_dual_add_nc_u32 v54, v11, v10
                                        ; implicit-def: $vgpr10_vgpr11
	v_cmpx_ne_u32_e32 0, v15
	s_xor_b32 s10, exec_lo, s10
; %bb.16425:                            ;   in Loop: Header=BB6_13467 Depth=2
	s_delay_alu instid0(VALU_DEP_2) | instskip(SKIP_1) | instid1(VALU_DEP_1)
	v_cmp_lt_u64_e32 vcc_lo, 0xffffff, v[54:55]
	v_add_nc_u32_e32 v10, 7, v17
	v_cndmask_b32_e32 v14, v15, v10, vcc_lo
	v_cndmask_b32_e64 v10, 0, 1, vcc_lo
	s_delay_alu instid0(VALU_DEP_1)
	v_lshrrev_b64 v[10:11], v10, v[54:55]
; %bb.16426:                            ;   in Loop: Header=BB6_13467 Depth=2
	s_and_not1_saveexec_b32 s10, s10
; %bb.16427:                            ;   in Loop: Header=BB6_13467 Depth=2
	v_mov_b64_e32 v[10:11], v[54:55]
	v_bfe_u32 v14, v54, 23, 1
; %bb.16428:                            ;   in Loop: Header=BB6_13467 Depth=2
	s_or_b32 exec_lo, exec_lo, s10
	s_delay_alu instid0(VALU_DEP_2) | instskip(NEXT) | instid1(VALU_DEP_2)
	v_lshrrev_b64 v[10:11], 20, v[10:11]
	v_cmp_gt_i32_e32 vcc_lo, 16, v14
	v_min_i32_e32 v15, 15, v14
	v_cmp_eq_u32_e64 s10, 0, v14
	s_delay_alu instid0(VALU_DEP_4) | instskip(NEXT) | instid1(VALU_DEP_3)
	v_cndmask_b32_e32 v11, 0, v11, vcc_lo
	v_dual_cndmask_b32 v10, 7, v10 :: v_dual_lshlrev_b32 v15, 3, v15
	s_delay_alu instid0(VALU_DEP_1) | instskip(NEXT) | instid1(VALU_DEP_2)
	v_and_b32_e32 v15, 0xf8, v15
	v_cmp_eq_u64_e32 vcc_lo, 0, v[10:11]
	s_delay_alu instid0(VALU_DEP_2)
	v_and_or_b32 v10, v10, 7, v15
	s_and_b32 s10, s10, vcc_lo
	s_delay_alu instid0(VALU_DEP_1) | instid1(SALU_CYCLE_1)
	v_cndmask_b32_e64 v10, v10, 0, s10
	s_delay_alu instid0(VALU_DEP_1)
	v_or_b32_e32 v77, v10, v16
.LBB6_16429:                            ;   in Loop: Header=BB6_13467 Depth=2
	s_or_b32 exec_lo, exec_lo, s29
                                        ; implicit-def: $vgpr16
.LBB6_16430:                            ;   in Loop: Header=BB6_13467 Depth=2
	s_and_not1_saveexec_b32 s10, s28
; %bb.16431:                            ;   in Loop: Header=BB6_13467 Depth=2
	v_or_b32_e32 v77, 0x7e, v16
; %bb.16432:                            ;   in Loop: Header=BB6_13467 Depth=2
	s_or_b32 exec_lo, exec_lo, s10
                                        ; implicit-def: $vgpr11
.LBB6_16433:                            ;   in Loop: Header=BB6_13467 Depth=2
	s_and_not1_saveexec_b32 s10, s27
; %bb.16434:                            ;   in Loop: Header=BB6_13467 Depth=2
	v_or_b32_e32 v77, 0x7f, v11
; %bb.16435:                            ;   in Loop: Header=BB6_13467 Depth=2
	s_or_b32 exec_lo, exec_lo, s10
	v_dual_mov_b32 v11, 0 :: v_dual_lshrrev_b32 v10, 16, v13
	s_mov_b32 s10, exec_lo
	s_delay_alu instid0(VALU_DEP_1) | instskip(NEXT) | instid1(VALU_DEP_1)
	v_and_b32_e32 v14, 0xff, v10
	v_cmpx_ne_u16_e32 0, v14
	s_cbranch_execz .LBB6_16443
; %bb.16436:                            ;   in Loop: Header=BB6_13467 Depth=2
	v_bfrev_b32_e32 v11, 1
	s_mov_b32 s27, exec_lo
	v_cmpx_ne_u16_e32 0x80, v14
	s_cbranch_execz .LBB6_16442
; %bb.16437:                            ;   in Loop: Header=BB6_13467 Depth=2
	v_bfe_u32 v14, v13, 16, 7
	v_mov_b32_e32 v11, 0x7f800001
	s_mov_b32 s28, exec_lo
	s_delay_alu instid0(VALU_DEP_2)
	v_cmpx_ne_u32_e32 0x7f, v14
	s_cbranch_execz .LBB6_16441
; %bb.16438:                            ;   in Loop: Header=BB6_13467 Depth=2
	v_and_b32_e32 v54, 7, v10
	v_lshrrev_b32_e32 v11, 3, v14
	s_mov_b32 s29, exec_lo
	v_cmpx_gt_u32_e32 8, v14
; %bb.16439:                            ;   in Loop: Header=BB6_13467 Depth=2
	s_delay_alu instid0(VALU_DEP_3) | instskip(NEXT) | instid1(VALU_DEP_1)
	v_clz_i32_u32_e32 v11, v54
	v_min_u32_e32 v11, 32, v11
	s_delay_alu instid0(VALU_DEP_1) | instskip(NEXT) | instid1(VALU_DEP_1)
	v_subrev_nc_u32_e32 v14, 28, v11
	v_lshlrev_b64_e32 v[14:15], v14, v[54:55]
	s_delay_alu instid0(VALU_DEP_1)
	v_dual_sub_nc_u32 v11, 29, v11 :: v_dual_bitop2_b32 v54, 7, v14 bitop3:0x40
; %bb.16440:                            ;   in Loop: Header=BB6_13467 Depth=2
	s_or_b32 exec_lo, exec_lo, s29
	v_lshlrev_b32_e32 v10, 24, v10
	s_delay_alu instid0(VALU_DEP_2) | instskip(NEXT) | instid1(VALU_DEP_3)
	v_lshlrev_b32_e32 v14, 20, v54
	v_lshl_add_u32 v11, v11, 23, 0x3c000000
	s_delay_alu instid0(VALU_DEP_3) | instskip(NEXT) | instid1(VALU_DEP_1)
	v_and_b32_e32 v10, 0x80000000, v10
	v_or3_b32 v11, v14, v10, v11
.LBB6_16441:                            ;   in Loop: Header=BB6_13467 Depth=2
	s_or_b32 exec_lo, exec_lo, s28
.LBB6_16442:                            ;   in Loop: Header=BB6_13467 Depth=2
	s_delay_alu instid0(SALU_CYCLE_1)
	s_or_b32 exec_lo, exec_lo, s27
.LBB6_16443:                            ;   in Loop: Header=BB6_13467 Depth=2
	s_delay_alu instid0(SALU_CYCLE_1) | instskip(NEXT) | instid1(VALU_DEP_1)
	s_or_b32 exec_lo, exec_lo, s10
	v_mul_f32_e32 v10, s26, v11
                                        ; implicit-def: $vgpr78
	s_mov_b32 s10, exec_lo
	s_delay_alu instid0(VALU_DEP_1) | instskip(SKIP_1) | instid1(VALU_DEP_2)
	v_and_b32_e32 v54, 0x7f800000, v10
	v_lshrrev_b32_e32 v11, 24, v10
	v_cmpx_ne_u64_e32 0x7f800000, v[54:55]
	s_xor_b32 s27, exec_lo, s10
	s_cbranch_execz .LBB6_16457
; %bb.16444:                            ;   in Loop: Header=BB6_13467 Depth=2
	v_and_b32_e32 v54, 0x7fffffff, v10
	v_and_b32_e32 v16, 0x80, v11
                                        ; implicit-def: $vgpr78
	s_mov_b32 s10, exec_lo
	s_delay_alu instid0(VALU_DEP_2)
	v_cmpx_gt_u64_e32 0x43e00001, v[54:55]
	s_xor_b32 s28, exec_lo, s10
	s_cbranch_execz .LBB6_16454
; %bb.16445:                            ;   in Loop: Header=BB6_13467 Depth=2
	v_mov_b32_e32 v78, 0
	s_mov_b32 s29, exec_lo
	v_cmpx_ne_u32_e32 0, v10
	s_cbranch_execz .LBB6_16453
; %bb.16446:                            ;   in Loop: Header=BB6_13467 Depth=2
	v_bfe_u32 v17, v10, 23, 8
	v_and_b32_e32 v11, 0x7fffff, v10
	s_delay_alu instid0(VALU_DEP_2) | instskip(SKIP_2) | instid1(VALU_DEP_4)
	v_cmp_gt_u32_e64 s10, 0x7a, v17
	v_sub_nc_u32_e32 v10, 0x79, v17
	v_cmp_eq_u32_e32 vcc_lo, 0, v17
	v_or_b32_e32 v14, 0x800000, v11
	s_delay_alu instid0(VALU_DEP_1) | instskip(NEXT) | instid1(VALU_DEP_1)
	v_dual_cndmask_b32 v10, 0, v10, s10 :: v_dual_cndmask_b32 v54, v14, v11, vcc_lo
	v_cndmask_b32_e64 v78, v10, 0x78, vcc_lo
	s_delay_alu instid0(VALU_DEP_1) | instskip(NEXT) | instid1(VALU_DEP_1)
	v_dual_add_nc_u32 v10, 20, v78 :: v_dual_add_nc_u32 v14, 19, v78
	v_lshlrev_b64_e64 v[10:11], v10, -1
	s_delay_alu instid0(VALU_DEP_2) | instskip(NEXT) | instid1(VALU_DEP_2)
	v_lshlrev_b64_e64 v[14:15], v14, 1
	v_bfi_b32 v11, v11, 0, 0
	s_delay_alu instid0(VALU_DEP_3) | instskip(NEXT) | instid1(VALU_DEP_1)
	v_bfi_b32 v10, v10, 0, v54
	v_cmp_eq_u64_e64 s10, v[10:11], v[14:15]
	v_lshrrev_b64 v[10:11], v78, v[54:55]
	s_delay_alu instid0(VALU_DEP_1)
	v_mov_b64_e32 v[14:15], v[10:11]
	s_and_saveexec_b32 s40, s10
; %bb.16447:                            ;   in Loop: Header=BB6_13467 Depth=2
	v_bfe_u32 v54, v10, 20, 1
	s_delay_alu instid0(VALU_DEP_1) | instskip(NEXT) | instid1(VALU_DEP_1)
	v_add_nc_u64_e32 v[14:15], v[10:11], v[54:55]
	v_add_nc_u64_e32 v[14:15], -1, v[14:15]
; %bb.16448:                            ;   in Loop: Header=BB6_13467 Depth=2
	s_or_b32 exec_lo, exec_lo, s40
	v_add_nc_u32_e32 v11, 0xffffff81, v17
	v_lshrrev_b32_e32 v15, 23, v10
	s_mov_b32 s10, exec_lo
	s_delay_alu instid0(VALU_DEP_2) | instskip(NEXT) | instid1(VALU_DEP_1)
	v_cndmask_b32_e64 v11, v11, 0xffffff82, vcc_lo
	v_add3_u32 v17, v78, v11, v15
	v_and_b32_e32 v11, 0xfffff, v14
                                        ; implicit-def: $vgpr14
	s_delay_alu instid0(VALU_DEP_1) | instskip(NEXT) | instid1(VALU_DEP_1)
	v_dual_add_nc_u32 v15, 6, v17 :: v_dual_add_nc_u32 v54, v11, v10
                                        ; implicit-def: $vgpr10_vgpr11
	v_cmpx_ne_u32_e32 0, v15
	s_xor_b32 s10, exec_lo, s10
; %bb.16449:                            ;   in Loop: Header=BB6_13467 Depth=2
	s_delay_alu instid0(VALU_DEP_2) | instskip(SKIP_1) | instid1(VALU_DEP_1)
	v_cmp_lt_u64_e32 vcc_lo, 0xffffff, v[54:55]
	v_add_nc_u32_e32 v10, 7, v17
	v_cndmask_b32_e32 v14, v15, v10, vcc_lo
	v_cndmask_b32_e64 v10, 0, 1, vcc_lo
	s_delay_alu instid0(VALU_DEP_1)
	v_lshrrev_b64 v[10:11], v10, v[54:55]
; %bb.16450:                            ;   in Loop: Header=BB6_13467 Depth=2
	s_and_not1_saveexec_b32 s10, s10
; %bb.16451:                            ;   in Loop: Header=BB6_13467 Depth=2
	v_mov_b64_e32 v[10:11], v[54:55]
	v_bfe_u32 v14, v54, 23, 1
; %bb.16452:                            ;   in Loop: Header=BB6_13467 Depth=2
	s_or_b32 exec_lo, exec_lo, s10
	s_delay_alu instid0(VALU_DEP_2) | instskip(NEXT) | instid1(VALU_DEP_2)
	v_lshrrev_b64 v[10:11], 20, v[10:11]
	v_cmp_gt_i32_e32 vcc_lo, 16, v14
	v_min_i32_e32 v15, 15, v14
	v_cmp_eq_u32_e64 s10, 0, v14
	s_delay_alu instid0(VALU_DEP_4) | instskip(NEXT) | instid1(VALU_DEP_3)
	v_cndmask_b32_e32 v11, 0, v11, vcc_lo
	v_dual_cndmask_b32 v10, 7, v10 :: v_dual_lshlrev_b32 v15, 3, v15
	s_delay_alu instid0(VALU_DEP_1) | instskip(NEXT) | instid1(VALU_DEP_2)
	v_and_b32_e32 v15, 0xf8, v15
	v_cmp_eq_u64_e32 vcc_lo, 0, v[10:11]
	s_delay_alu instid0(VALU_DEP_2)
	v_and_or_b32 v10, v10, 7, v15
	s_and_b32 s10, s10, vcc_lo
	s_delay_alu instid0(VALU_DEP_1) | instid1(SALU_CYCLE_1)
	v_cndmask_b32_e64 v10, v10, 0, s10
	s_delay_alu instid0(VALU_DEP_1)
	v_or_b32_e32 v78, v10, v16
.LBB6_16453:                            ;   in Loop: Header=BB6_13467 Depth=2
	s_or_b32 exec_lo, exec_lo, s29
                                        ; implicit-def: $vgpr16
.LBB6_16454:                            ;   in Loop: Header=BB6_13467 Depth=2
	s_and_not1_saveexec_b32 s10, s28
; %bb.16455:                            ;   in Loop: Header=BB6_13467 Depth=2
	v_or_b32_e32 v78, 0x7e, v16
; %bb.16456:                            ;   in Loop: Header=BB6_13467 Depth=2
	s_or_b32 exec_lo, exec_lo, s10
                                        ; implicit-def: $vgpr11
.LBB6_16457:                            ;   in Loop: Header=BB6_13467 Depth=2
	s_and_not1_saveexec_b32 s10, s27
; %bb.16458:                            ;   in Loop: Header=BB6_13467 Depth=2
	v_or_b32_e32 v78, 0x7f, v11
; %bb.16459:                            ;   in Loop: Header=BB6_13467 Depth=2
	s_or_b32 exec_lo, exec_lo, s10
	v_mov_b32_e32 v11, 0
	s_mov_b32 s10, exec_lo
	v_cmpx_lt_u64_e64 s[12:13], v[12:13]
	s_cbranch_execz .LBB6_16467
; %bb.16460:                            ;   in Loop: Header=BB6_13467 Depth=2
	v_lshrrev_b32_e32 v10, 24, v13
	v_bfrev_b32_e32 v11, 1
	s_mov_b32 s27, exec_lo
	s_delay_alu instid0(VALU_DEP_2)
	v_cmpx_ne_u32_e32 0x80, v10
	s_cbranch_execz .LBB6_16466
; %bb.16461:                            ;   in Loop: Header=BB6_13467 Depth=2
	v_bfe_u32 v12, v13, 24, 7
	v_mov_b32_e32 v11, 0x7f800001
	s_mov_b32 s28, exec_lo
	s_delay_alu instid0(VALU_DEP_2)
	v_cmpx_ne_u32_e32 0x7f, v12
	s_cbranch_execz .LBB6_16465
; %bb.16462:                            ;   in Loop: Header=BB6_13467 Depth=2
	v_dual_lshrrev_b32 v11, 3, v12 :: v_dual_bitop2_b32 v54, 7, v10 bitop3:0x40
	s_mov_b32 s29, exec_lo
	v_cmpx_gt_u32_e32 8, v12
; %bb.16463:                            ;   in Loop: Header=BB6_13467 Depth=2
	s_delay_alu instid0(VALU_DEP_2) | instskip(NEXT) | instid1(VALU_DEP_1)
	v_clz_i32_u32_e32 v11, v54
	v_min_u32_e32 v11, 32, v11
	s_delay_alu instid0(VALU_DEP_1) | instskip(NEXT) | instid1(VALU_DEP_1)
	v_subrev_nc_u32_e32 v12, 28, v11
	v_lshlrev_b64_e32 v[12:13], v12, v[54:55]
	s_delay_alu instid0(VALU_DEP_1)
	v_dual_sub_nc_u32 v11, 29, v11 :: v_dual_bitop2_b32 v54, 7, v12 bitop3:0x40
; %bb.16464:                            ;   in Loop: Header=BB6_13467 Depth=2
	s_or_b32 exec_lo, exec_lo, s29
	v_lshlrev_b32_e32 v10, 24, v10
	s_delay_alu instid0(VALU_DEP_2) | instskip(NEXT) | instid1(VALU_DEP_3)
	v_lshlrev_b32_e32 v12, 20, v54
	v_lshl_add_u32 v11, v11, 23, 0x3c000000
	s_delay_alu instid0(VALU_DEP_3) | instskip(NEXT) | instid1(VALU_DEP_1)
	v_and_b32_e32 v10, 0x80000000, v10
	v_or3_b32 v11, v12, v10, v11
.LBB6_16465:                            ;   in Loop: Header=BB6_13467 Depth=2
	s_or_b32 exec_lo, exec_lo, s28
.LBB6_16466:                            ;   in Loop: Header=BB6_13467 Depth=2
	s_delay_alu instid0(SALU_CYCLE_1)
	s_or_b32 exec_lo, exec_lo, s27
.LBB6_16467:                            ;   in Loop: Header=BB6_13467 Depth=2
	s_delay_alu instid0(SALU_CYCLE_1) | instskip(NEXT) | instid1(VALU_DEP_1)
	s_or_b32 exec_lo, exec_lo, s10
	v_mul_f32_e32 v10, s26, v11
	s_delay_alu instid0(VALU_DEP_1) | instskip(SKIP_1) | instid1(VALU_DEP_2)
	v_and_b32_e32 v54, 0x7f800000, v10
	v_lshrrev_b32_e32 v11, 24, v10
	v_cmp_ne_u64_e32 vcc_lo, 0x7f800000, v[54:55]
                                        ; implicit-def: $vgpr54
	s_and_saveexec_b32 s10, vcc_lo
	s_delay_alu instid0(SALU_CYCLE_1)
	s_xor_b32 s26, exec_lo, s10
	s_cbranch_execz .LBB6_16481
; %bb.16468:                            ;   in Loop: Header=BB6_13467 Depth=2
	v_and_b32_e32 v54, 0x7fffffff, v10
	v_and_b32_e32 v14, 0x80, v11
	s_delay_alu instid0(VALU_DEP_2) | instskip(SKIP_1) | instid1(SALU_CYCLE_1)
	v_cmp_gt_u64_e32 vcc_lo, 0x43e00001, v[54:55]
                                        ; implicit-def: $vgpr54
	s_and_saveexec_b32 s10, vcc_lo
	s_xor_b32 s27, exec_lo, s10
	s_cbranch_execz .LBB6_16478
; %bb.16469:                            ;   in Loop: Header=BB6_13467 Depth=2
	v_mov_b32_e32 v54, 0
	s_mov_b32 s28, exec_lo
	v_cmpx_ne_u32_e32 0, v10
	s_cbranch_execz .LBB6_16477
; %bb.16470:                            ;   in Loop: Header=BB6_13467 Depth=2
	v_bfe_u32 v15, v10, 23, 8
	v_and_b32_e32 v11, 0x7fffff, v10
	s_delay_alu instid0(VALU_DEP_2) | instskip(SKIP_2) | instid1(VALU_DEP_4)
	v_cmp_gt_u32_e64 s10, 0x7a, v15
	v_sub_nc_u32_e32 v10, 0x79, v15
	v_cmp_eq_u32_e32 vcc_lo, 0, v15
	v_or_b32_e32 v12, 0x800000, v11
	s_delay_alu instid0(VALU_DEP_1) | instskip(NEXT) | instid1(VALU_DEP_1)
	v_dual_cndmask_b32 v10, 0, v10, s10 :: v_dual_cndmask_b32 v54, v12, v11, vcc_lo
	v_cndmask_b32_e64 v16, v10, 0x78, vcc_lo
	s_delay_alu instid0(VALU_DEP_1) | instskip(NEXT) | instid1(VALU_DEP_1)
	v_dual_add_nc_u32 v10, 20, v16 :: v_dual_add_nc_u32 v12, 19, v16
	v_lshlrev_b64_e64 v[10:11], v10, -1
	s_delay_alu instid0(VALU_DEP_2) | instskip(NEXT) | instid1(VALU_DEP_2)
	v_lshlrev_b64_e64 v[12:13], v12, 1
	v_bfi_b32 v11, v11, 0, 0
	s_delay_alu instid0(VALU_DEP_3) | instskip(NEXT) | instid1(VALU_DEP_1)
	v_bfi_b32 v10, v10, 0, v54
	v_cmp_eq_u64_e64 s10, v[10:11], v[12:13]
	v_lshrrev_b64 v[10:11], v16, v[54:55]
	s_delay_alu instid0(VALU_DEP_1)
	v_mov_b64_e32 v[12:13], v[10:11]
	s_and_saveexec_b32 s29, s10
; %bb.16471:                            ;   in Loop: Header=BB6_13467 Depth=2
	v_bfe_u32 v54, v10, 20, 1
	s_delay_alu instid0(VALU_DEP_1) | instskip(NEXT) | instid1(VALU_DEP_1)
	v_add_nc_u64_e32 v[12:13], v[10:11], v[54:55]
	v_add_nc_u64_e32 v[12:13], -1, v[12:13]
; %bb.16472:                            ;   in Loop: Header=BB6_13467 Depth=2
	s_or_b32 exec_lo, exec_lo, s29
	v_add_nc_u32_e32 v11, 0xffffff81, v15
	v_lshrrev_b32_e32 v13, 23, v10
	s_mov_b32 s10, exec_lo
	s_delay_alu instid0(VALU_DEP_2) | instskip(NEXT) | instid1(VALU_DEP_1)
	v_cndmask_b32_e64 v11, v11, 0xffffff82, vcc_lo
	v_add3_u32 v15, v16, v11, v13
	v_and_b32_e32 v11, 0xfffff, v12
                                        ; implicit-def: $vgpr12
	s_delay_alu instid0(VALU_DEP_1) | instskip(NEXT) | instid1(VALU_DEP_1)
	v_dual_add_nc_u32 v13, 6, v15 :: v_dual_add_nc_u32 v54, v11, v10
                                        ; implicit-def: $vgpr10_vgpr11
	v_cmpx_ne_u32_e32 0, v13
	s_xor_b32 s10, exec_lo, s10
; %bb.16473:                            ;   in Loop: Header=BB6_13467 Depth=2
	s_delay_alu instid0(VALU_DEP_2) | instskip(SKIP_1) | instid1(VALU_DEP_1)
	v_cmp_lt_u64_e32 vcc_lo, 0xffffff, v[54:55]
	v_add_nc_u32_e32 v10, 7, v15
	v_cndmask_b32_e32 v12, v13, v10, vcc_lo
	v_cndmask_b32_e64 v10, 0, 1, vcc_lo
	s_delay_alu instid0(VALU_DEP_1)
	v_lshrrev_b64 v[10:11], v10, v[54:55]
; %bb.16474:                            ;   in Loop: Header=BB6_13467 Depth=2
	s_and_not1_saveexec_b32 s10, s10
; %bb.16475:                            ;   in Loop: Header=BB6_13467 Depth=2
	v_mov_b64_e32 v[10:11], v[54:55]
	v_bfe_u32 v12, v54, 23, 1
; %bb.16476:                            ;   in Loop: Header=BB6_13467 Depth=2
	s_or_b32 exec_lo, exec_lo, s10
	s_delay_alu instid0(VALU_DEP_2) | instskip(NEXT) | instid1(VALU_DEP_2)
	v_lshrrev_b64 v[10:11], 20, v[10:11]
	v_cmp_gt_i32_e32 vcc_lo, 16, v12
	v_min_i32_e32 v13, 15, v12
	v_cmp_eq_u32_e64 s10, 0, v12
	s_delay_alu instid0(VALU_DEP_2) | instskip(SKIP_1) | instid1(VALU_DEP_2)
	v_dual_cndmask_b32 v11, 0, v11, vcc_lo :: v_dual_lshlrev_b32 v13, 3, v13
	v_cndmask_b32_e32 v10, 7, v10, vcc_lo
	v_and_b32_e32 v13, 0xf8, v13
	s_delay_alu instid0(VALU_DEP_2) | instskip(NEXT) | instid1(VALU_DEP_2)
	v_cmp_eq_u64_e32 vcc_lo, 0, v[10:11]
	v_and_or_b32 v10, v10, 7, v13
	s_and_b32 s10, s10, vcc_lo
	s_delay_alu instid0(VALU_DEP_1) | instid1(SALU_CYCLE_1)
	v_cndmask_b32_e64 v10, v10, 0, s10
	s_delay_alu instid0(VALU_DEP_1)
	v_or_b32_e32 v54, v10, v14
.LBB6_16477:                            ;   in Loop: Header=BB6_13467 Depth=2
	s_or_b32 exec_lo, exec_lo, s28
                                        ; implicit-def: $vgpr14
.LBB6_16478:                            ;   in Loop: Header=BB6_13467 Depth=2
	s_and_not1_saveexec_b32 s10, s27
; %bb.16479:                            ;   in Loop: Header=BB6_13467 Depth=2
	v_or_b32_e32 v54, 0x7e, v14
; %bb.16480:                            ;   in Loop: Header=BB6_13467 Depth=2
	s_or_b32 exec_lo, exec_lo, s10
                                        ; implicit-def: $vgpr11
.LBB6_16481:                            ;   in Loop: Header=BB6_13467 Depth=2
	s_and_not1_saveexec_b32 s10, s26
	s_cbranch_execz .LBB6_13466
; %bb.16482:                            ;   in Loop: Header=BB6_13467 Depth=2
	v_or_b32_e32 v54, 0x7f, v11
	s_branch .LBB6_13466
.LBB6_16483:                            ;   in Loop: Header=BB6_13392 Depth=1
	s_or_b32 exec_lo, exec_lo, s23
	s_clause 0x5
	scratch_load_b64 v[70:71], off, s33 offset:364
	scratch_load_b32 v80, off, s33 offset:460
	scratch_load_b64 v[82:83], off, s33 offset:464
	scratch_load_b64 v[86:87], off, s33 offset:472
	;; [unrolled: 1-line block ×4, first 2 shown]
	v_mov_b32_e32 v81, 1
.LBB6_16484:                            ;   in Loop: Header=BB6_13392 Depth=1
	s_wait_xcnt 0x0
	s_or_b32 exec_lo, exec_lo, s11
	v_and_b32_e32 v4, 0x3ffff000, v88
	v_mov_b32_e32 v0, 0
	s_mov_b32 s10, 0
	s_mov_b32 s22, exec_lo
                                        ; implicit-def: $vgpr1
                                        ; implicit-def: $vgpr2
	s_delay_alu instid0(VALU_DEP_2)
	v_cmpx_ne_u32_e64 v88, v4
	s_cbranch_execz .LBB6_16874
; %bb.16485:                            ;   in Loop: Header=BB6_13392 Depth=1
	scratch_load_b32 v1, off, s33 offset:456 ; 4-byte Folded Reload
	v_lshlrev_b32_e32 v0, 5, v97
	v_bfe_u32 v7, v88, 9, 3
	v_and_b32_e32 v6, 0xfff, v88
	s_mov_b32 s23, exec_lo
	s_wait_loadcnt 0x0
	v_sub_nc_u32_e32 v0, v1, v0
	s_delay_alu instid0(VALU_DEP_1) | instskip(NEXT) | instid1(VALU_DEP_1)
	v_ashrrev_i32_e32 v1, 31, v0
	v_lshrrev_b32_e32 v1, 27, v1
	s_delay_alu instid0(VALU_DEP_1) | instskip(NEXT) | instid1(VALU_DEP_1)
	v_add_nc_u32_e32 v1, v0, v1
	v_and_b32_e32 v2, 0xffffffe0, v1
	s_delay_alu instid0(VALU_DEP_1) | instskip(SKIP_1) | instid1(VALU_DEP_2)
	v_dual_ashrrev_i32 v3, 5, v1 :: v_dual_sub_nc_u32 v2, v0, v2
	v_and_b32_e32 v0, 0x1ff, v88
	v_lshlrev_b32_e32 v1, 4, v2
	s_delay_alu instid0(VALU_DEP_2) | instskip(NEXT) | instid1(VALU_DEP_2)
	v_cmp_lt_u32_e64 s10, 15, v0
	v_lshl_add_u32 v5, v3, 9, v1
	s_delay_alu instid0(VALU_DEP_2) | instskip(NEXT) | instid1(VALU_DEP_1)
	v_add_co_ci_u32_e64 v7, null, 0, v7, s10
	v_dual_sub_nc_u32 v1, v6, v5 :: v_dual_sub_nc_u32 v3, v7, v3
	s_wait_xcnt 0x0
	s_delay_alu instid0(VALU_DEP_1)
	v_cmpx_lt_i32_e32 15, v1
	s_cbranch_execz .LBB6_16873
; %bb.16486:                            ;   in Loop: Header=BB6_13392 Depth=1
	s_trap 2
	scratch_load_b64 v[34:35], off, s33 offset:488 ; 8-byte Folded Reload
	ds_load_b64 v[6:7], v0
	v_add_nc_u32_e32 v14, v5, v4
	s_delay_alu instid0(VALU_DEP_1)
	v_ashrrev_i32_e32 v15, 31, v14
	s_wait_dscnt 0x0
	v_readfirstlane_b32 s26, v6
	v_readfirstlane_b32 s27, v7
	s_and_b32 s11, s26, 7
	s_and_b32 s28, s26, 0x7f
	s_clz_i32_u32 s11, s11
	s_bfe_u32 s24, s26, 0x40003
	s_min_u32 s11, s11, 32
	s_delay_alu instid0(SALU_CYCLE_1)
	s_sub_co_i32 s25, s11, 28
	s_sub_co_i32 s11, 29, s11
	s_cmp_lt_u32 s28, 8
	s_cselect_b32 s11, s11, s24
	s_cselect_b32 s24, s25, 0
	s_lshl_b32 s29, s26, 24
	s_lshl_b64 s[24:25], s[26:27], s24
	s_and_b32 s25, s29, 0x80000000
	s_lshl_b32 s24, s24, 20
	s_lshl_b32 s11, s11, 23
	s_and_b32 s24, s24, 0x700000
	s_add_co_i32 s11, s11, 0x3c000000
	s_or_b32 s24, s24, s25
	s_delay_alu instid0(SALU_CYCLE_1)
	s_or_b32 s11, s11, s24
	s_cmp_lg_u32 s28, 0x7f
	s_mov_b32 s24, 0
	s_cselect_b32 s25, s11, 0x7f800001
	s_and_b32 s26, s26, 0xff
	s_branch .LBB6_16488
.LBB6_16487:                            ;   in Loop: Header=BB6_16488 Depth=2
	s_or_b32 exec_lo, exec_lo, s11
	v_lshl_or_b32 v11, v9, 8, v8
	v_dual_lshlrev_b32 v12, 16, v18 :: v_dual_lshlrev_b32 v13, 24, v19
	v_sub_nc_u32_e32 v1, v1, v34
	v_lshl_or_b32 v4, v5, 8, v4
	v_dual_lshlrev_b32 v6, 16, v6 :: v_dual_lshlrev_b32 v7, 24, v7
	s_delay_alu instid0(VALU_DEP_4)
	v_or3_b32 v5, v11, v12, v13
	v_lshl_or_b32 v11, v21, 8, v20
	v_dual_lshlrev_b32 v12, 16, v22 :: v_dual_lshlrev_b32 v13, 24, v23
	v_dual_lshlrev_b32 v10, 24, v10 :: v_dual_lshlrev_b32 v16, 16, v16
	v_lshl_or_b32 v17, v25, 8, v24
	v_add_nc_u64_e32 v[8:9], v[100:101], v[14:15]
	v_cmp_gt_i32_e32 vcc_lo, 16, v1
	v_add_nc_u64_e32 v[14:15], v[14:15], v[34:35]
	v_or3_b32 v4, v4, v6, v7
	v_or3_b32 v6, v11, v12, v13
	v_or3_b32 v7, v17, v16, v10
	v_sub_nc_u32_e32 v3, v3, v70
	s_or_b32 s24, vcc_lo, s24
	global_store_b128 v[8:9], v[4:7], off th:TH_STORE_NT
	s_wait_xcnt 0x0
	s_and_not1_b32 exec_lo, exec_lo, s24
	s_cbranch_execz .LBB6_16872
.LBB6_16488:                            ;   Parent Loop BB6_13392 Depth=1
                                        ; =>  This Inner Loop Header: Depth=2
	s_cmp_lt_i32 s26, 0x80
	s_cbranch_scc1 .LBB6_16492
; %bb.16489:                            ;   in Loop: Header=BB6_16488 Depth=2
	s_and_b32 s11, 0xffff, s26
	s_delay_alu instid0(SALU_CYCLE_1)
	s_cmp_eq_u32 s11, 0x80
	s_mov_b32 s11, -1
	s_cbranch_scc0 .LBB6_16491
; %bb.16490:                            ;   in Loop: Header=BB6_16488 Depth=2
	s_mov_b32 s11, 0
.LBB6_16491:                            ;   in Loop: Header=BB6_16488 Depth=2
	s_brev_b32 s27, 1
	s_branch .LBB6_16494
.LBB6_16492:                            ;   in Loop: Header=BB6_16488 Depth=2
	s_mov_b32 s11, 0
	s_brev_b32 s27, 1
	s_cbranch_execz .LBB6_16494
; %bb.16493:                            ;   in Loop: Header=BB6_16488 Depth=2
	s_and_b32 s11, 0xffff, s26
	s_mov_b32 s27, 0
	s_cmp_lg_u32 s11, 0
	s_cselect_b32 s11, -1, 0
.LBB6_16494:                            ;   in Loop: Header=BB6_16488 Depth=2
	s_delay_alu instid0(SALU_CYCLE_1)
	s_and_not1_b32 vcc_lo, exec_lo, s11
	s_cbranch_vccnz .LBB6_16496
; %bb.16495:                            ;   in Loop: Header=BB6_16488 Depth=2
	s_mov_b32 s27, s25
.LBB6_16496:                            ;   in Loop: Header=BB6_16488 Depth=2
	v_add_nc_u64_e32 v[4:5], v[98:99], v[14:15]
	s_mov_b32 s11, exec_lo
	global_load_b128 v[10:13], v[4:5], off th:TH_LOAD_NT
	s_wait_xcnt 0x0
	v_mov_b32_e32 v4, 0
	s_wait_loadcnt 0x0
	v_and_b32_e32 v5, 0xff, v10
	s_delay_alu instid0(VALU_DEP_1)
	v_cmpx_ne_u16_e32 0, v5
	s_cbranch_execz .LBB6_16502
; %bb.16497:                            ;   in Loop: Header=BB6_16488 Depth=2
	v_bfrev_b32_e32 v4, 1
	s_mov_b32 s28, exec_lo
	v_cmpx_ne_u16_e32 0x80, v5
	s_cbranch_execz .LBB6_16501
; %bb.16498:                            ;   in Loop: Header=BB6_16488 Depth=2
	v_and_b32_e32 v5, 0x7f, v10
	v_mov_b32_e32 v4, 0x7f800001
	s_mov_b32 s29, exec_lo
	s_delay_alu instid0(VALU_DEP_2)
	v_cmpx_ne_u32_e32 0x7f, v5
	s_cbranch_execz .LBB6_16500
; %bb.16499:                            ;   in Loop: Header=BB6_16488 Depth=2
	v_dual_lshrrev_b32 v6, 3, v5 :: v_dual_bitop2_b32 v4, 7, v10 bitop3:0x40
	v_cmp_gt_u32_e32 vcc_lo, 8, v5
	s_delay_alu instid0(VALU_DEP_2) | instskip(NEXT) | instid1(VALU_DEP_1)
	v_clz_i32_u32_e32 v4, v4
	v_min_u32_e32 v4, 32, v4
	s_delay_alu instid0(VALU_DEP_1) | instskip(SKIP_1) | instid1(VALU_DEP_1)
	v_subrev_nc_u32_e32 v7, 28, v4
	v_sub_nc_u32_e32 v4, 29, v4
	v_dual_cndmask_b32 v6, v6, v4, vcc_lo :: v_dual_cndmask_b32 v4, 0, v7, vcc_lo
	s_delay_alu instid0(VALU_DEP_1) | instskip(NEXT) | instid1(VALU_DEP_2)
	v_lshl_add_u32 v6, v6, 23, 0x3c000000
	v_lshlrev_b64_e32 v[4:5], v4, v[10:11]
	v_lshlrev_b32_e32 v5, 24, v10
	s_delay_alu instid0(VALU_DEP_1) | instskip(NEXT) | instid1(VALU_DEP_3)
	v_and_b32_e32 v5, 0x80000000, v5
	v_lshlrev_b32_e32 v4, 20, v4
	s_delay_alu instid0(VALU_DEP_1) | instskip(NEXT) | instid1(VALU_DEP_1)
	v_and_b32_e32 v4, 0x700000, v4
	v_or3_b32 v4, v4, v5, v6
.LBB6_16500:                            ;   in Loop: Header=BB6_16488 Depth=2
	s_or_b32 exec_lo, exec_lo, s29
.LBB6_16501:                            ;   in Loop: Header=BB6_16488 Depth=2
	s_delay_alu instid0(SALU_CYCLE_1)
	s_or_b32 exec_lo, exec_lo, s28
.LBB6_16502:                            ;   in Loop: Header=BB6_16488 Depth=2
	s_delay_alu instid0(SALU_CYCLE_1) | instskip(NEXT) | instid1(VALU_DEP_1)
	s_or_b32 exec_lo, exec_lo, s11
	v_mul_f32_e32 v6, s27, v4
                                        ; implicit-def: $vgpr4
	s_mov_b32 s11, exec_lo
	s_delay_alu instid0(VALU_DEP_1) | instskip(SKIP_1) | instid1(VALU_DEP_2)
	v_and_b32_e32 v54, 0x7f800000, v6
	v_lshrrev_b32_e32 v5, 24, v6
	v_cmpx_ne_u64_e32 0x7f800000, v[54:55]
	s_xor_b32 s28, exec_lo, s11
	s_cbranch_execz .LBB6_16516
; %bb.16503:                            ;   in Loop: Header=BB6_16488 Depth=2
	v_and_b32_e32 v54, 0x7fffffff, v6
	v_and_b32_e32 v5, 0x80, v5
                                        ; implicit-def: $vgpr4
	s_mov_b32 s11, exec_lo
	s_delay_alu instid0(VALU_DEP_2)
	v_cmpx_gt_u64_e32 0x43e00001, v[54:55]
	s_xor_b32 s29, exec_lo, s11
	s_cbranch_execz .LBB6_16513
; %bb.16504:                            ;   in Loop: Header=BB6_16488 Depth=2
	v_mov_b32_e32 v4, 0
	s_mov_b32 s40, exec_lo
	v_cmpx_ne_u32_e32 0, v6
	s_cbranch_execz .LBB6_16512
; %bb.16505:                            ;   in Loop: Header=BB6_16488 Depth=2
	v_bfe_u32 v4, v6, 23, 8
	v_and_b32_e32 v6, 0x7fffff, v6
	s_delay_alu instid0(VALU_DEP_2) | instskip(NEXT) | instid1(VALU_DEP_2)
	v_cmp_gt_u32_e32 vcc_lo, 0x7a, v4
	v_or_b32_e32 v16, 0x800000, v6
	v_sub_nc_u32_e32 v7, 0x79, v4
	s_delay_alu instid0(VALU_DEP_1) | instskip(SKIP_1) | instid1(VALU_DEP_2)
	v_cndmask_b32_e32 v7, 0, v7, vcc_lo
	v_cmp_eq_u32_e32 vcc_lo, 0, v4
	v_cndmask_b32_e64 v7, v7, 0x78, vcc_lo
	s_delay_alu instid0(VALU_DEP_1) | instskip(SKIP_1) | instid1(VALU_DEP_2)
	v_dual_cndmask_b32 v54, v16, v6, vcc_lo :: v_dual_add_nc_u32 v8, 20, v7
	v_add_nc_u32_e32 v17, 19, v7
	v_lshlrev_b64_e64 v[8:9], v8, -1
	s_delay_alu instid0(VALU_DEP_2) | instskip(NEXT) | instid1(VALU_DEP_4)
	v_lshlrev_b64_e64 v[18:19], v17, 1
	v_lshrrev_b64 v[16:17], v7, v[54:55]
	s_delay_alu instid0(VALU_DEP_3) | instskip(NEXT) | instid1(VALU_DEP_4)
	v_bfi_b32 v9, v9, 0, 0
	v_bfi_b32 v8, v8, 0, v54
	s_delay_alu instid0(VALU_DEP_1) | instskip(NEXT) | instid1(VALU_DEP_4)
	v_cmp_eq_u64_e64 s11, v[8:9], v[18:19]
	v_mov_b64_e32 v[18:19], v[16:17]
	s_and_saveexec_b32 s41, s11
; %bb.16506:                            ;   in Loop: Header=BB6_16488 Depth=2
	v_bfe_u32 v54, v16, 20, 1
	s_delay_alu instid0(VALU_DEP_1) | instskip(NEXT) | instid1(VALU_DEP_1)
	v_add_nc_u64_e32 v[8:9], v[16:17], v[54:55]
	v_add_nc_u64_e32 v[18:19], -1, v[8:9]
; %bb.16507:                            ;   in Loop: Header=BB6_16488 Depth=2
	s_or_b32 exec_lo, exec_lo, s41
	v_add_nc_u32_e32 v4, 0xffffff81, v4
	v_lshrrev_b32_e32 v6, 23, v16
	s_mov_b32 s11, exec_lo
	s_delay_alu instid0(VALU_DEP_2) | instskip(NEXT) | instid1(VALU_DEP_1)
	v_cndmask_b32_e64 v4, v4, 0xffffff82, vcc_lo
	v_add3_u32 v6, v7, v4, v6
	v_and_b32_e32 v4, 0xfffff, v18
	s_delay_alu instid0(VALU_DEP_1) | instskip(NEXT) | instid1(VALU_DEP_1)
	v_dual_add_nc_u32 v7, 6, v6 :: v_dual_add_nc_u32 v54, v4, v16
                                        ; implicit-def: $vgpr16_vgpr17
                                        ; implicit-def: $vgpr4
	v_cmpx_ne_u32_e32 0, v7
	s_xor_b32 s11, exec_lo, s11
; %bb.16508:                            ;   in Loop: Header=BB6_16488 Depth=2
	s_delay_alu instid0(VALU_DEP_2) | instskip(SKIP_2) | instid1(VALU_DEP_2)
	v_cmp_lt_u64_e32 vcc_lo, 0xffffff, v[54:55]
	v_add_nc_u32_e32 v4, 7, v6
	v_cndmask_b32_e64 v6, 0, 1, vcc_lo
	v_cndmask_b32_e32 v4, v7, v4, vcc_lo
	s_delay_alu instid0(VALU_DEP_2)
	v_lshrrev_b64 v[16:17], v6, v[54:55]
; %bb.16509:                            ;   in Loop: Header=BB6_16488 Depth=2
	s_and_not1_saveexec_b32 s11, s11
; %bb.16510:                            ;   in Loop: Header=BB6_16488 Depth=2
	v_mov_b64_e32 v[16:17], v[54:55]
	v_bfe_u32 v4, v54, 23, 1
; %bb.16511:                            ;   in Loop: Header=BB6_16488 Depth=2
	s_or_b32 exec_lo, exec_lo, s11
	s_delay_alu instid0(VALU_DEP_2) | instskip(NEXT) | instid1(VALU_DEP_2)
	v_lshrrev_b64 v[6:7], 20, v[16:17]
	v_cmp_gt_i32_e32 vcc_lo, 16, v4
	v_min_i32_e32 v8, 15, v4
	v_cmp_eq_u32_e64 s11, 0, v4
	s_delay_alu instid0(VALU_DEP_2) | instskip(SKIP_1) | instid1(VALU_DEP_2)
	v_dual_cndmask_b32 v7, 0, v7 :: v_dual_lshlrev_b32 v8, 3, v8
	v_cndmask_b32_e32 v6, 7, v6, vcc_lo
	v_and_b32_e32 v8, 0xf8, v8
	s_delay_alu instid0(VALU_DEP_2) | instskip(NEXT) | instid1(VALU_DEP_2)
	v_cmp_eq_u64_e32 vcc_lo, 0, v[6:7]
	v_and_or_b32 v4, v6, 7, v8
	s_and_b32 s11, s11, vcc_lo
	s_delay_alu instid0(VALU_DEP_1) | instid1(SALU_CYCLE_1)
	v_cndmask_b32_e64 v4, v4, 0, s11
	s_delay_alu instid0(VALU_DEP_1)
	v_or_b32_e32 v4, v4, v5
.LBB6_16512:                            ;   in Loop: Header=BB6_16488 Depth=2
	s_or_b32 exec_lo, exec_lo, s40
                                        ; implicit-def: $vgpr5
.LBB6_16513:                            ;   in Loop: Header=BB6_16488 Depth=2
	s_and_not1_saveexec_b32 s11, s29
; %bb.16514:                            ;   in Loop: Header=BB6_16488 Depth=2
	v_or_b32_e32 v4, 0x7e, v5
; %bb.16515:                            ;   in Loop: Header=BB6_16488 Depth=2
	s_or_b32 exec_lo, exec_lo, s11
                                        ; implicit-def: $vgpr5
.LBB6_16516:                            ;   in Loop: Header=BB6_16488 Depth=2
	s_and_not1_saveexec_b32 s11, s28
; %bb.16517:                            ;   in Loop: Header=BB6_16488 Depth=2
	v_or_b32_e32 v4, 0x7f, v5
; %bb.16518:                            ;   in Loop: Header=BB6_16488 Depth=2
	s_or_b32 exec_lo, exec_lo, s11
	v_lshrrev_b16 v6, 8, v10
	v_mov_b32_e32 v5, 0
	s_mov_b32 s11, exec_lo
	s_delay_alu instid0(VALU_DEP_2)
	v_cmpx_ne_u16_e32 0, v6
	s_cbranch_execz .LBB6_16526
; %bb.16519:                            ;   in Loop: Header=BB6_16488 Depth=2
	v_bfrev_b32_e32 v5, 1
	s_mov_b32 s28, exec_lo
	v_cmpx_ne_u16_e32 0x80, v6
	s_cbranch_execz .LBB6_16525
; %bb.16520:                            ;   in Loop: Header=BB6_16488 Depth=2
	v_and_b32_e32 v7, 0xffff, v6
	v_mov_b32_e32 v5, 0x7f800001
	s_mov_b32 s29, exec_lo
	s_delay_alu instid0(VALU_DEP_2) | instskip(NEXT) | instid1(VALU_DEP_1)
	v_and_b32_e32 v6, 0x7f, v7
	v_cmpx_ne_u32_e32 0x7f, v6
	s_cbranch_execz .LBB6_16524
; %bb.16521:                            ;   in Loop: Header=BB6_16488 Depth=2
	v_dual_lshrrev_b32 v5, 3, v6 :: v_dual_bitop2_b32 v54, 7, v7 bitop3:0x40
	s_mov_b32 s40, exec_lo
	v_cmpx_gt_u32_e32 8, v6
; %bb.16522:                            ;   in Loop: Header=BB6_16488 Depth=2
	s_delay_alu instid0(VALU_DEP_2) | instskip(NEXT) | instid1(VALU_DEP_1)
	v_clz_i32_u32_e32 v5, v54
	v_min_u32_e32 v5, 32, v5
	s_delay_alu instid0(VALU_DEP_1) | instskip(NEXT) | instid1(VALU_DEP_1)
	v_subrev_nc_u32_e32 v6, 28, v5
	v_lshlrev_b64_e32 v[6:7], v6, v[54:55]
	s_delay_alu instid0(VALU_DEP_1)
	v_dual_sub_nc_u32 v5, 29, v5 :: v_dual_bitop2_b32 v54, 7, v6 bitop3:0x40
; %bb.16523:                            ;   in Loop: Header=BB6_16488 Depth=2
	s_or_b32 exec_lo, exec_lo, s40
	v_lshlrev_b32_e32 v6, 16, v10
	s_delay_alu instid0(VALU_DEP_2) | instskip(NEXT) | instid1(VALU_DEP_3)
	v_lshlrev_b32_e32 v7, 20, v54
	v_lshl_add_u32 v5, v5, 23, 0x3c000000
	s_delay_alu instid0(VALU_DEP_3) | instskip(NEXT) | instid1(VALU_DEP_1)
	v_and_b32_e32 v6, 0x80000000, v6
	v_or3_b32 v5, v7, v6, v5
.LBB6_16524:                            ;   in Loop: Header=BB6_16488 Depth=2
	s_or_b32 exec_lo, exec_lo, s29
.LBB6_16525:                            ;   in Loop: Header=BB6_16488 Depth=2
	s_delay_alu instid0(SALU_CYCLE_1)
	s_or_b32 exec_lo, exec_lo, s28
.LBB6_16526:                            ;   in Loop: Header=BB6_16488 Depth=2
	s_delay_alu instid0(SALU_CYCLE_1) | instskip(NEXT) | instid1(VALU_DEP_1)
	s_or_b32 exec_lo, exec_lo, s11
	v_mul_f32_e32 v7, s27, v5
                                        ; implicit-def: $vgpr5
	s_mov_b32 s11, exec_lo
	s_delay_alu instid0(VALU_DEP_1) | instskip(SKIP_1) | instid1(VALU_DEP_2)
	v_and_b32_e32 v54, 0x7f800000, v7
	v_lshrrev_b32_e32 v6, 24, v7
	v_cmpx_ne_u64_e32 0x7f800000, v[54:55]
	s_xor_b32 s28, exec_lo, s11
	s_cbranch_execz .LBB6_16540
; %bb.16527:                            ;   in Loop: Header=BB6_16488 Depth=2
	v_and_b32_e32 v54, 0x7fffffff, v7
	v_and_b32_e32 v6, 0x80, v6
                                        ; implicit-def: $vgpr5
	s_mov_b32 s11, exec_lo
	s_delay_alu instid0(VALU_DEP_2)
	v_cmpx_gt_u64_e32 0x43e00001, v[54:55]
	s_xor_b32 s29, exec_lo, s11
	s_cbranch_execz .LBB6_16537
; %bb.16528:                            ;   in Loop: Header=BB6_16488 Depth=2
	v_mov_b32_e32 v5, 0
	s_mov_b32 s40, exec_lo
	v_cmpx_ne_u32_e32 0, v7
	s_cbranch_execz .LBB6_16536
; %bb.16529:                            ;   in Loop: Header=BB6_16488 Depth=2
	v_bfe_u32 v5, v7, 23, 8
	v_and_b32_e32 v7, 0x7fffff, v7
	s_delay_alu instid0(VALU_DEP_2) | instskip(SKIP_1) | instid1(VALU_DEP_3)
	v_sub_nc_u32_e32 v8, 0x79, v5
	v_cmp_gt_u32_e32 vcc_lo, 0x7a, v5
	v_or_b32_e32 v18, 0x800000, v7
	s_delay_alu instid0(VALU_DEP_3) | instskip(SKIP_1) | instid1(VALU_DEP_3)
	v_cndmask_b32_e32 v8, 0, v8, vcc_lo
	v_cmp_eq_u32_e32 vcc_lo, 0, v5
	v_cndmask_b32_e32 v54, v18, v7, vcc_lo
	s_delay_alu instid0(VALU_DEP_3) | instskip(NEXT) | instid1(VALU_DEP_1)
	v_cndmask_b32_e64 v8, v8, 0x78, vcc_lo
	v_add_nc_u32_e32 v9, 20, v8
	s_delay_alu instid0(VALU_DEP_1) | instskip(SKIP_1) | instid1(VALU_DEP_1)
	v_lshlrev_b64_e64 v[16:17], v9, -1
	v_add_nc_u32_e32 v9, 19, v8
	v_lshlrev_b64_e64 v[18:19], v9, 1
	s_delay_alu instid0(VALU_DEP_3) | instskip(NEXT) | instid1(VALU_DEP_4)
	v_bfi_b32 v21, v17, 0, 0
	v_bfi_b32 v20, v16, 0, v54
	v_lshrrev_b64 v[16:17], v8, v[54:55]
	s_delay_alu instid0(VALU_DEP_2) | instskip(NEXT) | instid1(VALU_DEP_2)
	v_cmp_eq_u64_e64 s11, v[20:21], v[18:19]
	v_mov_b64_e32 v[18:19], v[16:17]
	s_and_saveexec_b32 s41, s11
; %bb.16530:                            ;   in Loop: Header=BB6_16488 Depth=2
	v_bfe_u32 v54, v16, 20, 1
	s_delay_alu instid0(VALU_DEP_1) | instskip(NEXT) | instid1(VALU_DEP_1)
	v_add_nc_u64_e32 v[18:19], v[16:17], v[54:55]
	v_add_nc_u64_e32 v[18:19], -1, v[18:19]
; %bb.16531:                            ;   in Loop: Header=BB6_16488 Depth=2
	s_or_b32 exec_lo, exec_lo, s41
	v_add_nc_u32_e32 v5, 0xffffff81, v5
	v_lshrrev_b32_e32 v7, 23, v16
	s_mov_b32 s11, exec_lo
	s_delay_alu instid0(VALU_DEP_2) | instskip(NEXT) | instid1(VALU_DEP_1)
	v_cndmask_b32_e64 v5, v5, 0xffffff82, vcc_lo
	v_add3_u32 v7, v8, v5, v7
	v_and_b32_e32 v5, 0xfffff, v18
	s_delay_alu instid0(VALU_DEP_1) | instskip(NEXT) | instid1(VALU_DEP_1)
	v_dual_add_nc_u32 v8, 6, v7 :: v_dual_add_nc_u32 v54, v5, v16
                                        ; implicit-def: $vgpr16_vgpr17
                                        ; implicit-def: $vgpr5
	v_cmpx_ne_u32_e32 0, v8
	s_xor_b32 s11, exec_lo, s11
; %bb.16532:                            ;   in Loop: Header=BB6_16488 Depth=2
	s_delay_alu instid0(VALU_DEP_2) | instskip(SKIP_2) | instid1(VALU_DEP_2)
	v_cmp_lt_u64_e32 vcc_lo, 0xffffff, v[54:55]
	v_add_nc_u32_e32 v5, 7, v7
	v_cndmask_b32_e64 v7, 0, 1, vcc_lo
	v_cndmask_b32_e32 v5, v8, v5, vcc_lo
	s_delay_alu instid0(VALU_DEP_2)
	v_lshrrev_b64 v[16:17], v7, v[54:55]
; %bb.16533:                            ;   in Loop: Header=BB6_16488 Depth=2
	s_and_not1_saveexec_b32 s11, s11
; %bb.16534:                            ;   in Loop: Header=BB6_16488 Depth=2
	v_mov_b64_e32 v[16:17], v[54:55]
	v_bfe_u32 v5, v54, 23, 1
; %bb.16535:                            ;   in Loop: Header=BB6_16488 Depth=2
	s_or_b32 exec_lo, exec_lo, s11
	s_delay_alu instid0(VALU_DEP_2) | instskip(NEXT) | instid1(VALU_DEP_2)
	v_lshrrev_b64 v[8:9], 20, v[16:17]
	v_cmp_gt_i32_e32 vcc_lo, 16, v5
	v_min_i32_e32 v7, 15, v5
	v_cmp_eq_u32_e64 s11, 0, v5
	s_delay_alu instid0(VALU_DEP_2) | instskip(SKIP_1) | instid1(VALU_DEP_2)
	v_dual_cndmask_b32 v8, 7, v8 :: v_dual_lshlrev_b32 v7, 3, v7
	v_cndmask_b32_e32 v9, 0, v9, vcc_lo
	v_and_b32_e32 v7, 0xf8, v7
	s_delay_alu instid0(VALU_DEP_2) | instskip(NEXT) | instid1(VALU_DEP_2)
	v_cmp_eq_u64_e32 vcc_lo, 0, v[8:9]
	v_and_or_b32 v5, v8, 7, v7
	s_and_b32 s11, s11, vcc_lo
	s_delay_alu instid0(VALU_DEP_1) | instid1(SALU_CYCLE_1)
	v_cndmask_b32_e64 v5, v5, 0, s11
	s_delay_alu instid0(VALU_DEP_1)
	v_or_b32_e32 v5, v5, v6
.LBB6_16536:                            ;   in Loop: Header=BB6_16488 Depth=2
	s_or_b32 exec_lo, exec_lo, s40
                                        ; implicit-def: $vgpr6
.LBB6_16537:                            ;   in Loop: Header=BB6_16488 Depth=2
	s_and_not1_saveexec_b32 s11, s29
; %bb.16538:                            ;   in Loop: Header=BB6_16488 Depth=2
	v_or_b32_e32 v5, 0x7e, v6
; %bb.16539:                            ;   in Loop: Header=BB6_16488 Depth=2
	s_or_b32 exec_lo, exec_lo, s11
                                        ; implicit-def: $vgpr6
.LBB6_16540:                            ;   in Loop: Header=BB6_16488 Depth=2
	s_and_not1_saveexec_b32 s11, s28
; %bb.16541:                            ;   in Loop: Header=BB6_16488 Depth=2
	v_or_b32_e32 v5, 0x7f, v6
; %bb.16542:                            ;   in Loop: Header=BB6_16488 Depth=2
	s_or_b32 exec_lo, exec_lo, s11
	v_dual_mov_b32 v7, 0 :: v_dual_lshrrev_b32 v6, 16, v10
	s_mov_b32 s11, exec_lo
	s_delay_alu instid0(VALU_DEP_1) | instskip(NEXT) | instid1(VALU_DEP_1)
	v_and_b32_e32 v8, 0xff, v6
	v_cmpx_ne_u16_e32 0, v8
	s_cbranch_execz .LBB6_16550
; %bb.16543:                            ;   in Loop: Header=BB6_16488 Depth=2
	v_bfrev_b32_e32 v7, 1
	s_mov_b32 s28, exec_lo
	v_cmpx_ne_u16_e32 0x80, v8
	s_cbranch_execz .LBB6_16549
; %bb.16544:                            ;   in Loop: Header=BB6_16488 Depth=2
	v_bfe_u32 v8, v10, 16, 7
	v_mov_b32_e32 v7, 0x7f800001
	s_mov_b32 s29, exec_lo
	s_delay_alu instid0(VALU_DEP_2)
	v_cmpx_ne_u32_e32 0x7f, v8
	s_cbranch_execz .LBB6_16548
; %bb.16545:                            ;   in Loop: Header=BB6_16488 Depth=2
	v_dual_lshrrev_b32 v7, 3, v8 :: v_dual_bitop2_b32 v54, 7, v6 bitop3:0x40
	s_mov_b32 s40, exec_lo
	v_cmpx_gt_u32_e32 8, v8
; %bb.16546:                            ;   in Loop: Header=BB6_16488 Depth=2
	s_delay_alu instid0(VALU_DEP_2) | instskip(NEXT) | instid1(VALU_DEP_1)
	v_clz_i32_u32_e32 v7, v54
	v_min_u32_e32 v7, 32, v7
	s_delay_alu instid0(VALU_DEP_1) | instskip(NEXT) | instid1(VALU_DEP_1)
	v_subrev_nc_u32_e32 v8, 28, v7
	v_lshlrev_b64_e32 v[8:9], v8, v[54:55]
	s_delay_alu instid0(VALU_DEP_1)
	v_dual_sub_nc_u32 v7, 29, v7 :: v_dual_bitop2_b32 v54, 7, v8 bitop3:0x40
; %bb.16547:                            ;   in Loop: Header=BB6_16488 Depth=2
	s_or_b32 exec_lo, exec_lo, s40
	v_lshlrev_b32_e32 v6, 24, v6
	s_delay_alu instid0(VALU_DEP_2) | instskip(NEXT) | instid1(VALU_DEP_3)
	v_lshlrev_b32_e32 v8, 20, v54
	v_lshl_add_u32 v7, v7, 23, 0x3c000000
	s_delay_alu instid0(VALU_DEP_3) | instskip(NEXT) | instid1(VALU_DEP_1)
	v_and_b32_e32 v6, 0x80000000, v6
	v_or3_b32 v7, v8, v6, v7
.LBB6_16548:                            ;   in Loop: Header=BB6_16488 Depth=2
	s_or_b32 exec_lo, exec_lo, s29
.LBB6_16549:                            ;   in Loop: Header=BB6_16488 Depth=2
	s_delay_alu instid0(SALU_CYCLE_1)
	s_or_b32 exec_lo, exec_lo, s28
.LBB6_16550:                            ;   in Loop: Header=BB6_16488 Depth=2
	s_delay_alu instid0(SALU_CYCLE_1) | instskip(NEXT) | instid1(VALU_DEP_1)
	s_or_b32 exec_lo, exec_lo, s11
	v_mul_f32_e32 v8, s27, v7
                                        ; implicit-def: $vgpr6
	s_mov_b32 s11, exec_lo
	s_delay_alu instid0(VALU_DEP_1) | instskip(SKIP_1) | instid1(VALU_DEP_2)
	v_and_b32_e32 v54, 0x7f800000, v8
	v_lshrrev_b32_e32 v7, 24, v8
	v_cmpx_ne_u64_e32 0x7f800000, v[54:55]
	s_xor_b32 s28, exec_lo, s11
	s_cbranch_execz .LBB6_16564
; %bb.16551:                            ;   in Loop: Header=BB6_16488 Depth=2
	v_and_b32_e32 v54, 0x7fffffff, v8
	v_and_b32_e32 v7, 0x80, v7
                                        ; implicit-def: $vgpr6
	s_mov_b32 s11, exec_lo
	s_delay_alu instid0(VALU_DEP_2)
	v_cmpx_gt_u64_e32 0x43e00001, v[54:55]
	s_xor_b32 s29, exec_lo, s11
	s_cbranch_execz .LBB6_16561
; %bb.16552:                            ;   in Loop: Header=BB6_16488 Depth=2
	v_mov_b32_e32 v6, 0
	s_mov_b32 s40, exec_lo
	v_cmpx_ne_u32_e32 0, v8
	s_cbranch_execz .LBB6_16560
; %bb.16553:                            ;   in Loop: Header=BB6_16488 Depth=2
	v_bfe_u32 v6, v8, 23, 8
	v_and_b32_e32 v8, 0x7fffff, v8
	s_delay_alu instid0(VALU_DEP_2) | instskip(NEXT) | instid1(VALU_DEP_2)
	v_cmp_gt_u32_e32 vcc_lo, 0x7a, v6
	v_or_b32_e32 v18, 0x800000, v8
	v_sub_nc_u32_e32 v9, 0x79, v6
	s_delay_alu instid0(VALU_DEP_1) | instskip(SKIP_1) | instid1(VALU_DEP_2)
	v_cndmask_b32_e32 v9, 0, v9, vcc_lo
	v_cmp_eq_u32_e32 vcc_lo, 0, v6
	v_cndmask_b32_e64 v9, v9, 0x78, vcc_lo
	s_delay_alu instid0(VALU_DEP_1) | instskip(SKIP_1) | instid1(VALU_DEP_2)
	v_dual_cndmask_b32 v54, v18, v8, vcc_lo :: v_dual_add_nc_u32 v16, 20, v9
	v_add_nc_u32_e32 v19, 19, v9
	v_lshlrev_b64_e64 v[16:17], v16, -1
	s_delay_alu instid0(VALU_DEP_2) | instskip(NEXT) | instid1(VALU_DEP_2)
	v_lshlrev_b64_e64 v[18:19], v19, 1
	v_bfi_b32 v21, v17, 0, 0
	s_delay_alu instid0(VALU_DEP_3) | instskip(SKIP_1) | instid1(VALU_DEP_2)
	v_bfi_b32 v20, v16, 0, v54
	v_lshrrev_b64 v[16:17], v9, v[54:55]
	v_cmp_eq_u64_e64 s11, v[20:21], v[18:19]
	s_delay_alu instid0(VALU_DEP_2)
	v_mov_b64_e32 v[18:19], v[16:17]
	s_and_saveexec_b32 s41, s11
; %bb.16554:                            ;   in Loop: Header=BB6_16488 Depth=2
	v_bfe_u32 v54, v16, 20, 1
	s_delay_alu instid0(VALU_DEP_1) | instskip(NEXT) | instid1(VALU_DEP_1)
	v_add_nc_u64_e32 v[18:19], v[16:17], v[54:55]
	v_add_nc_u64_e32 v[18:19], -1, v[18:19]
; %bb.16555:                            ;   in Loop: Header=BB6_16488 Depth=2
	s_or_b32 exec_lo, exec_lo, s41
	v_add_nc_u32_e32 v6, 0xffffff81, v6
	v_lshrrev_b32_e32 v8, 23, v16
	s_mov_b32 s11, exec_lo
	s_delay_alu instid0(VALU_DEP_2) | instskip(NEXT) | instid1(VALU_DEP_1)
	v_cndmask_b32_e64 v6, v6, 0xffffff82, vcc_lo
	v_add3_u32 v8, v9, v6, v8
	v_and_b32_e32 v6, 0xfffff, v18
	s_delay_alu instid0(VALU_DEP_2) | instskip(NEXT) | instid1(VALU_DEP_2)
	v_add_nc_u32_e32 v9, 6, v8
	v_add_nc_u32_e32 v54, v6, v16
                                        ; implicit-def: $vgpr16_vgpr17
                                        ; implicit-def: $vgpr6
	s_delay_alu instid0(VALU_DEP_2)
	v_cmpx_ne_u32_e32 0, v9
	s_xor_b32 s11, exec_lo, s11
; %bb.16556:                            ;   in Loop: Header=BB6_16488 Depth=2
	s_delay_alu instid0(VALU_DEP_2) | instskip(SKIP_2) | instid1(VALU_DEP_2)
	v_cmp_lt_u64_e32 vcc_lo, 0xffffff, v[54:55]
	v_add_nc_u32_e32 v6, 7, v8
	v_cndmask_b32_e64 v8, 0, 1, vcc_lo
	v_cndmask_b32_e32 v6, v9, v6, vcc_lo
	s_delay_alu instid0(VALU_DEP_2)
	v_lshrrev_b64 v[16:17], v8, v[54:55]
; %bb.16557:                            ;   in Loop: Header=BB6_16488 Depth=2
	s_and_not1_saveexec_b32 s11, s11
; %bb.16558:                            ;   in Loop: Header=BB6_16488 Depth=2
	v_mov_b64_e32 v[16:17], v[54:55]
	v_bfe_u32 v6, v54, 23, 1
; %bb.16559:                            ;   in Loop: Header=BB6_16488 Depth=2
	s_or_b32 exec_lo, exec_lo, s11
	s_delay_alu instid0(VALU_DEP_2) | instskip(NEXT) | instid1(VALU_DEP_2)
	v_lshrrev_b64 v[8:9], 20, v[16:17]
	v_cmp_gt_i32_e32 vcc_lo, 16, v6
	v_min_i32_e32 v16, 15, v6
	v_cmp_eq_u32_e64 s11, 0, v6
	s_delay_alu instid0(VALU_DEP_2) | instskip(SKIP_1) | instid1(VALU_DEP_2)
	v_dual_cndmask_b32 v9, 0, v9 :: v_dual_lshlrev_b32 v16, 3, v16
	v_cndmask_b32_e32 v8, 7, v8, vcc_lo
	v_and_b32_e32 v16, 0xf8, v16
	s_delay_alu instid0(VALU_DEP_2) | instskip(NEXT) | instid1(VALU_DEP_2)
	v_cmp_eq_u64_e32 vcc_lo, 0, v[8:9]
	v_and_or_b32 v6, v8, 7, v16
	s_and_b32 s11, s11, vcc_lo
	s_delay_alu instid0(VALU_DEP_1) | instid1(SALU_CYCLE_1)
	v_cndmask_b32_e64 v6, v6, 0, s11
	s_delay_alu instid0(VALU_DEP_1)
	v_or_b32_e32 v6, v6, v7
.LBB6_16560:                            ;   in Loop: Header=BB6_16488 Depth=2
	s_or_b32 exec_lo, exec_lo, s40
                                        ; implicit-def: $vgpr7
.LBB6_16561:                            ;   in Loop: Header=BB6_16488 Depth=2
	s_and_not1_saveexec_b32 s11, s29
; %bb.16562:                            ;   in Loop: Header=BB6_16488 Depth=2
	v_or_b32_e32 v6, 0x7e, v7
; %bb.16563:                            ;   in Loop: Header=BB6_16488 Depth=2
	s_or_b32 exec_lo, exec_lo, s11
                                        ; implicit-def: $vgpr7
.LBB6_16564:                            ;   in Loop: Header=BB6_16488 Depth=2
	s_and_not1_saveexec_b32 s11, s28
; %bb.16565:                            ;   in Loop: Header=BB6_16488 Depth=2
	v_or_b32_e32 v6, 0x7f, v7
; %bb.16566:                            ;   in Loop: Header=BB6_16488 Depth=2
	s_or_b32 exec_lo, exec_lo, s11
	v_mov_b32_e32 v8, 0
	s_mov_b32 s11, exec_lo
	v_cmpx_lt_u32_e32 0xffffff, v10
	s_cbranch_execz .LBB6_16574
; %bb.16567:                            ;   in Loop: Header=BB6_16488 Depth=2
	v_lshrrev_b32_e32 v7, 24, v10
	v_bfrev_b32_e32 v8, 1
	s_mov_b32 s28, exec_lo
	s_delay_alu instid0(VALU_DEP_2)
	v_cmpx_ne_u32_e32 0x80, v7
	s_cbranch_execz .LBB6_16573
; %bb.16568:                            ;   in Loop: Header=BB6_16488 Depth=2
	v_bfe_u32 v9, v10, 24, 7
	v_mov_b32_e32 v8, 0x7f800001
	s_mov_b32 s29, exec_lo
	s_delay_alu instid0(VALU_DEP_2)
	v_cmpx_ne_u32_e32 0x7f, v9
	s_cbranch_execz .LBB6_16572
; %bb.16569:                            ;   in Loop: Header=BB6_16488 Depth=2
	v_dual_lshrrev_b32 v8, 3, v9 :: v_dual_bitop2_b32 v54, 7, v7 bitop3:0x40
	s_mov_b32 s40, exec_lo
	v_cmpx_gt_u32_e32 8, v9
; %bb.16570:                            ;   in Loop: Header=BB6_16488 Depth=2
	s_delay_alu instid0(VALU_DEP_2) | instskip(NEXT) | instid1(VALU_DEP_1)
	v_clz_i32_u32_e32 v8, v54
	v_min_u32_e32 v8, 32, v8
	s_delay_alu instid0(VALU_DEP_1) | instskip(SKIP_1) | instid1(VALU_DEP_2)
	v_subrev_nc_u32_e32 v9, 28, v8
	v_sub_nc_u32_e32 v8, 29, v8
	v_lshlrev_b64_e32 v[16:17], v9, v[54:55]
	s_delay_alu instid0(VALU_DEP_1)
	v_and_b32_e32 v54, 7, v16
; %bb.16571:                            ;   in Loop: Header=BB6_16488 Depth=2
	s_or_b32 exec_lo, exec_lo, s40
	s_delay_alu instid0(VALU_DEP_1) | instskip(SKIP_1) | instid1(VALU_DEP_2)
	v_dual_lshlrev_b32 v7, 24, v7 :: v_dual_lshlrev_b32 v9, 20, v54
	v_lshl_add_u32 v8, v8, 23, 0x3c000000
	v_and_b32_e32 v7, 0x80000000, v7
	s_delay_alu instid0(VALU_DEP_1)
	v_or3_b32 v8, v9, v7, v8
.LBB6_16572:                            ;   in Loop: Header=BB6_16488 Depth=2
	s_or_b32 exec_lo, exec_lo, s29
.LBB6_16573:                            ;   in Loop: Header=BB6_16488 Depth=2
	s_delay_alu instid0(SALU_CYCLE_1)
	s_or_b32 exec_lo, exec_lo, s28
.LBB6_16574:                            ;   in Loop: Header=BB6_16488 Depth=2
	s_delay_alu instid0(SALU_CYCLE_1) | instskip(NEXT) | instid1(VALU_DEP_1)
	s_or_b32 exec_lo, exec_lo, s11
	v_mul_f32_e32 v9, s27, v8
                                        ; implicit-def: $vgpr7
	s_mov_b32 s11, exec_lo
	s_delay_alu instid0(VALU_DEP_1) | instskip(SKIP_1) | instid1(VALU_DEP_2)
	v_and_b32_e32 v54, 0x7f800000, v9
	v_lshrrev_b32_e32 v8, 24, v9
	v_cmpx_ne_u64_e32 0x7f800000, v[54:55]
	s_xor_b32 s28, exec_lo, s11
	s_cbranch_execz .LBB6_16588
; %bb.16575:                            ;   in Loop: Header=BB6_16488 Depth=2
	v_and_b32_e32 v54, 0x7fffffff, v9
	v_and_b32_e32 v8, 0x80, v8
                                        ; implicit-def: $vgpr7
	s_mov_b32 s11, exec_lo
	s_delay_alu instid0(VALU_DEP_2)
	v_cmpx_gt_u64_e32 0x43e00001, v[54:55]
	s_xor_b32 s29, exec_lo, s11
	s_cbranch_execz .LBB6_16585
; %bb.16576:                            ;   in Loop: Header=BB6_16488 Depth=2
	v_mov_b32_e32 v7, 0
	s_mov_b32 s40, exec_lo
	v_cmpx_ne_u32_e32 0, v9
	s_cbranch_execz .LBB6_16584
; %bb.16577:                            ;   in Loop: Header=BB6_16488 Depth=2
	v_bfe_u32 v7, v9, 23, 8
	v_and_b32_e32 v9, 0x7fffff, v9
	s_delay_alu instid0(VALU_DEP_2) | instskip(SKIP_1) | instid1(VALU_DEP_3)
	v_sub_nc_u32_e32 v16, 0x79, v7
	v_cmp_gt_u32_e32 vcc_lo, 0x7a, v7
	v_or_b32_e32 v18, 0x800000, v9
	s_delay_alu instid0(VALU_DEP_3) | instskip(SKIP_1) | instid1(VALU_DEP_3)
	v_cndmask_b32_e32 v16, 0, v16, vcc_lo
	v_cmp_eq_u32_e32 vcc_lo, 0, v7
	v_cndmask_b32_e32 v54, v18, v9, vcc_lo
	s_delay_alu instid0(VALU_DEP_3) | instskip(NEXT) | instid1(VALU_DEP_1)
	v_cndmask_b32_e64 v20, v16, 0x78, vcc_lo
	v_dual_add_nc_u32 v16, 20, v20 :: v_dual_add_nc_u32 v19, 19, v20
	s_delay_alu instid0(VALU_DEP_1) | instskip(NEXT) | instid1(VALU_DEP_2)
	v_lshlrev_b64_e64 v[16:17], v16, -1
	v_lshlrev_b64_e64 v[18:19], v19, 1
	s_delay_alu instid0(VALU_DEP_2) | instskip(NEXT) | instid1(VALU_DEP_3)
	v_bfi_b32 v23, v17, 0, 0
	v_bfi_b32 v22, v16, 0, v54
	v_lshrrev_b64 v[16:17], v20, v[54:55]
	s_delay_alu instid0(VALU_DEP_2) | instskip(NEXT) | instid1(VALU_DEP_2)
	v_cmp_eq_u64_e64 s11, v[22:23], v[18:19]
	v_mov_b64_e32 v[18:19], v[16:17]
	s_and_saveexec_b32 s41, s11
; %bb.16578:                            ;   in Loop: Header=BB6_16488 Depth=2
	v_bfe_u32 v54, v16, 20, 1
	s_delay_alu instid0(VALU_DEP_1) | instskip(NEXT) | instid1(VALU_DEP_1)
	v_add_nc_u64_e32 v[18:19], v[16:17], v[54:55]
	v_add_nc_u64_e32 v[18:19], -1, v[18:19]
; %bb.16579:                            ;   in Loop: Header=BB6_16488 Depth=2
	s_or_b32 exec_lo, exec_lo, s41
	v_add_nc_u32_e32 v7, 0xffffff81, v7
	v_lshrrev_b32_e32 v9, 23, v16
	s_mov_b32 s11, exec_lo
	s_delay_alu instid0(VALU_DEP_2) | instskip(NEXT) | instid1(VALU_DEP_1)
	v_cndmask_b32_e64 v7, v7, 0xffffff82, vcc_lo
	v_add3_u32 v9, v20, v7, v9
	v_and_b32_e32 v7, 0xfffff, v18
	s_delay_alu instid0(VALU_DEP_1) | instskip(NEXT) | instid1(VALU_DEP_1)
	v_dual_add_nc_u32 v18, 6, v9 :: v_dual_add_nc_u32 v54, v7, v16
                                        ; implicit-def: $vgpr16_vgpr17
                                        ; implicit-def: $vgpr7
	v_cmpx_ne_u32_e32 0, v18
	s_xor_b32 s11, exec_lo, s11
; %bb.16580:                            ;   in Loop: Header=BB6_16488 Depth=2
	s_delay_alu instid0(VALU_DEP_2) | instskip(SKIP_2) | instid1(VALU_DEP_2)
	v_cmp_lt_u64_e32 vcc_lo, 0xffffff, v[54:55]
	v_add_nc_u32_e32 v7, 7, v9
	v_cndmask_b32_e64 v9, 0, 1, vcc_lo
	v_cndmask_b32_e32 v7, v18, v7, vcc_lo
	s_delay_alu instid0(VALU_DEP_2)
	v_lshrrev_b64 v[16:17], v9, v[54:55]
; %bb.16581:                            ;   in Loop: Header=BB6_16488 Depth=2
	s_and_not1_saveexec_b32 s11, s11
; %bb.16582:                            ;   in Loop: Header=BB6_16488 Depth=2
	v_mov_b64_e32 v[16:17], v[54:55]
	v_bfe_u32 v7, v54, 23, 1
; %bb.16583:                            ;   in Loop: Header=BB6_16488 Depth=2
	s_or_b32 exec_lo, exec_lo, s11
	s_delay_alu instid0(VALU_DEP_2) | instskip(NEXT) | instid1(VALU_DEP_2)
	v_lshrrev_b64 v[16:17], 20, v[16:17]
	v_cmp_gt_i32_e32 vcc_lo, 16, v7
	v_min_i32_e32 v9, 15, v7
	v_cmp_eq_u32_e64 s11, 0, v7
	s_delay_alu instid0(VALU_DEP_4) | instskip(NEXT) | instid1(VALU_DEP_3)
	v_cndmask_b32_e32 v17, 0, v17, vcc_lo
	v_dual_cndmask_b32 v16, 7, v16 :: v_dual_lshlrev_b32 v9, 3, v9
	s_delay_alu instid0(VALU_DEP_1) | instskip(NEXT) | instid1(VALU_DEP_2)
	v_and_b32_e32 v9, 0xf8, v9
	v_cmp_eq_u64_e32 vcc_lo, 0, v[16:17]
	s_delay_alu instid0(VALU_DEP_2)
	v_and_or_b32 v7, v16, 7, v9
	s_and_b32 s11, s11, vcc_lo
	s_delay_alu instid0(VALU_DEP_1) | instid1(SALU_CYCLE_1)
	v_cndmask_b32_e64 v7, v7, 0, s11
	s_delay_alu instid0(VALU_DEP_1)
	v_or_b32_e32 v7, v7, v8
.LBB6_16584:                            ;   in Loop: Header=BB6_16488 Depth=2
	s_or_b32 exec_lo, exec_lo, s40
                                        ; implicit-def: $vgpr8
.LBB6_16585:                            ;   in Loop: Header=BB6_16488 Depth=2
	s_and_not1_saveexec_b32 s11, s29
; %bb.16586:                            ;   in Loop: Header=BB6_16488 Depth=2
	v_or_b32_e32 v7, 0x7e, v8
; %bb.16587:                            ;   in Loop: Header=BB6_16488 Depth=2
	s_or_b32 exec_lo, exec_lo, s11
                                        ; implicit-def: $vgpr8
.LBB6_16588:                            ;   in Loop: Header=BB6_16488 Depth=2
	s_and_not1_saveexec_b32 s11, s28
; %bb.16589:                            ;   in Loop: Header=BB6_16488 Depth=2
	v_or_b32_e32 v7, 0x7f, v8
; %bb.16590:                            ;   in Loop: Header=BB6_16488 Depth=2
	s_or_b32 exec_lo, exec_lo, s11
	v_and_b32_e32 v9, 0xff, v11
	v_dual_mov_b32 v54, v11 :: v_dual_mov_b32 v8, 0
	s_mov_b32 s11, exec_lo
	s_delay_alu instid0(VALU_DEP_2)
	v_cmpx_ne_u16_e32 0, v9
	s_cbranch_execz .LBB6_16596
; %bb.16591:                            ;   in Loop: Header=BB6_16488 Depth=2
	v_bfrev_b32_e32 v8, 1
	s_mov_b32 s28, exec_lo
	v_cmpx_ne_u16_e32 0x80, v9
	s_cbranch_execz .LBB6_16595
; %bb.16592:                            ;   in Loop: Header=BB6_16488 Depth=2
	v_and_b32_e32 v9, 0x7f, v11
	v_mov_b32_e32 v8, 0x7f800001
	s_mov_b32 s29, exec_lo
	s_delay_alu instid0(VALU_DEP_2)
	v_cmpx_ne_u32_e32 0x7f, v9
	s_cbranch_execz .LBB6_16594
; %bb.16593:                            ;   in Loop: Header=BB6_16488 Depth=2
	v_dual_lshrrev_b32 v16, 3, v9 :: v_dual_bitop2_b32 v8, 7, v11 bitop3:0x40
	v_cmp_gt_u32_e32 vcc_lo, 8, v9
	s_delay_alu instid0(VALU_DEP_2) | instskip(NEXT) | instid1(VALU_DEP_1)
	v_clz_i32_u32_e32 v8, v8
	v_min_u32_e32 v8, 32, v8
	s_delay_alu instid0(VALU_DEP_1) | instskip(SKIP_1) | instid1(VALU_DEP_1)
	v_subrev_nc_u32_e32 v17, 28, v8
	v_sub_nc_u32_e32 v8, 29, v8
	v_dual_cndmask_b32 v16, v16, v8, vcc_lo :: v_dual_cndmask_b32 v8, 0, v17, vcc_lo
	s_delay_alu instid0(VALU_DEP_1) | instskip(NEXT) | instid1(VALU_DEP_2)
	v_lshl_add_u32 v16, v16, 23, 0x3c000000
	v_lshlrev_b64_e32 v[8:9], v8, v[54:55]
	v_lshlrev_b32_e32 v9, 24, v54
	s_delay_alu instid0(VALU_DEP_1) | instskip(NEXT) | instid1(VALU_DEP_3)
	v_and_b32_e32 v9, 0x80000000, v9
	v_lshlrev_b32_e32 v8, 20, v8
	s_delay_alu instid0(VALU_DEP_1) | instskip(NEXT) | instid1(VALU_DEP_1)
	v_and_b32_e32 v8, 0x700000, v8
	v_or3_b32 v8, v8, v9, v16
.LBB6_16594:                            ;   in Loop: Header=BB6_16488 Depth=2
	s_or_b32 exec_lo, exec_lo, s29
.LBB6_16595:                            ;   in Loop: Header=BB6_16488 Depth=2
	s_delay_alu instid0(SALU_CYCLE_1)
	s_or_b32 exec_lo, exec_lo, s28
.LBB6_16596:                            ;   in Loop: Header=BB6_16488 Depth=2
	s_delay_alu instid0(SALU_CYCLE_1) | instskip(NEXT) | instid1(VALU_DEP_1)
	s_or_b32 exec_lo, exec_lo, s11
	v_dual_mul_f32 v16, s27, v8 :: v_dual_mov_b32 v9, v55
	s_delay_alu instid0(VALU_DEP_1) | instskip(NEXT) | instid1(VALU_DEP_1)
	v_and_b32_e32 v8, 0x7f800000, v16
	v_cmp_ne_u64_e32 vcc_lo, 0x7f800000, v[8:9]
	v_lshrrev_b32_e32 v9, 24, v16
                                        ; implicit-def: $vgpr8
	s_and_saveexec_b32 s11, vcc_lo
	s_delay_alu instid0(SALU_CYCLE_1)
	s_xor_b32 s28, exec_lo, s11
	s_cbranch_execz .LBB6_16610
; %bb.16597:                            ;   in Loop: Header=BB6_16488 Depth=2
	v_and_b32_e32 v18, 0x7fffffff, v16
	v_mov_b32_e32 v19, v55
	v_and_b32_e32 v9, 0x80, v9
                                        ; implicit-def: $vgpr8
	s_mov_b32 s11, exec_lo
	s_delay_alu instid0(VALU_DEP_2)
	v_cmpx_gt_u64_e32 0x43e00001, v[18:19]
	s_xor_b32 s29, exec_lo, s11
	s_cbranch_execz .LBB6_16607
; %bb.16598:                            ;   in Loop: Header=BB6_16488 Depth=2
	v_mov_b32_e32 v8, 0
	s_mov_b32 s40, exec_lo
	v_cmpx_ne_u32_e32 0, v16
	s_cbranch_execz .LBB6_16606
; %bb.16599:                            ;   in Loop: Header=BB6_16488 Depth=2
	v_bfe_u32 v8, v16, 23, 8
	v_and_b32_e32 v18, 0x7fffff, v16
	s_mov_b32 s41, exec_lo
	s_delay_alu instid0(VALU_DEP_2) | instskip(NEXT) | instid1(VALU_DEP_2)
	v_cmp_gt_u32_e32 vcc_lo, 0x7a, v8
	v_or_b32_e32 v19, 0x800000, v18
	v_sub_nc_u32_e32 v17, 0x79, v8
	s_delay_alu instid0(VALU_DEP_1) | instskip(SKIP_1) | instid1(VALU_DEP_2)
	v_cndmask_b32_e32 v17, 0, v17, vcc_lo
	v_cmp_eq_u32_e32 vcc_lo, 0, v8
	v_cndmask_b32_e64 v20, v17, 0x78, vcc_lo
	v_cndmask_b32_e32 v18, v19, v18, vcc_lo
	s_delay_alu instid0(VALU_DEP_2) | instskip(SKIP_1) | instid1(VALU_DEP_2)
	v_dual_mov_b32 v19, v55 :: v_dual_add_nc_u32 v21, 19, v20
	v_add_nc_u32_e32 v16, 20, v20
	v_lshlrev_b64_e64 v[22:23], v21, 1
	s_delay_alu instid0(VALU_DEP_2) | instskip(NEXT) | instid1(VALU_DEP_1)
	v_lshlrev_b64_e64 v[16:17], v16, -1
	v_bfi_b32 v25, v17, 0, 0
	s_delay_alu instid0(VALU_DEP_2) | instskip(SKIP_1) | instid1(VALU_DEP_1)
	v_bfi_b32 v24, v16, 0, v18
	v_lshrrev_b64 v[16:17], v20, v[18:19]
	v_mov_b64_e32 v[18:19], v[16:17]
	s_delay_alu instid0(VALU_DEP_3)
	v_cmpx_eq_u64_e64 v[24:25], v[22:23]
; %bb.16600:                            ;   in Loop: Header=BB6_16488 Depth=2
	v_bfe_u32 v18, v16, 20, 1
	v_mov_b32_e32 v19, v55
	s_delay_alu instid0(VALU_DEP_1) | instskip(NEXT) | instid1(VALU_DEP_1)
	v_add_nc_u64_e32 v[18:19], v[16:17], v[18:19]
	v_add_nc_u64_e32 v[18:19], -1, v[18:19]
; %bb.16601:                            ;   in Loop: Header=BB6_16488 Depth=2
	s_or_b32 exec_lo, exec_lo, s41
	v_add_nc_u32_e32 v8, 0xffffff81, v8
	v_lshrrev_b32_e32 v17, 23, v16
	s_mov_b32 s11, exec_lo
	s_delay_alu instid0(VALU_DEP_2) | instskip(NEXT) | instid1(VALU_DEP_1)
	v_cndmask_b32_e64 v8, v8, 0xffffff82, vcc_lo
	v_add3_u32 v19, v20, v8, v17
	v_and_b32_e32 v8, 0xfffff, v18
	s_delay_alu instid0(VALU_DEP_2) | instskip(NEXT) | instid1(VALU_DEP_2)
	v_dual_mov_b32 v17, v55 :: v_dual_add_nc_u32 v18, 6, v19
	v_add_nc_u32_e32 v16, v8, v16
                                        ; implicit-def: $vgpr8
	s_delay_alu instid0(VALU_DEP_2)
	v_cmpx_ne_u32_e32 0, v18
	s_xor_b32 s11, exec_lo, s11
; %bb.16602:                            ;   in Loop: Header=BB6_16488 Depth=2
	s_delay_alu instid0(VALU_DEP_2) | instskip(SKIP_1) | instid1(VALU_DEP_1)
	v_cmp_lt_u64_e32 vcc_lo, 0xffffff, v[16:17]
	v_add_nc_u32_e32 v8, 7, v19
	v_cndmask_b32_e32 v8, v18, v8, vcc_lo
	v_cndmask_b32_e64 v18, 0, 1, vcc_lo
	s_delay_alu instid0(VALU_DEP_1)
	v_lshrrev_b64 v[16:17], v18, v[16:17]
; %bb.16603:                            ;   in Loop: Header=BB6_16488 Depth=2
	s_and_not1_saveexec_b32 s11, s11
; %bb.16604:                            ;   in Loop: Header=BB6_16488 Depth=2
	s_delay_alu instid0(VALU_DEP_1)
	v_bfe_u32 v8, v16, 23, 1
; %bb.16605:                            ;   in Loop: Header=BB6_16488 Depth=2
	s_or_b32 exec_lo, exec_lo, s11
	s_delay_alu instid0(VALU_DEP_2) | instskip(NEXT) | instid1(VALU_DEP_2)
	v_lshrrev_b64 v[16:17], 20, v[16:17]
	v_cmp_gt_i32_e32 vcc_lo, 16, v8
	v_min_i32_e32 v18, 15, v8
	v_cmp_eq_u32_e64 s11, 0, v8
	s_delay_alu instid0(VALU_DEP_2) | instskip(SKIP_1) | instid1(VALU_DEP_2)
	v_dual_cndmask_b32 v17, 0, v17 :: v_dual_lshlrev_b32 v18, 3, v18
	v_cndmask_b32_e32 v16, 7, v16, vcc_lo
	v_and_b32_e32 v18, 0xf8, v18
	s_delay_alu instid0(VALU_DEP_2) | instskip(NEXT) | instid1(VALU_DEP_2)
	v_cmp_eq_u64_e32 vcc_lo, 0, v[16:17]
	v_and_or_b32 v8, v16, 7, v18
	s_and_b32 s11, s11, vcc_lo
	s_delay_alu instid0(VALU_DEP_1) | instid1(SALU_CYCLE_1)
	v_cndmask_b32_e64 v8, v8, 0, s11
	s_delay_alu instid0(VALU_DEP_1)
	v_or_b32_e32 v8, v8, v9
.LBB6_16606:                            ;   in Loop: Header=BB6_16488 Depth=2
	s_or_b32 exec_lo, exec_lo, s40
                                        ; implicit-def: $vgpr9
.LBB6_16607:                            ;   in Loop: Header=BB6_16488 Depth=2
	s_and_not1_saveexec_b32 s11, s29
; %bb.16608:                            ;   in Loop: Header=BB6_16488 Depth=2
	v_or_b32_e32 v8, 0x7e, v9
; %bb.16609:                            ;   in Loop: Header=BB6_16488 Depth=2
	s_or_b32 exec_lo, exec_lo, s11
                                        ; implicit-def: $vgpr9
.LBB6_16610:                            ;   in Loop: Header=BB6_16488 Depth=2
	s_and_not1_saveexec_b32 s11, s28
; %bb.16611:                            ;   in Loop: Header=BB6_16488 Depth=2
	v_or_b32_e32 v8, 0x7f, v9
; %bb.16612:                            ;   in Loop: Header=BB6_16488 Depth=2
	s_or_b32 exec_lo, exec_lo, s11
	v_lshrrev_b16 v16, 8, v54
	v_mov_b32_e32 v9, 0
	s_mov_b32 s11, exec_lo
	s_delay_alu instid0(VALU_DEP_2)
	v_cmpx_ne_u16_e32 0, v16
	s_cbranch_execz .LBB6_16620
; %bb.16613:                            ;   in Loop: Header=BB6_16488 Depth=2
	v_bfrev_b32_e32 v9, 1
	s_mov_b32 s28, exec_lo
	v_cmpx_ne_u16_e32 0x80, v16
	s_cbranch_execz .LBB6_16619
; %bb.16614:                            ;   in Loop: Header=BB6_16488 Depth=2
	v_and_b32_e32 v16, 0xffff, v16
	v_mov_b32_e32 v9, 0x7f800001
	s_mov_b32 s29, exec_lo
	s_delay_alu instid0(VALU_DEP_2) | instskip(NEXT) | instid1(VALU_DEP_1)
	v_and_b32_e32 v18, 0x7f, v16
	v_cmpx_ne_u32_e32 0x7f, v18
	s_cbranch_execz .LBB6_16618
; %bb.16615:                            ;   in Loop: Header=BB6_16488 Depth=2
	v_dual_mov_b32 v17, v55 :: v_dual_bitop2_b32 v16, 7, v16 bitop3:0x40
	v_lshrrev_b32_e32 v9, 3, v18
	s_mov_b32 s40, exec_lo
	v_cmpx_gt_u32_e32 8, v18
; %bb.16616:                            ;   in Loop: Header=BB6_16488 Depth=2
	s_delay_alu instid0(VALU_DEP_3) | instskip(NEXT) | instid1(VALU_DEP_1)
	v_clz_i32_u32_e32 v9, v16
	v_min_u32_e32 v9, 32, v9
	s_delay_alu instid0(VALU_DEP_1) | instskip(NEXT) | instid1(VALU_DEP_1)
	v_subrev_nc_u32_e32 v18, 28, v9
	v_lshlrev_b64_e32 v[16:17], v18, v[16:17]
	s_delay_alu instid0(VALU_DEP_1)
	v_dual_sub_nc_u32 v9, 29, v9 :: v_dual_bitop2_b32 v16, 7, v16 bitop3:0x40
; %bb.16617:                            ;   in Loop: Header=BB6_16488 Depth=2
	s_or_b32 exec_lo, exec_lo, s40
	s_delay_alu instid0(VALU_DEP_1) | instskip(NEXT) | instid1(VALU_DEP_2)
	v_dual_lshlrev_b32 v17, 16, v54 :: v_dual_lshlrev_b32 v16, 20, v16
	v_lshl_add_u32 v9, v9, 23, 0x3c000000
	s_delay_alu instid0(VALU_DEP_2) | instskip(NEXT) | instid1(VALU_DEP_1)
	v_and_b32_e32 v17, 0x80000000, v17
	v_or3_b32 v9, v16, v17, v9
.LBB6_16618:                            ;   in Loop: Header=BB6_16488 Depth=2
	s_or_b32 exec_lo, exec_lo, s29
.LBB6_16619:                            ;   in Loop: Header=BB6_16488 Depth=2
	s_delay_alu instid0(SALU_CYCLE_1)
	s_or_b32 exec_lo, exec_lo, s28
.LBB6_16620:                            ;   in Loop: Header=BB6_16488 Depth=2
	s_delay_alu instid0(SALU_CYCLE_1) | instskip(NEXT) | instid1(VALU_DEP_1)
	s_or_b32 exec_lo, exec_lo, s11
	v_mul_f32_e32 v16, s27, v9
                                        ; implicit-def: $vgpr9
	s_mov_b32 s11, exec_lo
	s_delay_alu instid0(VALU_DEP_1) | instskip(SKIP_1) | instid1(VALU_DEP_2)
	v_and_b32_e32 v54, 0x7f800000, v16
	v_lshrrev_b32_e32 v17, 24, v16
	v_cmpx_ne_u64_e32 0x7f800000, v[54:55]
	s_xor_b32 s28, exec_lo, s11
	s_cbranch_execz .LBB6_16634
; %bb.16621:                            ;   in Loop: Header=BB6_16488 Depth=2
	v_and_b32_e32 v54, 0x7fffffff, v16
	v_and_b32_e32 v20, 0x80, v17
                                        ; implicit-def: $vgpr9
	s_mov_b32 s11, exec_lo
	s_delay_alu instid0(VALU_DEP_2)
	v_cmpx_gt_u64_e32 0x43e00001, v[54:55]
	s_xor_b32 s29, exec_lo, s11
	s_cbranch_execz .LBB6_16631
; %bb.16622:                            ;   in Loop: Header=BB6_16488 Depth=2
	v_mov_b32_e32 v9, 0
	s_mov_b32 s40, exec_lo
	v_cmpx_ne_u32_e32 0, v16
	s_cbranch_execz .LBB6_16630
; %bb.16623:                            ;   in Loop: Header=BB6_16488 Depth=2
	v_bfe_u32 v9, v16, 23, 8
	v_and_b32_e32 v18, 0x7fffff, v16
	s_delay_alu instid0(VALU_DEP_2) | instskip(NEXT) | instid1(VALU_DEP_2)
	v_cmp_gt_u32_e32 vcc_lo, 0x7a, v9
	v_or_b32_e32 v19, 0x800000, v18
	v_sub_nc_u32_e32 v17, 0x79, v9
	s_delay_alu instid0(VALU_DEP_1) | instskip(SKIP_1) | instid1(VALU_DEP_2)
	v_cndmask_b32_e32 v17, 0, v17, vcc_lo
	v_cmp_eq_u32_e32 vcc_lo, 0, v9
	v_cndmask_b32_e64 v21, v17, 0x78, vcc_lo
	s_delay_alu instid0(VALU_DEP_1) | instskip(SKIP_1) | instid1(VALU_DEP_2)
	v_dual_cndmask_b32 v54, v19, v18, vcc_lo :: v_dual_add_nc_u32 v16, 20, v21
	v_add_nc_u32_e32 v22, 19, v21
	v_lshlrev_b64_e64 v[16:17], v16, -1
	s_delay_alu instid0(VALU_DEP_2) | instskip(NEXT) | instid1(VALU_DEP_2)
	v_lshlrev_b64_e64 v[18:19], v22, 1
	v_bfi_b32 v23, v17, 0, 0
	s_delay_alu instid0(VALU_DEP_3) | instskip(SKIP_1) | instid1(VALU_DEP_2)
	v_bfi_b32 v22, v16, 0, v54
	v_lshrrev_b64 v[16:17], v21, v[54:55]
	v_cmp_eq_u64_e64 s11, v[22:23], v[18:19]
	s_delay_alu instid0(VALU_DEP_2)
	v_mov_b64_e32 v[18:19], v[16:17]
	s_and_saveexec_b32 s41, s11
; %bb.16624:                            ;   in Loop: Header=BB6_16488 Depth=2
	v_bfe_u32 v54, v16, 20, 1
	s_delay_alu instid0(VALU_DEP_1) | instskip(NEXT) | instid1(VALU_DEP_1)
	v_add_nc_u64_e32 v[18:19], v[16:17], v[54:55]
	v_add_nc_u64_e32 v[18:19], -1, v[18:19]
; %bb.16625:                            ;   in Loop: Header=BB6_16488 Depth=2
	s_or_b32 exec_lo, exec_lo, s41
	v_add_nc_u32_e32 v9, 0xffffff81, v9
	v_lshrrev_b32_e32 v17, 23, v16
	s_mov_b32 s11, exec_lo
	s_delay_alu instid0(VALU_DEP_2) | instskip(NEXT) | instid1(VALU_DEP_1)
	v_cndmask_b32_e64 v9, v9, 0xffffff82, vcc_lo
	v_add3_u32 v19, v21, v9, v17
	v_and_b32_e32 v9, 0xfffff, v18
	s_delay_alu instid0(VALU_DEP_1) | instskip(NEXT) | instid1(VALU_DEP_1)
	v_dual_add_nc_u32 v18, 6, v19 :: v_dual_add_nc_u32 v54, v9, v16
                                        ; implicit-def: $vgpr16_vgpr17
                                        ; implicit-def: $vgpr9
	v_cmpx_ne_u32_e32 0, v18
	s_xor_b32 s11, exec_lo, s11
; %bb.16626:                            ;   in Loop: Header=BB6_16488 Depth=2
	s_delay_alu instid0(VALU_DEP_2) | instskip(SKIP_2) | instid1(VALU_DEP_2)
	v_cmp_lt_u64_e32 vcc_lo, 0xffffff, v[54:55]
	v_add_nc_u32_e32 v9, 7, v19
	v_cndmask_b32_e64 v16, 0, 1, vcc_lo
	v_cndmask_b32_e32 v9, v18, v9, vcc_lo
	s_delay_alu instid0(VALU_DEP_2)
	v_lshrrev_b64 v[16:17], v16, v[54:55]
; %bb.16627:                            ;   in Loop: Header=BB6_16488 Depth=2
	s_and_not1_saveexec_b32 s11, s11
; %bb.16628:                            ;   in Loop: Header=BB6_16488 Depth=2
	v_mov_b64_e32 v[16:17], v[54:55]
	v_bfe_u32 v9, v54, 23, 1
; %bb.16629:                            ;   in Loop: Header=BB6_16488 Depth=2
	s_or_b32 exec_lo, exec_lo, s11
	s_delay_alu instid0(VALU_DEP_2) | instskip(NEXT) | instid1(VALU_DEP_2)
	v_lshrrev_b64 v[16:17], 20, v[16:17]
	v_cmp_gt_i32_e32 vcc_lo, 16, v9
	v_min_i32_e32 v18, 15, v9
	v_cmp_eq_u32_e64 s11, 0, v9
	s_delay_alu instid0(VALU_DEP_2) | instskip(SKIP_1) | instid1(VALU_DEP_2)
	v_dual_cndmask_b32 v16, 7, v16, vcc_lo :: v_dual_lshlrev_b32 v18, 3, v18
	v_cndmask_b32_e32 v17, 0, v17, vcc_lo
	v_and_b32_e32 v18, 0xf8, v18
	s_delay_alu instid0(VALU_DEP_2) | instskip(NEXT) | instid1(VALU_DEP_2)
	v_cmp_eq_u64_e32 vcc_lo, 0, v[16:17]
	v_and_or_b32 v9, v16, 7, v18
	s_and_b32 s11, s11, vcc_lo
	s_delay_alu instid0(VALU_DEP_1) | instid1(SALU_CYCLE_1)
	v_cndmask_b32_e64 v9, v9, 0, s11
	s_delay_alu instid0(VALU_DEP_1)
	v_or_b32_e32 v9, v9, v20
.LBB6_16630:                            ;   in Loop: Header=BB6_16488 Depth=2
	s_or_b32 exec_lo, exec_lo, s40
                                        ; implicit-def: $vgpr20
.LBB6_16631:                            ;   in Loop: Header=BB6_16488 Depth=2
	s_and_not1_saveexec_b32 s11, s29
; %bb.16632:                            ;   in Loop: Header=BB6_16488 Depth=2
	v_or_b32_e32 v9, 0x7e, v20
; %bb.16633:                            ;   in Loop: Header=BB6_16488 Depth=2
	s_or_b32 exec_lo, exec_lo, s11
                                        ; implicit-def: $vgpr17
.LBB6_16634:                            ;   in Loop: Header=BB6_16488 Depth=2
	s_and_not1_saveexec_b32 s11, s28
; %bb.16635:                            ;   in Loop: Header=BB6_16488 Depth=2
	v_or_b32_e32 v9, 0x7f, v17
; %bb.16636:                            ;   in Loop: Header=BB6_16488 Depth=2
	s_or_b32 exec_lo, exec_lo, s11
	v_dual_mov_b32 v17, 0 :: v_dual_lshrrev_b32 v16, 16, v11
	s_mov_b32 s11, exec_lo
	s_delay_alu instid0(VALU_DEP_1) | instskip(NEXT) | instid1(VALU_DEP_1)
	v_and_b32_e32 v18, 0xff, v16
	v_cmpx_ne_u16_e32 0, v18
	s_cbranch_execz .LBB6_16644
; %bb.16637:                            ;   in Loop: Header=BB6_16488 Depth=2
	v_bfrev_b32_e32 v17, 1
	s_mov_b32 s28, exec_lo
	v_cmpx_ne_u16_e32 0x80, v18
	s_cbranch_execz .LBB6_16643
; %bb.16638:                            ;   in Loop: Header=BB6_16488 Depth=2
	v_bfe_u32 v18, v11, 16, 7
	v_mov_b32_e32 v17, 0x7f800001
	s_mov_b32 s29, exec_lo
	s_delay_alu instid0(VALU_DEP_2)
	v_cmpx_ne_u32_e32 0x7f, v18
	s_cbranch_execz .LBB6_16642
; %bb.16639:                            ;   in Loop: Header=BB6_16488 Depth=2
	v_dual_lshrrev_b32 v17, 3, v18 :: v_dual_bitop2_b32 v54, 7, v16 bitop3:0x40
	s_mov_b32 s40, exec_lo
	v_cmpx_gt_u32_e32 8, v18
; %bb.16640:                            ;   in Loop: Header=BB6_16488 Depth=2
	s_delay_alu instid0(VALU_DEP_2) | instskip(NEXT) | instid1(VALU_DEP_1)
	v_clz_i32_u32_e32 v17, v54
	v_min_u32_e32 v17, 32, v17
	s_delay_alu instid0(VALU_DEP_1) | instskip(NEXT) | instid1(VALU_DEP_1)
	v_subrev_nc_u32_e32 v18, 28, v17
	v_lshlrev_b64_e32 v[18:19], v18, v[54:55]
	s_delay_alu instid0(VALU_DEP_1)
	v_dual_sub_nc_u32 v17, 29, v17 :: v_dual_bitop2_b32 v54, 7, v18 bitop3:0x40
; %bb.16641:                            ;   in Loop: Header=BB6_16488 Depth=2
	s_or_b32 exec_lo, exec_lo, s40
	s_delay_alu instid0(VALU_DEP_1) | instskip(NEXT) | instid1(VALU_DEP_2)
	v_dual_lshlrev_b32 v16, 24, v16 :: v_dual_lshlrev_b32 v18, 20, v54
	v_lshl_add_u32 v17, v17, 23, 0x3c000000
	s_delay_alu instid0(VALU_DEP_2) | instskip(NEXT) | instid1(VALU_DEP_1)
	v_and_b32_e32 v16, 0x80000000, v16
	v_or3_b32 v17, v18, v16, v17
.LBB6_16642:                            ;   in Loop: Header=BB6_16488 Depth=2
	s_or_b32 exec_lo, exec_lo, s29
.LBB6_16643:                            ;   in Loop: Header=BB6_16488 Depth=2
	s_delay_alu instid0(SALU_CYCLE_1)
	s_or_b32 exec_lo, exec_lo, s28
.LBB6_16644:                            ;   in Loop: Header=BB6_16488 Depth=2
	s_delay_alu instid0(SALU_CYCLE_1) | instskip(NEXT) | instid1(VALU_DEP_1)
	s_or_b32 exec_lo, exec_lo, s11
	v_mul_f32_e32 v16, s27, v17
                                        ; implicit-def: $vgpr18
	s_mov_b32 s11, exec_lo
	s_delay_alu instid0(VALU_DEP_1) | instskip(SKIP_1) | instid1(VALU_DEP_2)
	v_and_b32_e32 v54, 0x7f800000, v16
	v_lshrrev_b32_e32 v17, 24, v16
	v_cmpx_ne_u64_e32 0x7f800000, v[54:55]
	s_xor_b32 s28, exec_lo, s11
	s_cbranch_execz .LBB6_16658
; %bb.16645:                            ;   in Loop: Header=BB6_16488 Depth=2
	v_and_b32_e32 v54, 0x7fffffff, v16
	v_and_b32_e32 v20, 0x80, v17
                                        ; implicit-def: $vgpr18
	s_mov_b32 s11, exec_lo
	s_delay_alu instid0(VALU_DEP_2)
	v_cmpx_gt_u64_e32 0x43e00001, v[54:55]
	s_xor_b32 s29, exec_lo, s11
	s_cbranch_execz .LBB6_16655
; %bb.16646:                            ;   in Loop: Header=BB6_16488 Depth=2
	v_mov_b32_e32 v18, 0
	s_mov_b32 s40, exec_lo
	v_cmpx_ne_u32_e32 0, v16
	s_cbranch_execz .LBB6_16654
; %bb.16647:                            ;   in Loop: Header=BB6_16488 Depth=2
	v_bfe_u32 v21, v16, 23, 8
	v_and_b32_e32 v18, 0x7fffff, v16
	s_delay_alu instid0(VALU_DEP_2) | instskip(NEXT) | instid1(VALU_DEP_2)
	v_cmp_gt_u32_e32 vcc_lo, 0x7a, v21
	v_or_b32_e32 v19, 0x800000, v18
	v_sub_nc_u32_e32 v17, 0x79, v21
	s_delay_alu instid0(VALU_DEP_1) | instskip(SKIP_1) | instid1(VALU_DEP_2)
	v_cndmask_b32_e32 v17, 0, v17, vcc_lo
	v_cmp_eq_u32_e32 vcc_lo, 0, v21
	v_cndmask_b32_e64 v22, v17, 0x78, vcc_lo
	v_cndmask_b32_e32 v54, v19, v18, vcc_lo
	s_delay_alu instid0(VALU_DEP_2) | instskip(NEXT) | instid1(VALU_DEP_1)
	v_dual_add_nc_u32 v16, 20, v22 :: v_dual_add_nc_u32 v23, 19, v22
	v_lshlrev_b64_e64 v[16:17], v16, -1
	s_delay_alu instid0(VALU_DEP_2) | instskip(NEXT) | instid1(VALU_DEP_2)
	v_lshlrev_b64_e64 v[18:19], v23, 1
	v_bfi_b32 v25, v17, 0, 0
	s_delay_alu instid0(VALU_DEP_3) | instskip(SKIP_1) | instid1(VALU_DEP_2)
	v_bfi_b32 v24, v16, 0, v54
	v_lshrrev_b64 v[16:17], v22, v[54:55]
	v_cmp_eq_u64_e64 s11, v[24:25], v[18:19]
	s_delay_alu instid0(VALU_DEP_2)
	v_mov_b64_e32 v[18:19], v[16:17]
	s_and_saveexec_b32 s41, s11
; %bb.16648:                            ;   in Loop: Header=BB6_16488 Depth=2
	v_bfe_u32 v54, v16, 20, 1
	s_delay_alu instid0(VALU_DEP_1) | instskip(NEXT) | instid1(VALU_DEP_1)
	v_add_nc_u64_e32 v[18:19], v[16:17], v[54:55]
	v_add_nc_u64_e32 v[18:19], -1, v[18:19]
; %bb.16649:                            ;   in Loop: Header=BB6_16488 Depth=2
	s_or_b32 exec_lo, exec_lo, s41
	v_add_nc_u32_e32 v17, 0xffffff81, v21
	v_lshrrev_b32_e32 v19, 23, v16
	s_mov_b32 s11, exec_lo
	s_delay_alu instid0(VALU_DEP_2) | instskip(NEXT) | instid1(VALU_DEP_1)
	v_cndmask_b32_e64 v17, v17, 0xffffff82, vcc_lo
	v_add3_u32 v19, v22, v17, v19
	v_and_b32_e32 v17, 0xfffff, v18
                                        ; implicit-def: $vgpr18
	s_delay_alu instid0(VALU_DEP_1) | instskip(NEXT) | instid1(VALU_DEP_1)
	v_dual_add_nc_u32 v21, 6, v19 :: v_dual_add_nc_u32 v54, v17, v16
                                        ; implicit-def: $vgpr16_vgpr17
	v_cmpx_ne_u32_e32 0, v21
	s_xor_b32 s11, exec_lo, s11
; %bb.16650:                            ;   in Loop: Header=BB6_16488 Depth=2
	s_delay_alu instid0(VALU_DEP_2) | instskip(SKIP_1) | instid1(VALU_DEP_1)
	v_cmp_lt_u64_e32 vcc_lo, 0xffffff, v[54:55]
	v_add_nc_u32_e32 v16, 7, v19
	v_cndmask_b32_e32 v18, v21, v16, vcc_lo
	v_cndmask_b32_e64 v16, 0, 1, vcc_lo
	s_delay_alu instid0(VALU_DEP_1)
	v_lshrrev_b64 v[16:17], v16, v[54:55]
; %bb.16651:                            ;   in Loop: Header=BB6_16488 Depth=2
	s_and_not1_saveexec_b32 s11, s11
; %bb.16652:                            ;   in Loop: Header=BB6_16488 Depth=2
	v_mov_b64_e32 v[16:17], v[54:55]
	v_bfe_u32 v18, v54, 23, 1
; %bb.16653:                            ;   in Loop: Header=BB6_16488 Depth=2
	s_or_b32 exec_lo, exec_lo, s11
	s_delay_alu instid0(VALU_DEP_2) | instskip(NEXT) | instid1(VALU_DEP_2)
	v_lshrrev_b64 v[16:17], 20, v[16:17]
	v_cmp_gt_i32_e32 vcc_lo, 16, v18
	v_min_i32_e32 v19, 15, v18
	v_cmp_eq_u32_e64 s11, 0, v18
	s_delay_alu instid0(VALU_DEP_2) | instskip(SKIP_1) | instid1(VALU_DEP_2)
	v_dual_cndmask_b32 v17, 0, v17, vcc_lo :: v_dual_lshlrev_b32 v19, 3, v19
	v_cndmask_b32_e32 v16, 7, v16, vcc_lo
	v_and_b32_e32 v19, 0xf8, v19
	s_delay_alu instid0(VALU_DEP_2) | instskip(NEXT) | instid1(VALU_DEP_2)
	v_cmp_eq_u64_e32 vcc_lo, 0, v[16:17]
	v_and_or_b32 v16, v16, 7, v19
	s_and_b32 s11, s11, vcc_lo
	s_delay_alu instid0(VALU_DEP_1) | instid1(SALU_CYCLE_1)
	v_cndmask_b32_e64 v16, v16, 0, s11
	s_delay_alu instid0(VALU_DEP_1)
	v_or_b32_e32 v18, v16, v20
.LBB6_16654:                            ;   in Loop: Header=BB6_16488 Depth=2
	s_or_b32 exec_lo, exec_lo, s40
                                        ; implicit-def: $vgpr20
.LBB6_16655:                            ;   in Loop: Header=BB6_16488 Depth=2
	s_and_not1_saveexec_b32 s11, s29
; %bb.16656:                            ;   in Loop: Header=BB6_16488 Depth=2
	v_or_b32_e32 v18, 0x7e, v20
; %bb.16657:                            ;   in Loop: Header=BB6_16488 Depth=2
	s_or_b32 exec_lo, exec_lo, s11
                                        ; implicit-def: $vgpr17
.LBB6_16658:                            ;   in Loop: Header=BB6_16488 Depth=2
	s_and_not1_saveexec_b32 s11, s28
; %bb.16659:                            ;   in Loop: Header=BB6_16488 Depth=2
	v_or_b32_e32 v18, 0x7f, v17
; %bb.16660:                            ;   in Loop: Header=BB6_16488 Depth=2
	s_or_b32 exec_lo, exec_lo, s11
	v_mov_b32_e32 v16, 0
	s_mov_b32 s11, exec_lo
	v_cmpx_lt_u64_e64 s[12:13], v[10:11]
	s_cbranch_execz .LBB6_16668
; %bb.16661:                            ;   in Loop: Header=BB6_16488 Depth=2
	v_lshrrev_b32_e32 v10, 24, v11
	v_bfrev_b32_e32 v16, 1
	s_mov_b32 s28, exec_lo
	s_delay_alu instid0(VALU_DEP_2)
	v_cmpx_ne_u32_e32 0x80, v10
	s_cbranch_execz .LBB6_16667
; %bb.16662:                            ;   in Loop: Header=BB6_16488 Depth=2
	v_bfe_u32 v17, v11, 24, 7
	v_mov_b32_e32 v16, 0x7f800001
	s_mov_b32 s29, exec_lo
	s_delay_alu instid0(VALU_DEP_2)
	v_cmpx_ne_u32_e32 0x7f, v17
	s_cbranch_execz .LBB6_16666
; %bb.16663:                            ;   in Loop: Header=BB6_16488 Depth=2
	v_dual_lshrrev_b32 v11, 3, v17 :: v_dual_bitop2_b32 v54, 7, v10 bitop3:0x40
	s_mov_b32 s40, exec_lo
	v_cmpx_gt_u32_e32 8, v17
; %bb.16664:                            ;   in Loop: Header=BB6_16488 Depth=2
	s_delay_alu instid0(VALU_DEP_2) | instskip(NEXT) | instid1(VALU_DEP_1)
	v_clz_i32_u32_e32 v11, v54
	v_min_u32_e32 v11, 32, v11
	s_delay_alu instid0(VALU_DEP_1) | instskip(NEXT) | instid1(VALU_DEP_1)
	v_subrev_nc_u32_e32 v16, 28, v11
	v_lshlrev_b64_e32 v[16:17], v16, v[54:55]
	s_delay_alu instid0(VALU_DEP_1)
	v_dual_sub_nc_u32 v11, 29, v11 :: v_dual_bitop2_b32 v54, 7, v16 bitop3:0x40
; %bb.16665:                            ;   in Loop: Header=BB6_16488 Depth=2
	s_or_b32 exec_lo, exec_lo, s40
	v_lshlrev_b32_e32 v10, 24, v10
	s_delay_alu instid0(VALU_DEP_2) | instskip(NEXT) | instid1(VALU_DEP_3)
	v_lshlrev_b32_e32 v16, 20, v54
	v_lshl_add_u32 v11, v11, 23, 0x3c000000
	s_delay_alu instid0(VALU_DEP_3) | instskip(NEXT) | instid1(VALU_DEP_1)
	v_and_b32_e32 v10, 0x80000000, v10
	v_or3_b32 v16, v16, v10, v11
.LBB6_16666:                            ;   in Loop: Header=BB6_16488 Depth=2
	s_or_b32 exec_lo, exec_lo, s29
.LBB6_16667:                            ;   in Loop: Header=BB6_16488 Depth=2
	s_delay_alu instid0(SALU_CYCLE_1)
	s_or_b32 exec_lo, exec_lo, s28
.LBB6_16668:                            ;   in Loop: Header=BB6_16488 Depth=2
	s_delay_alu instid0(SALU_CYCLE_1) | instskip(NEXT) | instid1(VALU_DEP_1)
	s_or_b32 exec_lo, exec_lo, s11
	v_mul_f32_e32 v10, s27, v16
                                        ; implicit-def: $vgpr19
	s_mov_b32 s11, exec_lo
	s_delay_alu instid0(VALU_DEP_1) | instskip(SKIP_1) | instid1(VALU_DEP_2)
	v_and_b32_e32 v54, 0x7f800000, v10
	v_lshrrev_b32_e32 v11, 24, v10
	v_cmpx_ne_u64_e32 0x7f800000, v[54:55]
	s_xor_b32 s28, exec_lo, s11
	s_cbranch_execz .LBB6_16682
; %bb.16669:                            ;   in Loop: Header=BB6_16488 Depth=2
	v_and_b32_e32 v54, 0x7fffffff, v10
	v_and_b32_e32 v20, 0x80, v11
                                        ; implicit-def: $vgpr19
	s_mov_b32 s11, exec_lo
	s_delay_alu instid0(VALU_DEP_2)
	v_cmpx_gt_u64_e32 0x43e00001, v[54:55]
	s_xor_b32 s29, exec_lo, s11
	s_cbranch_execz .LBB6_16679
; %bb.16670:                            ;   in Loop: Header=BB6_16488 Depth=2
	v_mov_b32_e32 v19, 0
	s_mov_b32 s40, exec_lo
	v_cmpx_ne_u32_e32 0, v10
	s_cbranch_execz .LBB6_16678
; %bb.16671:                            ;   in Loop: Header=BB6_16488 Depth=2
	v_bfe_u32 v19, v10, 23, 8
	v_and_b32_e32 v16, 0x7fffff, v10
	s_delay_alu instid0(VALU_DEP_2) | instskip(NEXT) | instid1(VALU_DEP_2)
	v_cmp_gt_u32_e32 vcc_lo, 0x7a, v19
	v_or_b32_e32 v17, 0x800000, v16
	v_sub_nc_u32_e32 v11, 0x79, v19
	s_delay_alu instid0(VALU_DEP_1) | instskip(SKIP_1) | instid1(VALU_DEP_2)
	v_cndmask_b32_e32 v11, 0, v11, vcc_lo
	v_cmp_eq_u32_e32 vcc_lo, 0, v19
	v_cndmask_b32_e64 v21, v11, 0x78, vcc_lo
	s_delay_alu instid0(VALU_DEP_1) | instskip(SKIP_1) | instid1(VALU_DEP_2)
	v_dual_cndmask_b32 v54, v17, v16, vcc_lo :: v_dual_add_nc_u32 v10, 20, v21
	v_add_nc_u32_e32 v22, 19, v21
	v_lshlrev_b64_e64 v[10:11], v10, -1
	s_delay_alu instid0(VALU_DEP_2) | instskip(NEXT) | instid1(VALU_DEP_2)
	v_lshlrev_b64_e64 v[16:17], v22, 1
	v_bfi_b32 v23, v11, 0, 0
	s_delay_alu instid0(VALU_DEP_3) | instskip(SKIP_1) | instid1(VALU_DEP_2)
	v_bfi_b32 v22, v10, 0, v54
	v_lshrrev_b64 v[10:11], v21, v[54:55]
	v_cmp_eq_u64_e64 s11, v[22:23], v[16:17]
	s_delay_alu instid0(VALU_DEP_2)
	v_mov_b64_e32 v[16:17], v[10:11]
	s_and_saveexec_b32 s41, s11
; %bb.16672:                            ;   in Loop: Header=BB6_16488 Depth=2
	v_bfe_u32 v54, v10, 20, 1
	s_delay_alu instid0(VALU_DEP_1) | instskip(NEXT) | instid1(VALU_DEP_1)
	v_add_nc_u64_e32 v[16:17], v[10:11], v[54:55]
	v_add_nc_u64_e32 v[16:17], -1, v[16:17]
; %bb.16673:                            ;   in Loop: Header=BB6_16488 Depth=2
	s_or_b32 exec_lo, exec_lo, s41
	v_add_nc_u32_e32 v11, 0xffffff81, v19
	v_lshrrev_b32_e32 v17, 23, v10
	s_mov_b32 s11, exec_lo
	s_delay_alu instid0(VALU_DEP_2) | instskip(NEXT) | instid1(VALU_DEP_1)
	v_cndmask_b32_e64 v11, v11, 0xffffff82, vcc_lo
	v_add3_u32 v17, v21, v11, v17
	v_and_b32_e32 v11, 0xfffff, v16
                                        ; implicit-def: $vgpr16
	s_delay_alu instid0(VALU_DEP_1) | instskip(NEXT) | instid1(VALU_DEP_1)
	v_dual_add_nc_u32 v19, 6, v17 :: v_dual_add_nc_u32 v54, v11, v10
                                        ; implicit-def: $vgpr10_vgpr11
	v_cmpx_ne_u32_e32 0, v19
	s_xor_b32 s11, exec_lo, s11
; %bb.16674:                            ;   in Loop: Header=BB6_16488 Depth=2
	s_delay_alu instid0(VALU_DEP_2) | instskip(SKIP_1) | instid1(VALU_DEP_1)
	v_cmp_lt_u64_e32 vcc_lo, 0xffffff, v[54:55]
	v_add_nc_u32_e32 v10, 7, v17
	v_cndmask_b32_e32 v16, v19, v10, vcc_lo
	v_cndmask_b32_e64 v10, 0, 1, vcc_lo
	s_delay_alu instid0(VALU_DEP_1)
	v_lshrrev_b64 v[10:11], v10, v[54:55]
; %bb.16675:                            ;   in Loop: Header=BB6_16488 Depth=2
	s_and_not1_saveexec_b32 s11, s11
; %bb.16676:                            ;   in Loop: Header=BB6_16488 Depth=2
	v_mov_b64_e32 v[10:11], v[54:55]
	v_bfe_u32 v16, v54, 23, 1
; %bb.16677:                            ;   in Loop: Header=BB6_16488 Depth=2
	s_or_b32 exec_lo, exec_lo, s11
	s_delay_alu instid0(VALU_DEP_2) | instskip(NEXT) | instid1(VALU_DEP_2)
	v_lshrrev_b64 v[10:11], 20, v[10:11]
	v_cmp_gt_i32_e32 vcc_lo, 16, v16
	v_min_i32_e32 v17, 15, v16
	v_cmp_eq_u32_e64 s11, 0, v16
	s_delay_alu instid0(VALU_DEP_2) | instskip(SKIP_1) | instid1(VALU_DEP_2)
	v_dual_cndmask_b32 v11, 0, v11, vcc_lo :: v_dual_lshlrev_b32 v17, 3, v17
	v_cndmask_b32_e32 v10, 7, v10, vcc_lo
	v_and_b32_e32 v17, 0xf8, v17
	s_delay_alu instid0(VALU_DEP_2) | instskip(NEXT) | instid1(VALU_DEP_2)
	v_cmp_eq_u64_e32 vcc_lo, 0, v[10:11]
	v_and_or_b32 v10, v10, 7, v17
	s_and_b32 s11, s11, vcc_lo
	s_delay_alu instid0(VALU_DEP_1) | instid1(SALU_CYCLE_1)
	v_cndmask_b32_e64 v10, v10, 0, s11
	s_delay_alu instid0(VALU_DEP_1)
	v_or_b32_e32 v19, v10, v20
.LBB6_16678:                            ;   in Loop: Header=BB6_16488 Depth=2
	s_or_b32 exec_lo, exec_lo, s40
                                        ; implicit-def: $vgpr20
.LBB6_16679:                            ;   in Loop: Header=BB6_16488 Depth=2
	s_and_not1_saveexec_b32 s11, s29
; %bb.16680:                            ;   in Loop: Header=BB6_16488 Depth=2
	v_or_b32_e32 v19, 0x7e, v20
; %bb.16681:                            ;   in Loop: Header=BB6_16488 Depth=2
	s_or_b32 exec_lo, exec_lo, s11
                                        ; implicit-def: $vgpr11
.LBB6_16682:                            ;   in Loop: Header=BB6_16488 Depth=2
	s_and_not1_saveexec_b32 s11, s28
; %bb.16683:                            ;   in Loop: Header=BB6_16488 Depth=2
	v_or_b32_e32 v19, 0x7f, v11
; %bb.16684:                            ;   in Loop: Header=BB6_16488 Depth=2
	s_or_b32 exec_lo, exec_lo, s11
	v_and_b32_e32 v11, 0xff, v12
	v_mov_b32_e32 v10, 0
	s_mov_b32 s11, exec_lo
	s_delay_alu instid0(VALU_DEP_2)
	v_cmpx_ne_u16_e32 0, v11
	s_cbranch_execz .LBB6_16690
; %bb.16685:                            ;   in Loop: Header=BB6_16488 Depth=2
	v_bfrev_b32_e32 v10, 1
	s_mov_b32 s28, exec_lo
	v_cmpx_ne_u16_e32 0x80, v11
	s_cbranch_execz .LBB6_16689
; %bb.16686:                            ;   in Loop: Header=BB6_16488 Depth=2
	v_and_b32_e32 v11, 0x7f, v12
	v_mov_b32_e32 v10, 0x7f800001
	s_mov_b32 s29, exec_lo
	s_delay_alu instid0(VALU_DEP_2)
	v_cmpx_ne_u32_e32 0x7f, v11
	s_cbranch_execz .LBB6_16688
; %bb.16687:                            ;   in Loop: Header=BB6_16488 Depth=2
	v_dual_lshrrev_b32 v16, 3, v11 :: v_dual_bitop2_b32 v10, 7, v12 bitop3:0x40
	v_cmp_gt_u32_e32 vcc_lo, 8, v11
	s_delay_alu instid0(VALU_DEP_2) | instskip(NEXT) | instid1(VALU_DEP_1)
	v_clz_i32_u32_e32 v10, v10
	v_min_u32_e32 v10, 32, v10
	s_delay_alu instid0(VALU_DEP_1) | instskip(SKIP_1) | instid1(VALU_DEP_1)
	v_subrev_nc_u32_e32 v17, 28, v10
	v_sub_nc_u32_e32 v10, 29, v10
	v_dual_cndmask_b32 v16, v16, v10, vcc_lo :: v_dual_cndmask_b32 v10, 0, v17, vcc_lo
	s_delay_alu instid0(VALU_DEP_1) | instskip(NEXT) | instid1(VALU_DEP_2)
	v_lshl_add_u32 v16, v16, 23, 0x3c000000
	v_lshlrev_b64_e32 v[10:11], v10, v[12:13]
	v_lshlrev_b32_e32 v11, 24, v12
	s_delay_alu instid0(VALU_DEP_1) | instskip(NEXT) | instid1(VALU_DEP_3)
	v_and_b32_e32 v11, 0x80000000, v11
	v_lshlrev_b32_e32 v10, 20, v10
	s_delay_alu instid0(VALU_DEP_1) | instskip(NEXT) | instid1(VALU_DEP_1)
	v_and_b32_e32 v10, 0x700000, v10
	v_or3_b32 v10, v10, v11, v16
.LBB6_16688:                            ;   in Loop: Header=BB6_16488 Depth=2
	s_or_b32 exec_lo, exec_lo, s29
.LBB6_16689:                            ;   in Loop: Header=BB6_16488 Depth=2
	s_delay_alu instid0(SALU_CYCLE_1)
	s_or_b32 exec_lo, exec_lo, s28
.LBB6_16690:                            ;   in Loop: Header=BB6_16488 Depth=2
	s_delay_alu instid0(SALU_CYCLE_1) | instskip(NEXT) | instid1(VALU_DEP_1)
	s_or_b32 exec_lo, exec_lo, s11
	v_mul_f32_e32 v10, s27, v10
                                        ; implicit-def: $vgpr20
	s_mov_b32 s11, exec_lo
	s_delay_alu instid0(VALU_DEP_1) | instskip(SKIP_1) | instid1(VALU_DEP_2)
	v_and_b32_e32 v54, 0x7f800000, v10
	v_lshrrev_b32_e32 v11, 24, v10
	v_cmpx_ne_u64_e32 0x7f800000, v[54:55]
	s_xor_b32 s28, exec_lo, s11
	s_cbranch_execz .LBB6_16704
; %bb.16691:                            ;   in Loop: Header=BB6_16488 Depth=2
	v_and_b32_e32 v54, 0x7fffffff, v10
	v_and_b32_e32 v21, 0x80, v11
                                        ; implicit-def: $vgpr20
	s_mov_b32 s11, exec_lo
	s_delay_alu instid0(VALU_DEP_2)
	v_cmpx_gt_u64_e32 0x43e00001, v[54:55]
	s_xor_b32 s29, exec_lo, s11
	s_cbranch_execz .LBB6_16701
; %bb.16692:                            ;   in Loop: Header=BB6_16488 Depth=2
	v_mov_b32_e32 v20, 0
	s_mov_b32 s40, exec_lo
	v_cmpx_ne_u32_e32 0, v10
	s_cbranch_execz .LBB6_16700
; %bb.16693:                            ;   in Loop: Header=BB6_16488 Depth=2
	v_bfe_u32 v20, v10, 23, 8
	v_and_b32_e32 v16, 0x7fffff, v10
	s_delay_alu instid0(VALU_DEP_2) | instskip(SKIP_1) | instid1(VALU_DEP_3)
	v_sub_nc_u32_e32 v11, 0x79, v20
	v_cmp_gt_u32_e32 vcc_lo, 0x7a, v20
	v_or_b32_e32 v17, 0x800000, v16
	s_delay_alu instid0(VALU_DEP_3) | instskip(SKIP_1) | instid1(VALU_DEP_2)
	v_cndmask_b32_e32 v11, 0, v11, vcc_lo
	v_cmp_eq_u32_e32 vcc_lo, 0, v20
	v_cndmask_b32_e64 v22, v11, 0x78, vcc_lo
	s_delay_alu instid0(VALU_DEP_1) | instskip(SKIP_1) | instid1(VALU_DEP_2)
	v_dual_cndmask_b32 v54, v17, v16 :: v_dual_add_nc_u32 v23, 19, v22
	v_add_nc_u32_e32 v10, 20, v22
	v_lshlrev_b64_e64 v[16:17], v23, 1
	s_delay_alu instid0(VALU_DEP_2) | instskip(NEXT) | instid1(VALU_DEP_1)
	v_lshlrev_b64_e64 v[10:11], v10, -1
	v_bfi_b32 v25, v11, 0, 0
	s_delay_alu instid0(VALU_DEP_2) | instskip(SKIP_1) | instid1(VALU_DEP_2)
	v_bfi_b32 v24, v10, 0, v54
	v_lshrrev_b64 v[10:11], v22, v[54:55]
	v_cmp_eq_u64_e64 s11, v[24:25], v[16:17]
	s_delay_alu instid0(VALU_DEP_2)
	v_mov_b64_e32 v[16:17], v[10:11]
	s_and_saveexec_b32 s41, s11
; %bb.16694:                            ;   in Loop: Header=BB6_16488 Depth=2
	v_bfe_u32 v54, v10, 20, 1
	s_delay_alu instid0(VALU_DEP_1) | instskip(NEXT) | instid1(VALU_DEP_1)
	v_add_nc_u64_e32 v[16:17], v[10:11], v[54:55]
	v_add_nc_u64_e32 v[16:17], -1, v[16:17]
; %bb.16695:                            ;   in Loop: Header=BB6_16488 Depth=2
	s_or_b32 exec_lo, exec_lo, s41
	v_add_nc_u32_e32 v11, 0xffffff81, v20
	v_lshrrev_b32_e32 v17, 23, v10
	s_mov_b32 s11, exec_lo
	s_delay_alu instid0(VALU_DEP_2) | instskip(NEXT) | instid1(VALU_DEP_1)
	v_cndmask_b32_e64 v11, v11, 0xffffff82, vcc_lo
	v_add3_u32 v17, v22, v11, v17
	v_and_b32_e32 v11, 0xfffff, v16
                                        ; implicit-def: $vgpr16
	s_delay_alu instid0(VALU_DEP_1) | instskip(NEXT) | instid1(VALU_DEP_1)
	v_dual_add_nc_u32 v20, 6, v17 :: v_dual_add_nc_u32 v54, v11, v10
                                        ; implicit-def: $vgpr10_vgpr11
	v_cmpx_ne_u32_e32 0, v20
	s_xor_b32 s11, exec_lo, s11
; %bb.16696:                            ;   in Loop: Header=BB6_16488 Depth=2
	s_delay_alu instid0(VALU_DEP_2) | instskip(SKIP_1) | instid1(VALU_DEP_1)
	v_cmp_lt_u64_e32 vcc_lo, 0xffffff, v[54:55]
	v_add_nc_u32_e32 v10, 7, v17
	v_cndmask_b32_e32 v16, v20, v10, vcc_lo
	v_cndmask_b32_e64 v10, 0, 1, vcc_lo
	s_delay_alu instid0(VALU_DEP_1)
	v_lshrrev_b64 v[10:11], v10, v[54:55]
; %bb.16697:                            ;   in Loop: Header=BB6_16488 Depth=2
	s_and_not1_saveexec_b32 s11, s11
; %bb.16698:                            ;   in Loop: Header=BB6_16488 Depth=2
	v_mov_b64_e32 v[10:11], v[54:55]
	v_bfe_u32 v16, v54, 23, 1
; %bb.16699:                            ;   in Loop: Header=BB6_16488 Depth=2
	s_or_b32 exec_lo, exec_lo, s11
	s_delay_alu instid0(VALU_DEP_2) | instskip(NEXT) | instid1(VALU_DEP_2)
	v_lshrrev_b64 v[10:11], 20, v[10:11]
	v_cmp_gt_i32_e32 vcc_lo, 16, v16
	v_min_i32_e32 v17, 15, v16
	v_cmp_eq_u32_e64 s11, 0, v16
	s_delay_alu instid0(VALU_DEP_2) | instskip(SKIP_1) | instid1(VALU_DEP_2)
	v_dual_cndmask_b32 v11, 0, v11, vcc_lo :: v_dual_lshlrev_b32 v17, 3, v17
	v_cndmask_b32_e32 v10, 7, v10, vcc_lo
	v_and_b32_e32 v17, 0xf8, v17
	s_delay_alu instid0(VALU_DEP_2) | instskip(NEXT) | instid1(VALU_DEP_2)
	v_cmp_eq_u64_e32 vcc_lo, 0, v[10:11]
	v_and_or_b32 v10, v10, 7, v17
	s_and_b32 s11, s11, vcc_lo
	s_delay_alu instid0(VALU_DEP_1) | instid1(SALU_CYCLE_1)
	v_cndmask_b32_e64 v10, v10, 0, s11
	s_delay_alu instid0(VALU_DEP_1)
	v_or_b32_e32 v20, v10, v21
.LBB6_16700:                            ;   in Loop: Header=BB6_16488 Depth=2
	s_or_b32 exec_lo, exec_lo, s40
                                        ; implicit-def: $vgpr21
.LBB6_16701:                            ;   in Loop: Header=BB6_16488 Depth=2
	s_and_not1_saveexec_b32 s11, s29
; %bb.16702:                            ;   in Loop: Header=BB6_16488 Depth=2
	v_or_b32_e32 v20, 0x7e, v21
; %bb.16703:                            ;   in Loop: Header=BB6_16488 Depth=2
	s_or_b32 exec_lo, exec_lo, s11
                                        ; implicit-def: $vgpr11
.LBB6_16704:                            ;   in Loop: Header=BB6_16488 Depth=2
	s_and_not1_saveexec_b32 s11, s28
; %bb.16705:                            ;   in Loop: Header=BB6_16488 Depth=2
	v_or_b32_e32 v20, 0x7f, v11
; %bb.16706:                            ;   in Loop: Header=BB6_16488 Depth=2
	s_or_b32 exec_lo, exec_lo, s11
	v_lshrrev_b16 v11, 8, v12
	v_mov_b32_e32 v10, 0
	s_mov_b32 s11, exec_lo
	s_delay_alu instid0(VALU_DEP_2)
	v_cmpx_ne_u16_e32 0, v11
	s_cbranch_execz .LBB6_16714
; %bb.16707:                            ;   in Loop: Header=BB6_16488 Depth=2
	v_bfrev_b32_e32 v10, 1
	s_mov_b32 s28, exec_lo
	v_cmpx_ne_u16_e32 0x80, v11
	s_cbranch_execz .LBB6_16713
; %bb.16708:                            ;   in Loop: Header=BB6_16488 Depth=2
	v_and_b32_e32 v16, 0xffff, v11
	v_mov_b32_e32 v10, 0x7f800001
	s_mov_b32 s29, exec_lo
	s_delay_alu instid0(VALU_DEP_2) | instskip(NEXT) | instid1(VALU_DEP_1)
	v_and_b32_e32 v11, 0x7f, v16
	v_cmpx_ne_u32_e32 0x7f, v11
	s_cbranch_execz .LBB6_16712
; %bb.16709:                            ;   in Loop: Header=BB6_16488 Depth=2
	v_dual_lshrrev_b32 v10, 3, v11 :: v_dual_bitop2_b32 v54, 7, v16 bitop3:0x40
	s_mov_b32 s40, exec_lo
	v_cmpx_gt_u32_e32 8, v11
; %bb.16710:                            ;   in Loop: Header=BB6_16488 Depth=2
	s_delay_alu instid0(VALU_DEP_2) | instskip(NEXT) | instid1(VALU_DEP_1)
	v_clz_i32_u32_e32 v10, v54
	v_min_u32_e32 v10, 32, v10
	s_delay_alu instid0(VALU_DEP_1) | instskip(NEXT) | instid1(VALU_DEP_1)
	v_subrev_nc_u32_e32 v11, 28, v10
	v_lshlrev_b64_e32 v[16:17], v11, v[54:55]
	s_delay_alu instid0(VALU_DEP_1)
	v_dual_sub_nc_u32 v10, 29, v10 :: v_dual_bitop2_b32 v54, 7, v16 bitop3:0x40
; %bb.16711:                            ;   in Loop: Header=BB6_16488 Depth=2
	s_or_b32 exec_lo, exec_lo, s40
	s_delay_alu instid0(VALU_DEP_1) | instskip(NEXT) | instid1(VALU_DEP_2)
	v_dual_lshlrev_b32 v11, 16, v12 :: v_dual_lshlrev_b32 v16, 20, v54
	v_lshl_add_u32 v10, v10, 23, 0x3c000000
	s_delay_alu instid0(VALU_DEP_2) | instskip(NEXT) | instid1(VALU_DEP_1)
	v_and_b32_e32 v11, 0x80000000, v11
	v_or3_b32 v10, v16, v11, v10
.LBB6_16712:                            ;   in Loop: Header=BB6_16488 Depth=2
	s_or_b32 exec_lo, exec_lo, s29
.LBB6_16713:                            ;   in Loop: Header=BB6_16488 Depth=2
	s_delay_alu instid0(SALU_CYCLE_1)
	s_or_b32 exec_lo, exec_lo, s28
.LBB6_16714:                            ;   in Loop: Header=BB6_16488 Depth=2
	s_delay_alu instid0(SALU_CYCLE_1) | instskip(NEXT) | instid1(VALU_DEP_1)
	s_or_b32 exec_lo, exec_lo, s11
	v_mul_f32_e32 v10, s27, v10
                                        ; implicit-def: $vgpr21
	s_mov_b32 s11, exec_lo
	s_delay_alu instid0(VALU_DEP_1) | instskip(SKIP_1) | instid1(VALU_DEP_2)
	v_and_b32_e32 v54, 0x7f800000, v10
	v_lshrrev_b32_e32 v11, 24, v10
	v_cmpx_ne_u64_e32 0x7f800000, v[54:55]
	s_xor_b32 s28, exec_lo, s11
	s_cbranch_execz .LBB6_16728
; %bb.16715:                            ;   in Loop: Header=BB6_16488 Depth=2
	v_and_b32_e32 v54, 0x7fffffff, v10
	v_and_b32_e32 v22, 0x80, v11
                                        ; implicit-def: $vgpr21
	s_mov_b32 s11, exec_lo
	s_delay_alu instid0(VALU_DEP_2)
	v_cmpx_gt_u64_e32 0x43e00001, v[54:55]
	s_xor_b32 s29, exec_lo, s11
	s_cbranch_execz .LBB6_16725
; %bb.16716:                            ;   in Loop: Header=BB6_16488 Depth=2
	v_mov_b32_e32 v21, 0
	s_mov_b32 s40, exec_lo
	v_cmpx_ne_u32_e32 0, v10
	s_cbranch_execz .LBB6_16724
; %bb.16717:                            ;   in Loop: Header=BB6_16488 Depth=2
	v_bfe_u32 v21, v10, 23, 8
	v_and_b32_e32 v16, 0x7fffff, v10
	s_delay_alu instid0(VALU_DEP_2) | instskip(NEXT) | instid1(VALU_DEP_2)
	v_cmp_gt_u32_e32 vcc_lo, 0x7a, v21
	v_or_b32_e32 v17, 0x800000, v16
	v_sub_nc_u32_e32 v11, 0x79, v21
	s_delay_alu instid0(VALU_DEP_1) | instskip(SKIP_1) | instid1(VALU_DEP_2)
	v_cndmask_b32_e32 v11, 0, v11, vcc_lo
	v_cmp_eq_u32_e32 vcc_lo, 0, v21
	v_cndmask_b32_e64 v23, v11, 0x78, vcc_lo
	s_delay_alu instid0(VALU_DEP_1) | instskip(SKIP_1) | instid1(VALU_DEP_2)
	v_dual_cndmask_b32 v54, v17, v16, vcc_lo :: v_dual_add_nc_u32 v10, 20, v23
	v_add_nc_u32_e32 v24, 19, v23
	v_lshlrev_b64_e64 v[10:11], v10, -1
	s_delay_alu instid0(VALU_DEP_2) | instskip(NEXT) | instid1(VALU_DEP_2)
	v_lshlrev_b64_e64 v[16:17], v24, 1
	v_bfi_b32 v25, v11, 0, 0
	s_delay_alu instid0(VALU_DEP_3) | instskip(SKIP_1) | instid1(VALU_DEP_2)
	v_bfi_b32 v24, v10, 0, v54
	v_lshrrev_b64 v[10:11], v23, v[54:55]
	v_cmp_eq_u64_e64 s11, v[24:25], v[16:17]
	s_delay_alu instid0(VALU_DEP_2)
	v_mov_b64_e32 v[16:17], v[10:11]
	s_and_saveexec_b32 s41, s11
; %bb.16718:                            ;   in Loop: Header=BB6_16488 Depth=2
	v_bfe_u32 v54, v10, 20, 1
	s_delay_alu instid0(VALU_DEP_1) | instskip(NEXT) | instid1(VALU_DEP_1)
	v_add_nc_u64_e32 v[16:17], v[10:11], v[54:55]
	v_add_nc_u64_e32 v[16:17], -1, v[16:17]
; %bb.16719:                            ;   in Loop: Header=BB6_16488 Depth=2
	s_or_b32 exec_lo, exec_lo, s41
	v_add_nc_u32_e32 v11, 0xffffff81, v21
	v_lshrrev_b32_e32 v17, 23, v10
	s_mov_b32 s11, exec_lo
	s_delay_alu instid0(VALU_DEP_2) | instskip(NEXT) | instid1(VALU_DEP_1)
	v_cndmask_b32_e64 v11, v11, 0xffffff82, vcc_lo
	v_add3_u32 v17, v23, v11, v17
	v_and_b32_e32 v11, 0xfffff, v16
                                        ; implicit-def: $vgpr16
	s_delay_alu instid0(VALU_DEP_1) | instskip(NEXT) | instid1(VALU_DEP_1)
	v_dual_add_nc_u32 v21, 6, v17 :: v_dual_add_nc_u32 v54, v11, v10
                                        ; implicit-def: $vgpr10_vgpr11
	v_cmpx_ne_u32_e32 0, v21
	s_xor_b32 s11, exec_lo, s11
; %bb.16720:                            ;   in Loop: Header=BB6_16488 Depth=2
	s_delay_alu instid0(VALU_DEP_2) | instskip(SKIP_1) | instid1(VALU_DEP_1)
	v_cmp_lt_u64_e32 vcc_lo, 0xffffff, v[54:55]
	v_add_nc_u32_e32 v10, 7, v17
	v_cndmask_b32_e32 v16, v21, v10, vcc_lo
	v_cndmask_b32_e64 v10, 0, 1, vcc_lo
	s_delay_alu instid0(VALU_DEP_1)
	v_lshrrev_b64 v[10:11], v10, v[54:55]
; %bb.16721:                            ;   in Loop: Header=BB6_16488 Depth=2
	s_and_not1_saveexec_b32 s11, s11
; %bb.16722:                            ;   in Loop: Header=BB6_16488 Depth=2
	v_mov_b64_e32 v[10:11], v[54:55]
	v_bfe_u32 v16, v54, 23, 1
; %bb.16723:                            ;   in Loop: Header=BB6_16488 Depth=2
	s_or_b32 exec_lo, exec_lo, s11
	s_delay_alu instid0(VALU_DEP_2) | instskip(NEXT) | instid1(VALU_DEP_2)
	v_lshrrev_b64 v[10:11], 20, v[10:11]
	v_cmp_gt_i32_e32 vcc_lo, 16, v16
	v_min_i32_e32 v17, 15, v16
	v_cmp_eq_u32_e64 s11, 0, v16
	s_delay_alu instid0(VALU_DEP_2) | instskip(SKIP_1) | instid1(VALU_DEP_2)
	v_dual_cndmask_b32 v11, 0, v11, vcc_lo :: v_dual_lshlrev_b32 v17, 3, v17
	v_cndmask_b32_e32 v10, 7, v10, vcc_lo
	v_and_b32_e32 v17, 0xf8, v17
	s_delay_alu instid0(VALU_DEP_2) | instskip(NEXT) | instid1(VALU_DEP_2)
	v_cmp_eq_u64_e32 vcc_lo, 0, v[10:11]
	v_and_or_b32 v10, v10, 7, v17
	s_and_b32 s11, s11, vcc_lo
	s_delay_alu instid0(VALU_DEP_1) | instid1(SALU_CYCLE_1)
	v_cndmask_b32_e64 v10, v10, 0, s11
	s_delay_alu instid0(VALU_DEP_1)
	v_or_b32_e32 v21, v10, v22
.LBB6_16724:                            ;   in Loop: Header=BB6_16488 Depth=2
	s_or_b32 exec_lo, exec_lo, s40
                                        ; implicit-def: $vgpr22
.LBB6_16725:                            ;   in Loop: Header=BB6_16488 Depth=2
	s_and_not1_saveexec_b32 s11, s29
; %bb.16726:                            ;   in Loop: Header=BB6_16488 Depth=2
	v_or_b32_e32 v21, 0x7e, v22
; %bb.16727:                            ;   in Loop: Header=BB6_16488 Depth=2
	s_or_b32 exec_lo, exec_lo, s11
                                        ; implicit-def: $vgpr11
.LBB6_16728:                            ;   in Loop: Header=BB6_16488 Depth=2
	s_and_not1_saveexec_b32 s11, s28
; %bb.16729:                            ;   in Loop: Header=BB6_16488 Depth=2
	v_or_b32_e32 v21, 0x7f, v11
; %bb.16730:                            ;   in Loop: Header=BB6_16488 Depth=2
	s_or_b32 exec_lo, exec_lo, s11
	v_dual_mov_b32 v11, 0 :: v_dual_lshrrev_b32 v10, 16, v12
	s_mov_b32 s11, exec_lo
	s_delay_alu instid0(VALU_DEP_1) | instskip(NEXT) | instid1(VALU_DEP_1)
	v_and_b32_e32 v16, 0xff, v10
	v_cmpx_ne_u16_e32 0, v16
	s_cbranch_execz .LBB6_16738
; %bb.16731:                            ;   in Loop: Header=BB6_16488 Depth=2
	v_bfrev_b32_e32 v11, 1
	s_mov_b32 s28, exec_lo
	v_cmpx_ne_u16_e32 0x80, v16
	s_cbranch_execz .LBB6_16737
; %bb.16732:                            ;   in Loop: Header=BB6_16488 Depth=2
	v_bfe_u32 v16, v12, 16, 7
	v_mov_b32_e32 v11, 0x7f800001
	s_mov_b32 s29, exec_lo
	s_delay_alu instid0(VALU_DEP_2)
	v_cmpx_ne_u32_e32 0x7f, v16
	s_cbranch_execz .LBB6_16736
; %bb.16733:                            ;   in Loop: Header=BB6_16488 Depth=2
	v_dual_lshrrev_b32 v11, 3, v16 :: v_dual_bitop2_b32 v54, 7, v10 bitop3:0x40
	s_mov_b32 s40, exec_lo
	v_cmpx_gt_u32_e32 8, v16
; %bb.16734:                            ;   in Loop: Header=BB6_16488 Depth=2
	s_delay_alu instid0(VALU_DEP_2) | instskip(NEXT) | instid1(VALU_DEP_1)
	v_clz_i32_u32_e32 v11, v54
	v_min_u32_e32 v11, 32, v11
	s_delay_alu instid0(VALU_DEP_1) | instskip(NEXT) | instid1(VALU_DEP_1)
	v_subrev_nc_u32_e32 v16, 28, v11
	v_lshlrev_b64_e32 v[16:17], v16, v[54:55]
	s_delay_alu instid0(VALU_DEP_1)
	v_dual_sub_nc_u32 v11, 29, v11 :: v_dual_bitop2_b32 v54, 7, v16 bitop3:0x40
; %bb.16735:                            ;   in Loop: Header=BB6_16488 Depth=2
	s_or_b32 exec_lo, exec_lo, s40
	v_lshlrev_b32_e32 v10, 24, v10
	s_delay_alu instid0(VALU_DEP_2) | instskip(NEXT) | instid1(VALU_DEP_3)
	v_lshlrev_b32_e32 v16, 20, v54
	v_lshl_add_u32 v11, v11, 23, 0x3c000000
	s_delay_alu instid0(VALU_DEP_3) | instskip(NEXT) | instid1(VALU_DEP_1)
	v_and_b32_e32 v10, 0x80000000, v10
	v_or3_b32 v11, v16, v10, v11
.LBB6_16736:                            ;   in Loop: Header=BB6_16488 Depth=2
	s_or_b32 exec_lo, exec_lo, s29
.LBB6_16737:                            ;   in Loop: Header=BB6_16488 Depth=2
	s_delay_alu instid0(SALU_CYCLE_1)
	s_or_b32 exec_lo, exec_lo, s28
.LBB6_16738:                            ;   in Loop: Header=BB6_16488 Depth=2
	s_delay_alu instid0(SALU_CYCLE_1) | instskip(NEXT) | instid1(VALU_DEP_1)
	s_or_b32 exec_lo, exec_lo, s11
	v_mul_f32_e32 v10, s27, v11
                                        ; implicit-def: $vgpr22
	s_mov_b32 s11, exec_lo
	s_delay_alu instid0(VALU_DEP_1) | instskip(SKIP_1) | instid1(VALU_DEP_2)
	v_and_b32_e32 v54, 0x7f800000, v10
	v_lshrrev_b32_e32 v11, 24, v10
	v_cmpx_ne_u64_e32 0x7f800000, v[54:55]
	s_xor_b32 s28, exec_lo, s11
	s_cbranch_execz .LBB6_16752
; %bb.16739:                            ;   in Loop: Header=BB6_16488 Depth=2
	v_and_b32_e32 v54, 0x7fffffff, v10
	v_and_b32_e32 v23, 0x80, v11
                                        ; implicit-def: $vgpr22
	s_mov_b32 s11, exec_lo
	s_delay_alu instid0(VALU_DEP_2)
	v_cmpx_gt_u64_e32 0x43e00001, v[54:55]
	s_xor_b32 s29, exec_lo, s11
	s_cbranch_execz .LBB6_16749
; %bb.16740:                            ;   in Loop: Header=BB6_16488 Depth=2
	v_mov_b32_e32 v22, 0
	s_mov_b32 s40, exec_lo
	v_cmpx_ne_u32_e32 0, v10
	s_cbranch_execz .LBB6_16748
; %bb.16741:                            ;   in Loop: Header=BB6_16488 Depth=2
	v_bfe_u32 v22, v10, 23, 8
	v_and_b32_e32 v16, 0x7fffff, v10
	s_delay_alu instid0(VALU_DEP_2) | instskip(NEXT) | instid1(VALU_DEP_2)
	v_cmp_gt_u32_e32 vcc_lo, 0x7a, v22
	v_or_b32_e32 v17, 0x800000, v16
	v_sub_nc_u32_e32 v11, 0x79, v22
	s_delay_alu instid0(VALU_DEP_1) | instskip(SKIP_1) | instid1(VALU_DEP_2)
	v_cndmask_b32_e32 v11, 0, v11, vcc_lo
	v_cmp_eq_u32_e32 vcc_lo, 0, v22
	v_cndmask_b32_e64 v24, v11, 0x78, vcc_lo
	v_cndmask_b32_e32 v54, v17, v16, vcc_lo
	s_delay_alu instid0(VALU_DEP_2) | instskip(NEXT) | instid1(VALU_DEP_1)
	v_dual_add_nc_u32 v10, 20, v24 :: v_dual_add_nc_u32 v25, 19, v24
	v_lshlrev_b64_e64 v[10:11], v10, -1
	s_delay_alu instid0(VALU_DEP_2) | instskip(NEXT) | instid1(VALU_DEP_2)
	v_lshlrev_b64_e64 v[16:17], v25, 1
	v_bfi_b32 v27, v11, 0, 0
	s_delay_alu instid0(VALU_DEP_3) | instskip(SKIP_1) | instid1(VALU_DEP_2)
	v_bfi_b32 v26, v10, 0, v54
	v_lshrrev_b64 v[10:11], v24, v[54:55]
	v_cmp_eq_u64_e64 s11, v[26:27], v[16:17]
	s_delay_alu instid0(VALU_DEP_2)
	v_mov_b64_e32 v[16:17], v[10:11]
	s_and_saveexec_b32 s41, s11
; %bb.16742:                            ;   in Loop: Header=BB6_16488 Depth=2
	v_bfe_u32 v54, v10, 20, 1
	s_delay_alu instid0(VALU_DEP_1) | instskip(NEXT) | instid1(VALU_DEP_1)
	v_add_nc_u64_e32 v[16:17], v[10:11], v[54:55]
	v_add_nc_u64_e32 v[16:17], -1, v[16:17]
; %bb.16743:                            ;   in Loop: Header=BB6_16488 Depth=2
	s_or_b32 exec_lo, exec_lo, s41
	v_add_nc_u32_e32 v11, 0xffffff81, v22
	v_lshrrev_b32_e32 v17, 23, v10
	s_mov_b32 s11, exec_lo
	s_delay_alu instid0(VALU_DEP_2) | instskip(NEXT) | instid1(VALU_DEP_1)
	v_cndmask_b32_e64 v11, v11, 0xffffff82, vcc_lo
	v_add3_u32 v17, v24, v11, v17
	v_and_b32_e32 v11, 0xfffff, v16
                                        ; implicit-def: $vgpr16
	s_delay_alu instid0(VALU_DEP_1) | instskip(NEXT) | instid1(VALU_DEP_1)
	v_dual_add_nc_u32 v22, 6, v17 :: v_dual_add_nc_u32 v54, v11, v10
                                        ; implicit-def: $vgpr10_vgpr11
	v_cmpx_ne_u32_e32 0, v22
	s_xor_b32 s11, exec_lo, s11
; %bb.16744:                            ;   in Loop: Header=BB6_16488 Depth=2
	s_delay_alu instid0(VALU_DEP_2) | instskip(SKIP_1) | instid1(VALU_DEP_1)
	v_cmp_lt_u64_e32 vcc_lo, 0xffffff, v[54:55]
	v_add_nc_u32_e32 v10, 7, v17
	v_cndmask_b32_e32 v16, v22, v10, vcc_lo
	v_cndmask_b32_e64 v10, 0, 1, vcc_lo
	s_delay_alu instid0(VALU_DEP_1)
	v_lshrrev_b64 v[10:11], v10, v[54:55]
; %bb.16745:                            ;   in Loop: Header=BB6_16488 Depth=2
	s_and_not1_saveexec_b32 s11, s11
; %bb.16746:                            ;   in Loop: Header=BB6_16488 Depth=2
	v_mov_b64_e32 v[10:11], v[54:55]
	v_bfe_u32 v16, v54, 23, 1
; %bb.16747:                            ;   in Loop: Header=BB6_16488 Depth=2
	s_or_b32 exec_lo, exec_lo, s11
	s_delay_alu instid0(VALU_DEP_2) | instskip(NEXT) | instid1(VALU_DEP_2)
	v_lshrrev_b64 v[10:11], 20, v[10:11]
	v_cmp_gt_i32_e32 vcc_lo, 16, v16
	v_min_i32_e32 v17, 15, v16
	v_cmp_eq_u32_e64 s11, 0, v16
	s_delay_alu instid0(VALU_DEP_2) | instskip(SKIP_1) | instid1(VALU_DEP_2)
	v_dual_cndmask_b32 v11, 0, v11, vcc_lo :: v_dual_lshlrev_b32 v17, 3, v17
	v_cndmask_b32_e32 v10, 7, v10, vcc_lo
	v_and_b32_e32 v17, 0xf8, v17
	s_delay_alu instid0(VALU_DEP_2) | instskip(NEXT) | instid1(VALU_DEP_2)
	v_cmp_eq_u64_e32 vcc_lo, 0, v[10:11]
	v_and_or_b32 v10, v10, 7, v17
	s_and_b32 s11, s11, vcc_lo
	s_delay_alu instid0(VALU_DEP_1) | instid1(SALU_CYCLE_1)
	v_cndmask_b32_e64 v10, v10, 0, s11
	s_delay_alu instid0(VALU_DEP_1)
	v_or_b32_e32 v22, v10, v23
.LBB6_16748:                            ;   in Loop: Header=BB6_16488 Depth=2
	s_or_b32 exec_lo, exec_lo, s40
                                        ; implicit-def: $vgpr23
.LBB6_16749:                            ;   in Loop: Header=BB6_16488 Depth=2
	s_and_not1_saveexec_b32 s11, s29
; %bb.16750:                            ;   in Loop: Header=BB6_16488 Depth=2
	v_or_b32_e32 v22, 0x7e, v23
; %bb.16751:                            ;   in Loop: Header=BB6_16488 Depth=2
	s_or_b32 exec_lo, exec_lo, s11
                                        ; implicit-def: $vgpr11
.LBB6_16752:                            ;   in Loop: Header=BB6_16488 Depth=2
	s_and_not1_saveexec_b32 s11, s28
; %bb.16753:                            ;   in Loop: Header=BB6_16488 Depth=2
	v_or_b32_e32 v22, 0x7f, v11
; %bb.16754:                            ;   in Loop: Header=BB6_16488 Depth=2
	s_or_b32 exec_lo, exec_lo, s11
	v_mov_b32_e32 v11, 0
	s_mov_b32 s11, exec_lo
	v_cmpx_lt_u32_e32 0xffffff, v12
	s_cbranch_execz .LBB6_16762
; %bb.16755:                            ;   in Loop: Header=BB6_16488 Depth=2
	v_lshrrev_b32_e32 v10, 24, v12
	v_bfrev_b32_e32 v11, 1
	s_mov_b32 s28, exec_lo
	s_delay_alu instid0(VALU_DEP_2)
	v_cmpx_ne_u32_e32 0x80, v10
	s_cbranch_execz .LBB6_16761
; %bb.16756:                            ;   in Loop: Header=BB6_16488 Depth=2
	v_bfe_u32 v16, v12, 24, 7
	v_mov_b32_e32 v11, 0x7f800001
	s_mov_b32 s29, exec_lo
	s_delay_alu instid0(VALU_DEP_2)
	v_cmpx_ne_u32_e32 0x7f, v16
	s_cbranch_execz .LBB6_16760
; %bb.16757:                            ;   in Loop: Header=BB6_16488 Depth=2
	v_dual_lshrrev_b32 v11, 3, v16 :: v_dual_bitop2_b32 v54, 7, v10 bitop3:0x40
	s_mov_b32 s40, exec_lo
	v_cmpx_gt_u32_e32 8, v16
; %bb.16758:                            ;   in Loop: Header=BB6_16488 Depth=2
	s_delay_alu instid0(VALU_DEP_2) | instskip(NEXT) | instid1(VALU_DEP_1)
	v_clz_i32_u32_e32 v11, v54
	v_min_u32_e32 v11, 32, v11
	s_delay_alu instid0(VALU_DEP_1) | instskip(NEXT) | instid1(VALU_DEP_1)
	v_subrev_nc_u32_e32 v16, 28, v11
	v_lshlrev_b64_e32 v[16:17], v16, v[54:55]
	s_delay_alu instid0(VALU_DEP_1)
	v_dual_sub_nc_u32 v11, 29, v11 :: v_dual_bitop2_b32 v54, 7, v16 bitop3:0x40
; %bb.16759:                            ;   in Loop: Header=BB6_16488 Depth=2
	s_or_b32 exec_lo, exec_lo, s40
	v_lshlrev_b32_e32 v10, 24, v10
	s_delay_alu instid0(VALU_DEP_2) | instskip(NEXT) | instid1(VALU_DEP_3)
	v_lshlrev_b32_e32 v16, 20, v54
	v_lshl_add_u32 v11, v11, 23, 0x3c000000
	s_delay_alu instid0(VALU_DEP_3) | instskip(NEXT) | instid1(VALU_DEP_1)
	v_and_b32_e32 v10, 0x80000000, v10
	v_or3_b32 v11, v16, v10, v11
.LBB6_16760:                            ;   in Loop: Header=BB6_16488 Depth=2
	s_or_b32 exec_lo, exec_lo, s29
.LBB6_16761:                            ;   in Loop: Header=BB6_16488 Depth=2
	s_delay_alu instid0(SALU_CYCLE_1)
	s_or_b32 exec_lo, exec_lo, s28
.LBB6_16762:                            ;   in Loop: Header=BB6_16488 Depth=2
	s_delay_alu instid0(SALU_CYCLE_1) | instskip(NEXT) | instid1(VALU_DEP_1)
	s_or_b32 exec_lo, exec_lo, s11
	v_mul_f32_e32 v10, s27, v11
                                        ; implicit-def: $vgpr23
	s_mov_b32 s11, exec_lo
	s_delay_alu instid0(VALU_DEP_1) | instskip(SKIP_1) | instid1(VALU_DEP_2)
	v_and_b32_e32 v54, 0x7f800000, v10
	v_lshrrev_b32_e32 v11, 24, v10
	v_cmpx_ne_u64_e32 0x7f800000, v[54:55]
	s_xor_b32 s28, exec_lo, s11
	s_cbranch_execz .LBB6_16776
; %bb.16763:                            ;   in Loop: Header=BB6_16488 Depth=2
	v_and_b32_e32 v54, 0x7fffffff, v10
	v_and_b32_e32 v24, 0x80, v11
                                        ; implicit-def: $vgpr23
	s_mov_b32 s11, exec_lo
	s_delay_alu instid0(VALU_DEP_2)
	v_cmpx_gt_u64_e32 0x43e00001, v[54:55]
	s_xor_b32 s29, exec_lo, s11
	s_cbranch_execz .LBB6_16773
; %bb.16764:                            ;   in Loop: Header=BB6_16488 Depth=2
	v_mov_b32_e32 v23, 0
	s_mov_b32 s40, exec_lo
	v_cmpx_ne_u32_e32 0, v10
	s_cbranch_execz .LBB6_16772
; %bb.16765:                            ;   in Loop: Header=BB6_16488 Depth=2
	v_bfe_u32 v23, v10, 23, 8
	v_and_b32_e32 v16, 0x7fffff, v10
	s_delay_alu instid0(VALU_DEP_2) | instskip(NEXT) | instid1(VALU_DEP_2)
	v_cmp_gt_u32_e32 vcc_lo, 0x7a, v23
	v_or_b32_e32 v17, 0x800000, v16
	v_sub_nc_u32_e32 v11, 0x79, v23
	s_delay_alu instid0(VALU_DEP_1) | instskip(SKIP_1) | instid1(VALU_DEP_2)
	v_cndmask_b32_e32 v11, 0, v11, vcc_lo
	v_cmp_eq_u32_e32 vcc_lo, 0, v23
	v_cndmask_b32_e64 v25, v11, 0x78, vcc_lo
	s_delay_alu instid0(VALU_DEP_1) | instskip(SKIP_1) | instid1(VALU_DEP_2)
	v_dual_cndmask_b32 v54, v17, v16, vcc_lo :: v_dual_add_nc_u32 v10, 20, v25
	v_add_nc_u32_e32 v26, 19, v25
	v_lshlrev_b64_e64 v[10:11], v10, -1
	s_delay_alu instid0(VALU_DEP_2) | instskip(NEXT) | instid1(VALU_DEP_2)
	v_lshlrev_b64_e64 v[16:17], v26, 1
	v_bfi_b32 v27, v11, 0, 0
	s_delay_alu instid0(VALU_DEP_3) | instskip(SKIP_1) | instid1(VALU_DEP_2)
	v_bfi_b32 v26, v10, 0, v54
	v_lshrrev_b64 v[10:11], v25, v[54:55]
	v_cmp_eq_u64_e64 s11, v[26:27], v[16:17]
	s_delay_alu instid0(VALU_DEP_2)
	v_mov_b64_e32 v[16:17], v[10:11]
	s_and_saveexec_b32 s41, s11
; %bb.16766:                            ;   in Loop: Header=BB6_16488 Depth=2
	v_bfe_u32 v54, v10, 20, 1
	s_delay_alu instid0(VALU_DEP_1) | instskip(NEXT) | instid1(VALU_DEP_1)
	v_add_nc_u64_e32 v[16:17], v[10:11], v[54:55]
	v_add_nc_u64_e32 v[16:17], -1, v[16:17]
; %bb.16767:                            ;   in Loop: Header=BB6_16488 Depth=2
	s_or_b32 exec_lo, exec_lo, s41
	v_add_nc_u32_e32 v11, 0xffffff81, v23
	v_lshrrev_b32_e32 v17, 23, v10
	s_mov_b32 s11, exec_lo
	s_delay_alu instid0(VALU_DEP_2) | instskip(NEXT) | instid1(VALU_DEP_1)
	v_cndmask_b32_e64 v11, v11, 0xffffff82, vcc_lo
	v_add3_u32 v17, v25, v11, v17
	v_and_b32_e32 v11, 0xfffff, v16
                                        ; implicit-def: $vgpr16
	s_delay_alu instid0(VALU_DEP_1) | instskip(NEXT) | instid1(VALU_DEP_1)
	v_dual_add_nc_u32 v23, 6, v17 :: v_dual_add_nc_u32 v54, v11, v10
                                        ; implicit-def: $vgpr10_vgpr11
	v_cmpx_ne_u32_e32 0, v23
	s_xor_b32 s11, exec_lo, s11
; %bb.16768:                            ;   in Loop: Header=BB6_16488 Depth=2
	s_delay_alu instid0(VALU_DEP_2) | instskip(SKIP_1) | instid1(VALU_DEP_1)
	v_cmp_lt_u64_e32 vcc_lo, 0xffffff, v[54:55]
	v_add_nc_u32_e32 v10, 7, v17
	v_cndmask_b32_e32 v16, v23, v10, vcc_lo
	v_cndmask_b32_e64 v10, 0, 1, vcc_lo
	s_delay_alu instid0(VALU_DEP_1)
	v_lshrrev_b64 v[10:11], v10, v[54:55]
; %bb.16769:                            ;   in Loop: Header=BB6_16488 Depth=2
	s_and_not1_saveexec_b32 s11, s11
; %bb.16770:                            ;   in Loop: Header=BB6_16488 Depth=2
	v_mov_b64_e32 v[10:11], v[54:55]
	v_bfe_u32 v16, v54, 23, 1
; %bb.16771:                            ;   in Loop: Header=BB6_16488 Depth=2
	s_or_b32 exec_lo, exec_lo, s11
	s_delay_alu instid0(VALU_DEP_2) | instskip(NEXT) | instid1(VALU_DEP_2)
	v_lshrrev_b64 v[10:11], 20, v[10:11]
	v_cmp_gt_i32_e32 vcc_lo, 16, v16
	v_min_i32_e32 v17, 15, v16
	v_cmp_eq_u32_e64 s11, 0, v16
	s_delay_alu instid0(VALU_DEP_2) | instskip(SKIP_1) | instid1(VALU_DEP_2)
	v_dual_cndmask_b32 v11, 0, v11, vcc_lo :: v_dual_lshlrev_b32 v17, 3, v17
	v_cndmask_b32_e32 v10, 7, v10, vcc_lo
	v_and_b32_e32 v17, 0xf8, v17
	s_delay_alu instid0(VALU_DEP_2) | instskip(NEXT) | instid1(VALU_DEP_2)
	v_cmp_eq_u64_e32 vcc_lo, 0, v[10:11]
	v_and_or_b32 v10, v10, 7, v17
	s_and_b32 s11, s11, vcc_lo
	s_delay_alu instid0(VALU_DEP_1) | instid1(SALU_CYCLE_1)
	v_cndmask_b32_e64 v10, v10, 0, s11
	s_delay_alu instid0(VALU_DEP_1)
	v_or_b32_e32 v23, v10, v24
.LBB6_16772:                            ;   in Loop: Header=BB6_16488 Depth=2
	s_or_b32 exec_lo, exec_lo, s40
                                        ; implicit-def: $vgpr24
.LBB6_16773:                            ;   in Loop: Header=BB6_16488 Depth=2
	s_and_not1_saveexec_b32 s11, s29
; %bb.16774:                            ;   in Loop: Header=BB6_16488 Depth=2
	v_or_b32_e32 v23, 0x7e, v24
; %bb.16775:                            ;   in Loop: Header=BB6_16488 Depth=2
	s_or_b32 exec_lo, exec_lo, s11
                                        ; implicit-def: $vgpr11
.LBB6_16776:                            ;   in Loop: Header=BB6_16488 Depth=2
	s_and_not1_saveexec_b32 s11, s28
; %bb.16777:                            ;   in Loop: Header=BB6_16488 Depth=2
	v_or_b32_e32 v23, 0x7f, v11
; %bb.16778:                            ;   in Loop: Header=BB6_16488 Depth=2
	s_or_b32 exec_lo, exec_lo, s11
	v_and_b32_e32 v11, 0xff, v13
	v_dual_mov_b32 v54, v13 :: v_dual_mov_b32 v10, 0
	s_mov_b32 s11, exec_lo
	s_delay_alu instid0(VALU_DEP_2)
	v_cmpx_ne_u16_e32 0, v11
	s_cbranch_execz .LBB6_16784
; %bb.16779:                            ;   in Loop: Header=BB6_16488 Depth=2
	v_bfrev_b32_e32 v10, 1
	s_mov_b32 s28, exec_lo
	v_cmpx_ne_u16_e32 0x80, v11
	s_cbranch_execz .LBB6_16783
; %bb.16780:                            ;   in Loop: Header=BB6_16488 Depth=2
	v_and_b32_e32 v11, 0x7f, v13
	v_mov_b32_e32 v10, 0x7f800001
	s_mov_b32 s29, exec_lo
	s_delay_alu instid0(VALU_DEP_2)
	v_cmpx_ne_u32_e32 0x7f, v11
	s_cbranch_execz .LBB6_16782
; %bb.16781:                            ;   in Loop: Header=BB6_16488 Depth=2
	v_dual_lshrrev_b32 v16, 3, v11 :: v_dual_bitop2_b32 v10, 7, v13 bitop3:0x40
	v_cmp_gt_u32_e32 vcc_lo, 8, v11
	s_delay_alu instid0(VALU_DEP_2) | instskip(NEXT) | instid1(VALU_DEP_1)
	v_clz_i32_u32_e32 v10, v10
	v_min_u32_e32 v10, 32, v10
	s_delay_alu instid0(VALU_DEP_1) | instskip(SKIP_1) | instid1(VALU_DEP_1)
	v_subrev_nc_u32_e32 v17, 28, v10
	v_sub_nc_u32_e32 v10, 29, v10
	v_dual_cndmask_b32 v16, v16, v10, vcc_lo :: v_dual_cndmask_b32 v10, 0, v17, vcc_lo
	s_delay_alu instid0(VALU_DEP_1) | instskip(NEXT) | instid1(VALU_DEP_2)
	v_lshl_add_u32 v16, v16, 23, 0x3c000000
	v_lshlrev_b64_e32 v[10:11], v10, v[54:55]
	v_lshlrev_b32_e32 v11, 24, v54
	s_delay_alu instid0(VALU_DEP_1) | instskip(NEXT) | instid1(VALU_DEP_3)
	v_and_b32_e32 v11, 0x80000000, v11
	v_lshlrev_b32_e32 v10, 20, v10
	s_delay_alu instid0(VALU_DEP_1) | instskip(NEXT) | instid1(VALU_DEP_1)
	v_and_b32_e32 v10, 0x700000, v10
	v_or3_b32 v10, v10, v11, v16
.LBB6_16782:                            ;   in Loop: Header=BB6_16488 Depth=2
	s_or_b32 exec_lo, exec_lo, s29
.LBB6_16783:                            ;   in Loop: Header=BB6_16488 Depth=2
	s_delay_alu instid0(SALU_CYCLE_1)
	s_or_b32 exec_lo, exec_lo, s28
.LBB6_16784:                            ;   in Loop: Header=BB6_16488 Depth=2
	s_delay_alu instid0(SALU_CYCLE_1) | instskip(NEXT) | instid1(VALU_DEP_1)
	s_or_b32 exec_lo, exec_lo, s11
	v_dual_mul_f32 v10, s27, v10 :: v_dual_mov_b32 v17, v55
                                        ; implicit-def: $vgpr24
	s_mov_b32 s11, exec_lo
	s_delay_alu instid0(VALU_DEP_1) | instskip(SKIP_1) | instid1(VALU_DEP_2)
	v_and_b32_e32 v16, 0x7f800000, v10
	v_lshrrev_b32_e32 v11, 24, v10
	v_cmpx_ne_u64_e32 0x7f800000, v[16:17]
	s_xor_b32 s28, exec_lo, s11
	s_cbranch_execz .LBB6_16798
; %bb.16785:                            ;   in Loop: Header=BB6_16488 Depth=2
	v_and_b32_e32 v16, 0x7fffffff, v10
	v_mov_b32_e32 v17, v55
	v_and_b32_e32 v25, 0x80, v11
                                        ; implicit-def: $vgpr24
	s_mov_b32 s11, exec_lo
	s_delay_alu instid0(VALU_DEP_2)
	v_cmpx_gt_u64_e32 0x43e00001, v[16:17]
	s_xor_b32 s29, exec_lo, s11
	s_cbranch_execz .LBB6_16795
; %bb.16786:                            ;   in Loop: Header=BB6_16488 Depth=2
	v_mov_b32_e32 v24, 0
	s_mov_b32 s40, exec_lo
	v_cmpx_ne_u32_e32 0, v10
	s_cbranch_execz .LBB6_16794
; %bb.16787:                            ;   in Loop: Header=BB6_16488 Depth=2
	v_bfe_u32 v24, v10, 23, 8
	v_and_b32_e32 v16, 0x7fffff, v10
	s_mov_b32 s41, exec_lo
	s_delay_alu instid0(VALU_DEP_2) | instskip(SKIP_1) | instid1(VALU_DEP_3)
	v_sub_nc_u32_e32 v11, 0x79, v24
	v_cmp_gt_u32_e32 vcc_lo, 0x7a, v24
	v_or_b32_e32 v17, 0x800000, v16
	s_delay_alu instid0(VALU_DEP_3) | instskip(SKIP_1) | instid1(VALU_DEP_2)
	v_cndmask_b32_e32 v11, 0, v11, vcc_lo
	v_cmp_eq_u32_e32 vcc_lo, 0, v24
	v_cndmask_b32_e64 v26, v11, 0x78, vcc_lo
	s_delay_alu instid0(VALU_DEP_4) | instskip(NEXT) | instid1(VALU_DEP_2)
	v_dual_cndmask_b32 v16, v17, v16 :: v_dual_mov_b32 v17, v55
	v_dual_add_nc_u32 v10, 20, v26 :: v_dual_add_nc_u32 v27, 19, v26
	s_delay_alu instid0(VALU_DEP_1) | instskip(NEXT) | instid1(VALU_DEP_2)
	v_lshlrev_b64_e64 v[10:11], v10, -1
	v_lshlrev_b64_e64 v[28:29], v27, 1
	s_delay_alu instid0(VALU_DEP_2) | instskip(NEXT) | instid1(VALU_DEP_3)
	v_bfi_b32 v31, v11, 0, 0
	v_bfi_b32 v30, v10, 0, v16
	v_lshrrev_b64 v[10:11], v26, v[16:17]
	s_delay_alu instid0(VALU_DEP_1) | instskip(NEXT) | instid1(VALU_DEP_3)
	v_mov_b64_e32 v[16:17], v[10:11]
	v_cmpx_eq_u64_e64 v[30:31], v[28:29]
; %bb.16788:                            ;   in Loop: Header=BB6_16488 Depth=2
	v_bfe_u32 v16, v10, 20, 1
	v_mov_b32_e32 v17, v55
	s_delay_alu instid0(VALU_DEP_1) | instskip(NEXT) | instid1(VALU_DEP_1)
	v_add_nc_u64_e32 v[16:17], v[10:11], v[16:17]
	v_add_nc_u64_e32 v[16:17], -1, v[16:17]
; %bb.16789:                            ;   in Loop: Header=BB6_16488 Depth=2
	s_or_b32 exec_lo, exec_lo, s41
	v_add_nc_u32_e32 v11, 0xffffff81, v24
	v_lshrrev_b32_e32 v17, 23, v10
	s_mov_b32 s11, exec_lo
	s_delay_alu instid0(VALU_DEP_2) | instskip(NEXT) | instid1(VALU_DEP_1)
	v_cndmask_b32_e64 v11, v11, 0xffffff82, vcc_lo
	v_add3_u32 v17, v26, v11, v17
	v_and_b32_e32 v11, 0xfffff, v16
                                        ; implicit-def: $vgpr16
	s_delay_alu instid0(VALU_DEP_1) | instskip(SKIP_1) | instid1(VALU_DEP_2)
	v_dual_add_nc_u32 v24, 6, v17 :: v_dual_add_nc_u32 v10, v11, v10
	v_mov_b32_e32 v11, v55
	v_cmpx_ne_u32_e32 0, v24
	s_xor_b32 s11, exec_lo, s11
; %bb.16790:                            ;   in Loop: Header=BB6_16488 Depth=2
	s_delay_alu instid0(VALU_DEP_2) | instskip(SKIP_2) | instid1(VALU_DEP_2)
	v_cmp_lt_u64_e32 vcc_lo, 0xffffff, v[10:11]
	v_add_nc_u32_e32 v16, 7, v17
	v_cndmask_b32_e64 v17, 0, 1, vcc_lo
	v_cndmask_b32_e32 v16, v24, v16, vcc_lo
	s_delay_alu instid0(VALU_DEP_2)
	v_lshrrev_b64 v[10:11], v17, v[10:11]
; %bb.16791:                            ;   in Loop: Header=BB6_16488 Depth=2
	s_and_not1_saveexec_b32 s11, s11
; %bb.16792:                            ;   in Loop: Header=BB6_16488 Depth=2
	s_delay_alu instid0(VALU_DEP_1)
	v_bfe_u32 v16, v10, 23, 1
; %bb.16793:                            ;   in Loop: Header=BB6_16488 Depth=2
	s_or_b32 exec_lo, exec_lo, s11
	s_delay_alu instid0(VALU_DEP_2) | instskip(NEXT) | instid1(VALU_DEP_2)
	v_lshrrev_b64 v[10:11], 20, v[10:11]
	v_cmp_gt_i32_e32 vcc_lo, 16, v16
	v_min_i32_e32 v17, 15, v16
	v_cmp_eq_u32_e64 s11, 0, v16
	s_delay_alu instid0(VALU_DEP_2) | instskip(SKIP_1) | instid1(VALU_DEP_2)
	v_dual_cndmask_b32 v11, 0, v11, vcc_lo :: v_dual_lshlrev_b32 v17, 3, v17
	v_cndmask_b32_e32 v10, 7, v10, vcc_lo
	v_and_b32_e32 v17, 0xf8, v17
	s_delay_alu instid0(VALU_DEP_2) | instskip(NEXT) | instid1(VALU_DEP_2)
	v_cmp_eq_u64_e32 vcc_lo, 0, v[10:11]
	v_and_or_b32 v10, v10, 7, v17
	s_and_b32 s11, s11, vcc_lo
	s_delay_alu instid0(VALU_DEP_1) | instid1(SALU_CYCLE_1)
	v_cndmask_b32_e64 v10, v10, 0, s11
	s_delay_alu instid0(VALU_DEP_1)
	v_or_b32_e32 v24, v10, v25
.LBB6_16794:                            ;   in Loop: Header=BB6_16488 Depth=2
	s_or_b32 exec_lo, exec_lo, s40
                                        ; implicit-def: $vgpr25
.LBB6_16795:                            ;   in Loop: Header=BB6_16488 Depth=2
	s_and_not1_saveexec_b32 s11, s29
; %bb.16796:                            ;   in Loop: Header=BB6_16488 Depth=2
	v_or_b32_e32 v24, 0x7e, v25
; %bb.16797:                            ;   in Loop: Header=BB6_16488 Depth=2
	s_or_b32 exec_lo, exec_lo, s11
                                        ; implicit-def: $vgpr11
.LBB6_16798:                            ;   in Loop: Header=BB6_16488 Depth=2
	s_and_not1_saveexec_b32 s11, s28
; %bb.16799:                            ;   in Loop: Header=BB6_16488 Depth=2
	v_or_b32_e32 v24, 0x7f, v11
; %bb.16800:                            ;   in Loop: Header=BB6_16488 Depth=2
	s_or_b32 exec_lo, exec_lo, s11
	v_lshrrev_b16 v11, 8, v54
	v_mov_b32_e32 v10, 0
	s_mov_b32 s11, exec_lo
	s_delay_alu instid0(VALU_DEP_2)
	v_cmpx_ne_u16_e32 0, v11
	s_cbranch_execz .LBB6_16808
; %bb.16801:                            ;   in Loop: Header=BB6_16488 Depth=2
	v_bfrev_b32_e32 v10, 1
	s_mov_b32 s28, exec_lo
	v_cmpx_ne_u16_e32 0x80, v11
	s_cbranch_execz .LBB6_16807
; %bb.16802:                            ;   in Loop: Header=BB6_16488 Depth=2
	v_and_b32_e32 v11, 0xffff, v11
	v_mov_b32_e32 v10, 0x7f800001
	s_mov_b32 s29, exec_lo
	s_delay_alu instid0(VALU_DEP_2) | instskip(NEXT) | instid1(VALU_DEP_1)
	v_and_b32_e32 v17, 0x7f, v11
	v_cmpx_ne_u32_e32 0x7f, v17
	s_cbranch_execz .LBB6_16806
; %bb.16803:                            ;   in Loop: Header=BB6_16488 Depth=2
	v_dual_mov_b32 v11, v55 :: v_dual_bitop2_b32 v10, 7, v11 bitop3:0x40
	v_lshrrev_b32_e32 v16, 3, v17
	s_mov_b32 s40, exec_lo
	v_cmpx_gt_u32_e32 8, v17
; %bb.16804:                            ;   in Loop: Header=BB6_16488 Depth=2
	s_delay_alu instid0(VALU_DEP_3) | instskip(NEXT) | instid1(VALU_DEP_1)
	v_clz_i32_u32_e32 v16, v10
	v_min_u32_e32 v16, 32, v16
	s_delay_alu instid0(VALU_DEP_1) | instskip(NEXT) | instid1(VALU_DEP_1)
	v_subrev_nc_u32_e32 v17, 28, v16
	v_lshlrev_b64_e32 v[10:11], v17, v[10:11]
	s_delay_alu instid0(VALU_DEP_1)
	v_dual_sub_nc_u32 v16, 29, v16 :: v_dual_bitop2_b32 v10, 7, v10 bitop3:0x40
; %bb.16805:                            ;   in Loop: Header=BB6_16488 Depth=2
	s_or_b32 exec_lo, exec_lo, s40
	v_lshlrev_b32_e32 v11, 16, v54
	s_delay_alu instid0(VALU_DEP_2) | instskip(NEXT) | instid1(VALU_DEP_3)
	v_lshlrev_b32_e32 v10, 20, v10
	v_lshl_add_u32 v16, v16, 23, 0x3c000000
	s_delay_alu instid0(VALU_DEP_3) | instskip(NEXT) | instid1(VALU_DEP_1)
	v_and_b32_e32 v11, 0x80000000, v11
	v_or3_b32 v10, v10, v11, v16
.LBB6_16806:                            ;   in Loop: Header=BB6_16488 Depth=2
	s_or_b32 exec_lo, exec_lo, s29
.LBB6_16807:                            ;   in Loop: Header=BB6_16488 Depth=2
	s_delay_alu instid0(SALU_CYCLE_1)
	s_or_b32 exec_lo, exec_lo, s28
.LBB6_16808:                            ;   in Loop: Header=BB6_16488 Depth=2
	s_delay_alu instid0(SALU_CYCLE_1) | instskip(NEXT) | instid1(VALU_DEP_1)
	s_or_b32 exec_lo, exec_lo, s11
	v_mul_f32_e32 v10, s27, v10
                                        ; implicit-def: $vgpr25
	s_mov_b32 s11, exec_lo
	s_delay_alu instid0(VALU_DEP_1) | instskip(SKIP_1) | instid1(VALU_DEP_2)
	v_and_b32_e32 v54, 0x7f800000, v10
	v_lshrrev_b32_e32 v11, 24, v10
	v_cmpx_ne_u64_e32 0x7f800000, v[54:55]
	s_xor_b32 s28, exec_lo, s11
	s_cbranch_execz .LBB6_16822
; %bb.16809:                            ;   in Loop: Header=BB6_16488 Depth=2
	v_and_b32_e32 v54, 0x7fffffff, v10
	v_and_b32_e32 v26, 0x80, v11
                                        ; implicit-def: $vgpr25
	s_mov_b32 s11, exec_lo
	s_delay_alu instid0(VALU_DEP_2)
	v_cmpx_gt_u64_e32 0x43e00001, v[54:55]
	s_xor_b32 s29, exec_lo, s11
	s_cbranch_execz .LBB6_16819
; %bb.16810:                            ;   in Loop: Header=BB6_16488 Depth=2
	v_mov_b32_e32 v25, 0
	s_mov_b32 s40, exec_lo
	v_cmpx_ne_u32_e32 0, v10
	s_cbranch_execz .LBB6_16818
; %bb.16811:                            ;   in Loop: Header=BB6_16488 Depth=2
	v_bfe_u32 v25, v10, 23, 8
	v_and_b32_e32 v16, 0x7fffff, v10
	s_delay_alu instid0(VALU_DEP_2) | instskip(NEXT) | instid1(VALU_DEP_2)
	v_cmp_gt_u32_e32 vcc_lo, 0x7a, v25
	v_or_b32_e32 v17, 0x800000, v16
	v_sub_nc_u32_e32 v11, 0x79, v25
	s_delay_alu instid0(VALU_DEP_1) | instskip(SKIP_1) | instid1(VALU_DEP_2)
	v_cndmask_b32_e32 v11, 0, v11, vcc_lo
	v_cmp_eq_u32_e32 vcc_lo, 0, v25
	v_cndmask_b32_e64 v27, v11, 0x78, vcc_lo
	s_delay_alu instid0(VALU_DEP_1) | instskip(SKIP_1) | instid1(VALU_DEP_2)
	v_dual_cndmask_b32 v54, v17, v16, vcc_lo :: v_dual_add_nc_u32 v10, 20, v27
	v_add_nc_u32_e32 v28, 19, v27
	v_lshlrev_b64_e64 v[10:11], v10, -1
	s_delay_alu instid0(VALU_DEP_2) | instskip(NEXT) | instid1(VALU_DEP_2)
	v_lshlrev_b64_e64 v[16:17], v28, 1
	v_bfi_b32 v29, v11, 0, 0
	s_delay_alu instid0(VALU_DEP_3) | instskip(SKIP_1) | instid1(VALU_DEP_2)
	v_bfi_b32 v28, v10, 0, v54
	v_lshrrev_b64 v[10:11], v27, v[54:55]
	v_cmp_eq_u64_e64 s11, v[28:29], v[16:17]
	s_delay_alu instid0(VALU_DEP_2)
	v_mov_b64_e32 v[16:17], v[10:11]
	s_and_saveexec_b32 s41, s11
; %bb.16812:                            ;   in Loop: Header=BB6_16488 Depth=2
	v_bfe_u32 v54, v10, 20, 1
	s_delay_alu instid0(VALU_DEP_1) | instskip(NEXT) | instid1(VALU_DEP_1)
	v_add_nc_u64_e32 v[16:17], v[10:11], v[54:55]
	v_add_nc_u64_e32 v[16:17], -1, v[16:17]
; %bb.16813:                            ;   in Loop: Header=BB6_16488 Depth=2
	s_or_b32 exec_lo, exec_lo, s41
	v_add_nc_u32_e32 v11, 0xffffff81, v25
	v_lshrrev_b32_e32 v17, 23, v10
	s_mov_b32 s11, exec_lo
	s_delay_alu instid0(VALU_DEP_2) | instskip(NEXT) | instid1(VALU_DEP_1)
	v_cndmask_b32_e64 v11, v11, 0xffffff82, vcc_lo
	v_add3_u32 v17, v27, v11, v17
	v_and_b32_e32 v11, 0xfffff, v16
                                        ; implicit-def: $vgpr16
	s_delay_alu instid0(VALU_DEP_1) | instskip(NEXT) | instid1(VALU_DEP_1)
	v_dual_add_nc_u32 v25, 6, v17 :: v_dual_add_nc_u32 v54, v11, v10
                                        ; implicit-def: $vgpr10_vgpr11
	v_cmpx_ne_u32_e32 0, v25
	s_xor_b32 s11, exec_lo, s11
; %bb.16814:                            ;   in Loop: Header=BB6_16488 Depth=2
	s_delay_alu instid0(VALU_DEP_2) | instskip(SKIP_1) | instid1(VALU_DEP_1)
	v_cmp_lt_u64_e32 vcc_lo, 0xffffff, v[54:55]
	v_add_nc_u32_e32 v10, 7, v17
	v_cndmask_b32_e32 v16, v25, v10, vcc_lo
	v_cndmask_b32_e64 v10, 0, 1, vcc_lo
	s_delay_alu instid0(VALU_DEP_1)
	v_lshrrev_b64 v[10:11], v10, v[54:55]
; %bb.16815:                            ;   in Loop: Header=BB6_16488 Depth=2
	s_and_not1_saveexec_b32 s11, s11
; %bb.16816:                            ;   in Loop: Header=BB6_16488 Depth=2
	v_mov_b64_e32 v[10:11], v[54:55]
	v_bfe_u32 v16, v54, 23, 1
; %bb.16817:                            ;   in Loop: Header=BB6_16488 Depth=2
	s_or_b32 exec_lo, exec_lo, s11
	s_delay_alu instid0(VALU_DEP_2) | instskip(NEXT) | instid1(VALU_DEP_2)
	v_lshrrev_b64 v[10:11], 20, v[10:11]
	v_cmp_gt_i32_e32 vcc_lo, 16, v16
	v_min_i32_e32 v17, 15, v16
	v_cmp_eq_u32_e64 s11, 0, v16
	s_delay_alu instid0(VALU_DEP_2) | instskip(SKIP_1) | instid1(VALU_DEP_2)
	v_dual_cndmask_b32 v11, 0, v11, vcc_lo :: v_dual_lshlrev_b32 v17, 3, v17
	v_cndmask_b32_e32 v10, 7, v10, vcc_lo
	v_and_b32_e32 v17, 0xf8, v17
	s_delay_alu instid0(VALU_DEP_2) | instskip(NEXT) | instid1(VALU_DEP_2)
	v_cmp_eq_u64_e32 vcc_lo, 0, v[10:11]
	v_and_or_b32 v10, v10, 7, v17
	s_and_b32 s11, s11, vcc_lo
	s_delay_alu instid0(VALU_DEP_1) | instid1(SALU_CYCLE_1)
	v_cndmask_b32_e64 v10, v10, 0, s11
	s_delay_alu instid0(VALU_DEP_1)
	v_or_b32_e32 v25, v10, v26
.LBB6_16818:                            ;   in Loop: Header=BB6_16488 Depth=2
	s_or_b32 exec_lo, exec_lo, s40
                                        ; implicit-def: $vgpr26
.LBB6_16819:                            ;   in Loop: Header=BB6_16488 Depth=2
	s_and_not1_saveexec_b32 s11, s29
; %bb.16820:                            ;   in Loop: Header=BB6_16488 Depth=2
	v_or_b32_e32 v25, 0x7e, v26
; %bb.16821:                            ;   in Loop: Header=BB6_16488 Depth=2
	s_or_b32 exec_lo, exec_lo, s11
                                        ; implicit-def: $vgpr11
.LBB6_16822:                            ;   in Loop: Header=BB6_16488 Depth=2
	s_and_not1_saveexec_b32 s11, s28
; %bb.16823:                            ;   in Loop: Header=BB6_16488 Depth=2
	v_or_b32_e32 v25, 0x7f, v11
; %bb.16824:                            ;   in Loop: Header=BB6_16488 Depth=2
	s_or_b32 exec_lo, exec_lo, s11
	v_dual_mov_b32 v11, 0 :: v_dual_lshrrev_b32 v10, 16, v13
	s_mov_b32 s11, exec_lo
	s_delay_alu instid0(VALU_DEP_1) | instskip(NEXT) | instid1(VALU_DEP_1)
	v_and_b32_e32 v16, 0xff, v10
	v_cmpx_ne_u16_e32 0, v16
	s_cbranch_execz .LBB6_16832
; %bb.16825:                            ;   in Loop: Header=BB6_16488 Depth=2
	v_bfrev_b32_e32 v11, 1
	s_mov_b32 s28, exec_lo
	v_cmpx_ne_u16_e32 0x80, v16
	s_cbranch_execz .LBB6_16831
; %bb.16826:                            ;   in Loop: Header=BB6_16488 Depth=2
	v_bfe_u32 v16, v13, 16, 7
	v_mov_b32_e32 v11, 0x7f800001
	s_mov_b32 s29, exec_lo
	s_delay_alu instid0(VALU_DEP_2)
	v_cmpx_ne_u32_e32 0x7f, v16
	s_cbranch_execz .LBB6_16830
; %bb.16827:                            ;   in Loop: Header=BB6_16488 Depth=2
	v_dual_lshrrev_b32 v11, 3, v16 :: v_dual_bitop2_b32 v54, 7, v10 bitop3:0x40
	s_mov_b32 s40, exec_lo
	v_cmpx_gt_u32_e32 8, v16
; %bb.16828:                            ;   in Loop: Header=BB6_16488 Depth=2
	s_delay_alu instid0(VALU_DEP_2) | instskip(NEXT) | instid1(VALU_DEP_1)
	v_clz_i32_u32_e32 v11, v54
	v_min_u32_e32 v11, 32, v11
	s_delay_alu instid0(VALU_DEP_1) | instskip(NEXT) | instid1(VALU_DEP_1)
	v_subrev_nc_u32_e32 v16, 28, v11
	v_lshlrev_b64_e32 v[16:17], v16, v[54:55]
	s_delay_alu instid0(VALU_DEP_1)
	v_dual_sub_nc_u32 v11, 29, v11 :: v_dual_bitop2_b32 v54, 7, v16 bitop3:0x40
; %bb.16829:                            ;   in Loop: Header=BB6_16488 Depth=2
	s_or_b32 exec_lo, exec_lo, s40
	v_lshlrev_b32_e32 v10, 24, v10
	s_delay_alu instid0(VALU_DEP_2) | instskip(NEXT) | instid1(VALU_DEP_3)
	v_lshlrev_b32_e32 v16, 20, v54
	v_lshl_add_u32 v11, v11, 23, 0x3c000000
	s_delay_alu instid0(VALU_DEP_3) | instskip(NEXT) | instid1(VALU_DEP_1)
	v_and_b32_e32 v10, 0x80000000, v10
	v_or3_b32 v11, v16, v10, v11
.LBB6_16830:                            ;   in Loop: Header=BB6_16488 Depth=2
	s_or_b32 exec_lo, exec_lo, s29
.LBB6_16831:                            ;   in Loop: Header=BB6_16488 Depth=2
	s_delay_alu instid0(SALU_CYCLE_1)
	s_or_b32 exec_lo, exec_lo, s28
.LBB6_16832:                            ;   in Loop: Header=BB6_16488 Depth=2
	s_delay_alu instid0(SALU_CYCLE_1) | instskip(NEXT) | instid1(VALU_DEP_1)
	s_or_b32 exec_lo, exec_lo, s11
	v_mul_f32_e32 v10, s27, v11
                                        ; implicit-def: $vgpr16
	s_mov_b32 s11, exec_lo
	s_delay_alu instid0(VALU_DEP_1) | instskip(SKIP_1) | instid1(VALU_DEP_2)
	v_and_b32_e32 v54, 0x7f800000, v10
	v_lshrrev_b32_e32 v11, 24, v10
	v_cmpx_ne_u64_e32 0x7f800000, v[54:55]
	s_xor_b32 s28, exec_lo, s11
	s_cbranch_execz .LBB6_16846
; %bb.16833:                            ;   in Loop: Header=BB6_16488 Depth=2
	v_and_b32_e32 v54, 0x7fffffff, v10
	v_and_b32_e32 v26, 0x80, v11
                                        ; implicit-def: $vgpr16
	s_mov_b32 s11, exec_lo
	s_delay_alu instid0(VALU_DEP_2)
	v_cmpx_gt_u64_e32 0x43e00001, v[54:55]
	s_xor_b32 s29, exec_lo, s11
	s_cbranch_execz .LBB6_16843
; %bb.16834:                            ;   in Loop: Header=BB6_16488 Depth=2
	v_mov_b32_e32 v16, 0
	s_mov_b32 s40, exec_lo
	v_cmpx_ne_u32_e32 0, v10
	s_cbranch_execz .LBB6_16842
; %bb.16835:                            ;   in Loop: Header=BB6_16488 Depth=2
	v_bfe_u32 v27, v10, 23, 8
	v_and_b32_e32 v16, 0x7fffff, v10
	s_delay_alu instid0(VALU_DEP_2) | instskip(NEXT) | instid1(VALU_DEP_2)
	v_cmp_gt_u32_e32 vcc_lo, 0x7a, v27
	v_or_b32_e32 v17, 0x800000, v16
	v_sub_nc_u32_e32 v11, 0x79, v27
	s_delay_alu instid0(VALU_DEP_1) | instskip(SKIP_1) | instid1(VALU_DEP_2)
	v_cndmask_b32_e32 v11, 0, v11, vcc_lo
	v_cmp_eq_u32_e32 vcc_lo, 0, v27
	v_cndmask_b32_e64 v28, v11, 0x78, vcc_lo
	v_cndmask_b32_e32 v54, v17, v16, vcc_lo
	s_delay_alu instid0(VALU_DEP_2) | instskip(NEXT) | instid1(VALU_DEP_1)
	v_dual_add_nc_u32 v10, 20, v28 :: v_dual_add_nc_u32 v29, 19, v28
	v_lshlrev_b64_e64 v[10:11], v10, -1
	s_delay_alu instid0(VALU_DEP_2) | instskip(NEXT) | instid1(VALU_DEP_2)
	v_lshlrev_b64_e64 v[16:17], v29, 1
	v_bfi_b32 v31, v11, 0, 0
	s_delay_alu instid0(VALU_DEP_3) | instskip(SKIP_1) | instid1(VALU_DEP_2)
	v_bfi_b32 v30, v10, 0, v54
	v_lshrrev_b64 v[10:11], v28, v[54:55]
	v_cmp_eq_u64_e64 s11, v[30:31], v[16:17]
	s_delay_alu instid0(VALU_DEP_2)
	v_mov_b64_e32 v[16:17], v[10:11]
	s_and_saveexec_b32 s41, s11
; %bb.16836:                            ;   in Loop: Header=BB6_16488 Depth=2
	v_bfe_u32 v54, v10, 20, 1
	s_delay_alu instid0(VALU_DEP_1) | instskip(NEXT) | instid1(VALU_DEP_1)
	v_add_nc_u64_e32 v[16:17], v[10:11], v[54:55]
	v_add_nc_u64_e32 v[16:17], -1, v[16:17]
; %bb.16837:                            ;   in Loop: Header=BB6_16488 Depth=2
	s_or_b32 exec_lo, exec_lo, s41
	v_add_nc_u32_e32 v11, 0xffffff81, v27
	v_lshrrev_b32_e32 v17, 23, v10
	s_mov_b32 s11, exec_lo
	s_delay_alu instid0(VALU_DEP_2) | instskip(NEXT) | instid1(VALU_DEP_1)
	v_cndmask_b32_e64 v11, v11, 0xffffff82, vcc_lo
	v_add3_u32 v17, v28, v11, v17
	v_and_b32_e32 v11, 0xfffff, v16
                                        ; implicit-def: $vgpr16
	s_delay_alu instid0(VALU_DEP_1) | instskip(NEXT) | instid1(VALU_DEP_1)
	v_dual_add_nc_u32 v27, 6, v17 :: v_dual_add_nc_u32 v54, v11, v10
                                        ; implicit-def: $vgpr10_vgpr11
	v_cmpx_ne_u32_e32 0, v27
	s_xor_b32 s11, exec_lo, s11
; %bb.16838:                            ;   in Loop: Header=BB6_16488 Depth=2
	s_delay_alu instid0(VALU_DEP_2) | instskip(SKIP_1) | instid1(VALU_DEP_1)
	v_cmp_lt_u64_e32 vcc_lo, 0xffffff, v[54:55]
	v_add_nc_u32_e32 v10, 7, v17
	v_cndmask_b32_e32 v16, v27, v10, vcc_lo
	v_cndmask_b32_e64 v10, 0, 1, vcc_lo
	s_delay_alu instid0(VALU_DEP_1)
	v_lshrrev_b64 v[10:11], v10, v[54:55]
; %bb.16839:                            ;   in Loop: Header=BB6_16488 Depth=2
	s_and_not1_saveexec_b32 s11, s11
; %bb.16840:                            ;   in Loop: Header=BB6_16488 Depth=2
	v_mov_b64_e32 v[10:11], v[54:55]
	v_bfe_u32 v16, v54, 23, 1
; %bb.16841:                            ;   in Loop: Header=BB6_16488 Depth=2
	s_or_b32 exec_lo, exec_lo, s11
	s_delay_alu instid0(VALU_DEP_2) | instskip(NEXT) | instid1(VALU_DEP_2)
	v_lshrrev_b64 v[10:11], 20, v[10:11]
	v_cmp_gt_i32_e32 vcc_lo, 16, v16
	v_min_i32_e32 v17, 15, v16
	v_cmp_eq_u32_e64 s11, 0, v16
	s_delay_alu instid0(VALU_DEP_2) | instskip(SKIP_1) | instid1(VALU_DEP_2)
	v_dual_cndmask_b32 v11, 0, v11, vcc_lo :: v_dual_lshlrev_b32 v17, 3, v17
	v_cndmask_b32_e32 v10, 7, v10, vcc_lo
	v_and_b32_e32 v17, 0xf8, v17
	s_delay_alu instid0(VALU_DEP_2) | instskip(NEXT) | instid1(VALU_DEP_2)
	v_cmp_eq_u64_e32 vcc_lo, 0, v[10:11]
	v_and_or_b32 v10, v10, 7, v17
	s_and_b32 s11, s11, vcc_lo
	s_delay_alu instid0(VALU_DEP_1) | instid1(SALU_CYCLE_1)
	v_cndmask_b32_e64 v10, v10, 0, s11
	s_delay_alu instid0(VALU_DEP_1)
	v_or_b32_e32 v16, v10, v26
.LBB6_16842:                            ;   in Loop: Header=BB6_16488 Depth=2
	s_or_b32 exec_lo, exec_lo, s40
                                        ; implicit-def: $vgpr26
.LBB6_16843:                            ;   in Loop: Header=BB6_16488 Depth=2
	s_and_not1_saveexec_b32 s11, s29
; %bb.16844:                            ;   in Loop: Header=BB6_16488 Depth=2
	v_or_b32_e32 v16, 0x7e, v26
; %bb.16845:                            ;   in Loop: Header=BB6_16488 Depth=2
	s_or_b32 exec_lo, exec_lo, s11
                                        ; implicit-def: $vgpr11
.LBB6_16846:                            ;   in Loop: Header=BB6_16488 Depth=2
	s_and_not1_saveexec_b32 s11, s28
; %bb.16847:                            ;   in Loop: Header=BB6_16488 Depth=2
	v_or_b32_e32 v16, 0x7f, v11
; %bb.16848:                            ;   in Loop: Header=BB6_16488 Depth=2
	s_or_b32 exec_lo, exec_lo, s11
	v_mov_b32_e32 v11, 0
	s_mov_b32 s11, exec_lo
	v_cmpx_lt_u64_e64 s[12:13], v[12:13]
	s_cbranch_execz .LBB6_16856
; %bb.16849:                            ;   in Loop: Header=BB6_16488 Depth=2
	v_lshrrev_b32_e32 v10, 24, v13
	v_bfrev_b32_e32 v11, 1
	s_mov_b32 s28, exec_lo
	s_delay_alu instid0(VALU_DEP_2)
	v_cmpx_ne_u32_e32 0x80, v10
	s_cbranch_execz .LBB6_16855
; %bb.16850:                            ;   in Loop: Header=BB6_16488 Depth=2
	v_bfe_u32 v12, v13, 24, 7
	v_mov_b32_e32 v11, 0x7f800001
	s_mov_b32 s29, exec_lo
	s_delay_alu instid0(VALU_DEP_2)
	v_cmpx_ne_u32_e32 0x7f, v12
	s_cbranch_execz .LBB6_16854
; %bb.16851:                            ;   in Loop: Header=BB6_16488 Depth=2
	v_dual_lshrrev_b32 v11, 3, v12 :: v_dual_bitop2_b32 v54, 7, v10 bitop3:0x40
	s_mov_b32 s40, exec_lo
	v_cmpx_gt_u32_e32 8, v12
; %bb.16852:                            ;   in Loop: Header=BB6_16488 Depth=2
	s_delay_alu instid0(VALU_DEP_2) | instskip(NEXT) | instid1(VALU_DEP_1)
	v_clz_i32_u32_e32 v11, v54
	v_min_u32_e32 v11, 32, v11
	s_delay_alu instid0(VALU_DEP_1) | instskip(NEXT) | instid1(VALU_DEP_1)
	v_subrev_nc_u32_e32 v12, 28, v11
	v_lshlrev_b64_e32 v[12:13], v12, v[54:55]
	s_delay_alu instid0(VALU_DEP_1)
	v_dual_sub_nc_u32 v11, 29, v11 :: v_dual_bitop2_b32 v54, 7, v12 bitop3:0x40
; %bb.16853:                            ;   in Loop: Header=BB6_16488 Depth=2
	s_or_b32 exec_lo, exec_lo, s40
	v_lshlrev_b32_e32 v10, 24, v10
	s_delay_alu instid0(VALU_DEP_2) | instskip(NEXT) | instid1(VALU_DEP_3)
	v_lshlrev_b32_e32 v12, 20, v54
	v_lshl_add_u32 v11, v11, 23, 0x3c000000
	s_delay_alu instid0(VALU_DEP_3) | instskip(NEXT) | instid1(VALU_DEP_1)
	v_and_b32_e32 v10, 0x80000000, v10
	v_or3_b32 v11, v12, v10, v11
.LBB6_16854:                            ;   in Loop: Header=BB6_16488 Depth=2
	s_or_b32 exec_lo, exec_lo, s29
.LBB6_16855:                            ;   in Loop: Header=BB6_16488 Depth=2
	s_delay_alu instid0(SALU_CYCLE_1)
	s_or_b32 exec_lo, exec_lo, s28
.LBB6_16856:                            ;   in Loop: Header=BB6_16488 Depth=2
	s_delay_alu instid0(SALU_CYCLE_1) | instskip(NEXT) | instid1(VALU_DEP_1)
	s_or_b32 exec_lo, exec_lo, s11
	v_mul_f32_e32 v11, s27, v11
                                        ; implicit-def: $vgpr10
	s_mov_b32 s11, exec_lo
	s_delay_alu instid0(VALU_DEP_1) | instskip(SKIP_1) | instid1(VALU_DEP_2)
	v_and_b32_e32 v54, 0x7f800000, v11
	v_lshrrev_b32_e32 v12, 24, v11
	v_cmpx_ne_u64_e32 0x7f800000, v[54:55]
	s_xor_b32 s27, exec_lo, s11
	s_cbranch_execz .LBB6_16870
; %bb.16857:                            ;   in Loop: Header=BB6_16488 Depth=2
	v_and_b32_e32 v54, 0x7fffffff, v11
	v_and_b32_e32 v17, 0x80, v12
                                        ; implicit-def: $vgpr10
	s_mov_b32 s11, exec_lo
	s_delay_alu instid0(VALU_DEP_2)
	v_cmpx_gt_u64_e32 0x43e00001, v[54:55]
	s_xor_b32 s28, exec_lo, s11
	s_cbranch_execz .LBB6_16867
; %bb.16858:                            ;   in Loop: Header=BB6_16488 Depth=2
	v_mov_b32_e32 v10, 0
	s_mov_b32 s29, exec_lo
	v_cmpx_ne_u32_e32 0, v11
	s_cbranch_execz .LBB6_16866
; %bb.16859:                            ;   in Loop: Header=BB6_16488 Depth=2
	v_bfe_u32 v26, v11, 23, 8
	v_and_b32_e32 v12, 0x7fffff, v11
	s_delay_alu instid0(VALU_DEP_2) | instskip(SKIP_1) | instid1(VALU_DEP_3)
	v_sub_nc_u32_e32 v10, 0x79, v26
	v_cmp_gt_u32_e32 vcc_lo, 0x7a, v26
	v_or_b32_e32 v13, 0x800000, v12
	s_delay_alu instid0(VALU_DEP_3) | instskip(SKIP_1) | instid1(VALU_DEP_2)
	v_cndmask_b32_e32 v10, 0, v10, vcc_lo
	v_cmp_eq_u32_e32 vcc_lo, 0, v26
	v_cndmask_b32_e64 v27, v10, 0x78, vcc_lo
	s_delay_alu instid0(VALU_DEP_1) | instskip(SKIP_1) | instid1(VALU_DEP_2)
	v_dual_cndmask_b32 v54, v13, v12, vcc_lo :: v_dual_add_nc_u32 v10, 20, v27
	v_add_nc_u32_e32 v28, 19, v27
	v_lshlrev_b64_e64 v[10:11], v10, -1
	s_delay_alu instid0(VALU_DEP_2) | instskip(NEXT) | instid1(VALU_DEP_2)
	v_lshlrev_b64_e64 v[12:13], v28, 1
	v_bfi_b32 v29, v11, 0, 0
	s_delay_alu instid0(VALU_DEP_3) | instskip(SKIP_1) | instid1(VALU_DEP_2)
	v_bfi_b32 v28, v10, 0, v54
	v_lshrrev_b64 v[10:11], v27, v[54:55]
	v_cmp_eq_u64_e64 s11, v[28:29], v[12:13]
	s_delay_alu instid0(VALU_DEP_2)
	v_mov_b64_e32 v[12:13], v[10:11]
	s_and_saveexec_b32 s40, s11
; %bb.16860:                            ;   in Loop: Header=BB6_16488 Depth=2
	v_bfe_u32 v54, v10, 20, 1
	s_delay_alu instid0(VALU_DEP_1) | instskip(NEXT) | instid1(VALU_DEP_1)
	v_add_nc_u64_e32 v[12:13], v[10:11], v[54:55]
	v_add_nc_u64_e32 v[12:13], -1, v[12:13]
; %bb.16861:                            ;   in Loop: Header=BB6_16488 Depth=2
	s_or_b32 exec_lo, exec_lo, s40
	v_add_nc_u32_e32 v11, 0xffffff81, v26
	v_lshrrev_b32_e32 v13, 23, v10
	s_mov_b32 s11, exec_lo
	s_delay_alu instid0(VALU_DEP_2) | instskip(NEXT) | instid1(VALU_DEP_1)
	v_cndmask_b32_e64 v11, v11, 0xffffff82, vcc_lo
	v_add3_u32 v13, v27, v11, v13
	v_and_b32_e32 v11, 0xfffff, v12
                                        ; implicit-def: $vgpr12
	s_delay_alu instid0(VALU_DEP_1) | instskip(NEXT) | instid1(VALU_DEP_1)
	v_dual_add_nc_u32 v26, 6, v13 :: v_dual_add_nc_u32 v54, v11, v10
                                        ; implicit-def: $vgpr10_vgpr11
	v_cmpx_ne_u32_e32 0, v26
	s_xor_b32 s11, exec_lo, s11
; %bb.16862:                            ;   in Loop: Header=BB6_16488 Depth=2
	s_delay_alu instid0(VALU_DEP_2) | instskip(SKIP_1) | instid1(VALU_DEP_1)
	v_cmp_lt_u64_e32 vcc_lo, 0xffffff, v[54:55]
	v_add_nc_u32_e32 v10, 7, v13
	v_cndmask_b32_e32 v12, v26, v10, vcc_lo
	v_cndmask_b32_e64 v10, 0, 1, vcc_lo
	s_delay_alu instid0(VALU_DEP_1)
	v_lshrrev_b64 v[10:11], v10, v[54:55]
; %bb.16863:                            ;   in Loop: Header=BB6_16488 Depth=2
	s_and_not1_saveexec_b32 s11, s11
; %bb.16864:                            ;   in Loop: Header=BB6_16488 Depth=2
	v_mov_b64_e32 v[10:11], v[54:55]
	v_bfe_u32 v12, v54, 23, 1
; %bb.16865:                            ;   in Loop: Header=BB6_16488 Depth=2
	s_or_b32 exec_lo, exec_lo, s11
	s_delay_alu instid0(VALU_DEP_2) | instskip(NEXT) | instid1(VALU_DEP_2)
	v_lshrrev_b64 v[10:11], 20, v[10:11]
	v_cmp_gt_i32_e32 vcc_lo, 16, v12
	v_min_i32_e32 v13, 15, v12
	v_cmp_eq_u32_e64 s11, 0, v12
	s_delay_alu instid0(VALU_DEP_2) | instskip(SKIP_1) | instid1(VALU_DEP_2)
	v_dual_cndmask_b32 v11, 0, v11, vcc_lo :: v_dual_lshlrev_b32 v13, 3, v13
	v_cndmask_b32_e32 v10, 7, v10, vcc_lo
	v_and_b32_e32 v13, 0xf8, v13
	s_delay_alu instid0(VALU_DEP_2) | instskip(NEXT) | instid1(VALU_DEP_2)
	v_cmp_eq_u64_e32 vcc_lo, 0, v[10:11]
	v_and_or_b32 v10, v10, 7, v13
	s_and_b32 s11, s11, vcc_lo
	s_delay_alu instid0(VALU_DEP_1) | instid1(SALU_CYCLE_1)
	v_cndmask_b32_e64 v10, v10, 0, s11
	s_delay_alu instid0(VALU_DEP_1)
	v_or_b32_e32 v10, v10, v17
.LBB6_16866:                            ;   in Loop: Header=BB6_16488 Depth=2
	s_or_b32 exec_lo, exec_lo, s29
                                        ; implicit-def: $vgpr17
.LBB6_16867:                            ;   in Loop: Header=BB6_16488 Depth=2
	s_and_not1_saveexec_b32 s11, s28
; %bb.16868:                            ;   in Loop: Header=BB6_16488 Depth=2
	v_or_b32_e32 v10, 0x7e, v17
; %bb.16869:                            ;   in Loop: Header=BB6_16488 Depth=2
	s_or_b32 exec_lo, exec_lo, s11
                                        ; implicit-def: $vgpr12
.LBB6_16870:                            ;   in Loop: Header=BB6_16488 Depth=2
	s_and_not1_saveexec_b32 s11, s27
	s_cbranch_execz .LBB6_16487
; %bb.16871:                            ;   in Loop: Header=BB6_16488 Depth=2
	v_or_b32_e32 v10, 0x7f, v12
	s_branch .LBB6_16487
.LBB6_16872:                            ;   in Loop: Header=BB6_13392 Depth=1
	s_or_b32 exec_lo, exec_lo, s24
.LBB6_16873:                            ;   in Loop: Header=BB6_13392 Depth=1
	s_delay_alu instid0(SALU_CYCLE_1) | instskip(SKIP_3) | instid1(VALU_DEP_2)
	s_or_b32 exec_lo, exec_lo, s23
	v_cmp_lt_i32_e32 vcc_lo, 0, v3
	v_and_b32_e32 v1, 15, v88
	v_and_b32_e32 v4, 0x1f0, v88
	v_dual_cndmask_b32 v5, 0, v70, vcc_lo :: v_dual_cndmask_b32 v1, v0, v1, s10
	s_delay_alu instid0(VALU_DEP_1) | instskip(NEXT) | instid1(VALU_DEP_2)
	v_dual_cndmask_b32 v0, 0, v4, s10 :: v_dual_sub_nc_u32 v3, v5, v3
	v_cmp_ne_u32_e32 vcc_lo, 0, v1
	s_delay_alu instid0(VALU_DEP_2) | instskip(NEXT) | instid1(VALU_DEP_3)
	v_and_or_b32 v0, 0x3ffffe00, v88, v0
	v_lshl_add_u32 v2, v3, 5, v2
	s_and_b32 s10, vcc_lo, exec_lo
.LBB6_16874:                            ;   in Loop: Header=BB6_13392 Depth=1
	s_or_b32 exec_lo, exec_lo, s22
	scratch_load_b64 v[96:97], off, s33 offset:412 ; 8-byte Folded Reload
	s_wait_xcnt 0x0
	s_and_saveexec_b32 s22, s10
	s_cbranch_execz .LBB6_17815
.LBB6_16875:                            ;   in Loop: Header=BB6_13392 Depth=1
	s_wait_loadcnt 0x0
	v_dual_ashrrev_i32 v3, 31, v2 :: v_dual_lshrrev_b32 v4, 10, v1
	s_mov_b32 s23, exec_lo
	s_delay_alu instid0(VALU_DEP_1) | instskip(NEXT) | instid1(VALU_DEP_1)
	v_lshrrev_b32_e32 v3, 27, v3
	v_add_nc_u32_e32 v5, v2, v3
	s_delay_alu instid0(VALU_DEP_1) | instskip(NEXT) | instid1(VALU_DEP_1)
	v_ashrrev_i32_e32 v3, 5, v5
	v_sub_nc_u32_e32 v4, v4, v3
	s_delay_alu instid0(VALU_DEP_1)
	v_cmpx_lt_i32_e32 0, v4
	s_cbranch_execz .LBB6_17779
; %bb.16876:                            ;   in Loop: Header=BB6_13392 Depth=1
	v_and_b32_e32 v5, 0xffffffe0, v5
	s_mov_b32 s24, 0
	s_delay_alu instid0(VALU_DEP_1) | instskip(NEXT) | instid1(VALU_DEP_1)
	v_dual_lshlrev_b32 v6, 10, v3 :: v_dual_sub_nc_u32 v5, v2, v5
	v_add3_u32 v10, v0, v5, v6
	s_delay_alu instid0(VALU_DEP_1)
	v_ashrrev_i32_e32 v11, 31, v10
	s_branch .LBB6_16878
.LBB6_16877:                            ;   in Loop: Header=BB6_16878 Depth=2
	s_or_b32 exec_lo, exec_lo, s10
	v_sub_nc_u32_e32 v4, v4, v70
	v_add_nc_u64_e32 v[14:15], v[10:11], v[100:101]
	v_add_nc_u64_e32 v[98:99], v[98:99], v[82:83]
	;; [unrolled: 1-line block ×3, first 2 shown]
	s_clause 0x7
	flat_store_b8 v[14:15], v5 th:TH_STORE_NT
	flat_store_b8 v[14:15], v6 offset:32 th:TH_STORE_NT
	flat_store_b8 v[14:15], v7 offset:64 th:TH_STORE_NT
	;; [unrolled: 1-line block ×7, first 2 shown]
	v_cmp_gt_i32_e32 vcc_lo, 1, v4
	s_clause 0x17
	flat_store_b8 v[14:15], v21 offset:256 th:TH_STORE_NT
	flat_store_b8 v[14:15], v22 offset:288 th:TH_STORE_NT
	flat_store_b8 v[14:15], v23 offset:320 th:TH_STORE_NT
	flat_store_b8 v[14:15], v24 offset:352 th:TH_STORE_NT
	flat_store_b8 v[14:15], v25 offset:384 th:TH_STORE_NT
	flat_store_b8 v[14:15], v26 offset:416 th:TH_STORE_NT
	flat_store_b8 v[14:15], v27 offset:448 th:TH_STORE_NT
	flat_store_b8 v[14:15], v28 offset:480 th:TH_STORE_NT
	flat_store_b8 v[14:15], v29 offset:512 th:TH_STORE_NT
	flat_store_b8 v[14:15], v30 offset:544 th:TH_STORE_NT
	flat_store_b8 v[14:15], v31 offset:576 th:TH_STORE_NT
	flat_store_b8 v[14:15], v34 offset:608 th:TH_STORE_NT
	flat_store_b8 v[14:15], v35 offset:640 th:TH_STORE_NT
	flat_store_b8 v[14:15], v36 offset:672 th:TH_STORE_NT
	flat_store_b8 v[14:15], v37 offset:704 th:TH_STORE_NT
	flat_store_b8 v[14:15], v38 offset:736 th:TH_STORE_NT
	flat_store_b8 v[14:15], v39 offset:768 th:TH_STORE_NT
	flat_store_b8 v[14:15], v50 offset:800 th:TH_STORE_NT
	flat_store_b8 v[14:15], v51 offset:832 th:TH_STORE_NT
	flat_store_b8 v[14:15], v52 offset:864 th:TH_STORE_NT
	flat_store_b8 v[14:15], v53 offset:896 th:TH_STORE_NT
	flat_store_b8 v[14:15], v64 offset:928 th:TH_STORE_NT
	flat_store_b8 v[14:15], v16 offset:960 th:TH_STORE_NT
	flat_store_b8 v[14:15], v13 offset:992 th:TH_STORE_NT
	s_or_b32 s24, vcc_lo, s24
	s_wait_xcnt 0x0
	s_and_not1_b32 exec_lo, exec_lo, s24
	s_cbranch_execz .LBB6_17778
.LBB6_16878:                            ;   Parent Loop BB6_13392 Depth=1
                                        ; =>  This Inner Loop Header: Depth=2
	s_trap 2
	ds_load_b64 v[6:7], v0
	s_mov_b32 s25, 0
	s_wait_dscnt 0x0
	v_and_b32_e32 v5, 0xff, v6
	v_readfirstlane_b32 s10, v6
	v_readfirstlane_b32 s11, v7
	s_delay_alu instid0(VALU_DEP_3)
	v_cmp_eq_u32_e32 vcc_lo, 0, v5
	s_cbranch_vccnz .LBB6_16882
; %bb.16879:                            ;   in Loop: Header=BB6_16878 Depth=2
	v_cmp_eq_u32_e32 vcc_lo, 0x80, v5
	s_brev_b32 s25, 1
	s_cbranch_vccnz .LBB6_16882
; %bb.16880:                            ;   in Loop: Header=BB6_16878 Depth=2
	s_and_b32 s26, s10, 0x7f
	s_mov_b32 s25, 0x7f800001
	s_cmp_eq_u32 s26, 0x7f
	s_cbranch_scc1 .LBB6_16882
; %bb.16881:                            ;   in Loop: Header=BB6_16878 Depth=2
	s_and_b32 s25, s10, 7
	s_lshr_b32 s27, s26, 3
	s_clz_i32_u32 s25, s25
	s_delay_alu instid0(SALU_CYCLE_1) | instskip(NEXT) | instid1(SALU_CYCLE_1)
	s_min_u32 s25, s25, 32
	s_sub_co_i32 s28, s25, 28
	s_sub_co_i32 s25, 29, s25
	s_cmp_lt_u32 s26, 8
	s_cselect_b32 s26, s28, 0
	s_cselect_b32 s25, s25, s27
	s_lshl_b64 s[26:27], s[10:11], s26
	s_lshl_b32 s10, s10, 24
	s_lshl_b32 s11, s26, 20
	;; [unrolled: 1-line block ×3, first 2 shown]
	s_and_b32 s11, s11, 0x700000
	s_and_b32 s10, s10, 0x80000000
	s_add_co_i32 s25, s25, 0x3c000000
	s_or_b32 s10, s11, s10
	s_delay_alu instid0(SALU_CYCLE_1)
	s_or_b32 s25, s25, s10
.LBB6_16882:                            ;   in Loop: Header=BB6_16878 Depth=2
	v_add_nc_u64_e32 v[12:13], v[10:11], v[98:99]
	v_mov_b32_e32 v6, 0
	s_mov_b32 s10, exec_lo
	flat_load_u8 v5, v[12:13] th:TH_LOAD_NT
	s_wait_loadcnt_dscnt 0x0
	s_wait_xcnt 0x0
	v_cmpx_ne_u16_e32 0, v5
	s_cbranch_execz .LBB6_16890
; %bb.16883:                            ;   in Loop: Header=BB6_16878 Depth=2
	v_bfrev_b32_e32 v6, 1
	s_mov_b32 s11, exec_lo
	v_cmpx_ne_u16_e32 0x80, v5
	s_cbranch_execz .LBB6_16889
; %bb.16884:                            ;   in Loop: Header=BB6_16878 Depth=2
	v_and_b32_e32 v8, 0xffff, v5
	v_mov_b32_e32 v6, 0x7f800001
	s_mov_b32 s26, exec_lo
	s_delay_alu instid0(VALU_DEP_2) | instskip(NEXT) | instid1(VALU_DEP_1)
	v_and_b32_e32 v7, 0x7f, v8
	v_cmpx_ne_u32_e32 0x7f, v7
	s_cbranch_execz .LBB6_16888
; %bb.16885:                            ;   in Loop: Header=BB6_16878 Depth=2
	v_dual_lshrrev_b32 v6, 3, v7 :: v_dual_bitop2_b32 v54, 7, v8 bitop3:0x40
	s_mov_b32 s27, exec_lo
	v_cmpx_gt_u32_e32 8, v7
; %bb.16886:                            ;   in Loop: Header=BB6_16878 Depth=2
	s_delay_alu instid0(VALU_DEP_2) | instskip(NEXT) | instid1(VALU_DEP_1)
	v_clz_i32_u32_e32 v6, v54
	v_min_u32_e32 v6, 32, v6
	s_delay_alu instid0(VALU_DEP_1) | instskip(NEXT) | instid1(VALU_DEP_1)
	v_subrev_nc_u32_e32 v7, 28, v6
	v_lshlrev_b64_e32 v[8:9], v7, v[54:55]
	s_delay_alu instid0(VALU_DEP_1)
	v_dual_sub_nc_u32 v6, 29, v6 :: v_dual_bitop2_b32 v54, 7, v8 bitop3:0x40
; %bb.16887:                            ;   in Loop: Header=BB6_16878 Depth=2
	s_or_b32 exec_lo, exec_lo, s27
	s_delay_alu instid0(VALU_DEP_1) | instskip(NEXT) | instid1(VALU_DEP_2)
	v_dual_lshlrev_b32 v5, 24, v5 :: v_dual_lshlrev_b32 v7, 20, v54
	v_lshl_add_u32 v6, v6, 23, 0x3c000000
	s_delay_alu instid0(VALU_DEP_2) | instskip(NEXT) | instid1(VALU_DEP_1)
	v_and_b32_e32 v5, 0x80000000, v5
	v_or3_b32 v6, v7, v5, v6
.LBB6_16888:                            ;   in Loop: Header=BB6_16878 Depth=2
	s_or_b32 exec_lo, exec_lo, s26
.LBB6_16889:                            ;   in Loop: Header=BB6_16878 Depth=2
	s_delay_alu instid0(SALU_CYCLE_1)
	s_or_b32 exec_lo, exec_lo, s11
.LBB6_16890:                            ;   in Loop: Header=BB6_16878 Depth=2
	s_delay_alu instid0(SALU_CYCLE_1) | instskip(NEXT) | instid1(VALU_DEP_1)
	s_or_b32 exec_lo, exec_lo, s10
	v_mul_f32_e32 v7, s25, v6
                                        ; implicit-def: $vgpr5
	s_mov_b32 s10, exec_lo
	s_delay_alu instid0(VALU_DEP_1) | instskip(SKIP_1) | instid1(VALU_DEP_2)
	v_and_b32_e32 v54, 0x7f800000, v7
	v_lshrrev_b32_e32 v6, 24, v7
	v_cmpx_ne_u64_e32 0x7f800000, v[54:55]
	s_xor_b32 s11, exec_lo, s10
	s_cbranch_execz .LBB6_16908
; %bb.16891:                            ;   in Loop: Header=BB6_16878 Depth=2
	v_and_b32_e32 v54, 0x7fffffff, v7
	v_and_b32_e32 v6, 0x80, v6
                                        ; implicit-def: $vgpr5
	s_mov_b32 s10, exec_lo
	s_delay_alu instid0(VALU_DEP_2)
	v_cmpx_gt_u64_e32 0x43e00001, v[54:55]
	s_xor_b32 s26, exec_lo, s10
	s_cbranch_execz .LBB6_16905
; %bb.16892:                            ;   in Loop: Header=BB6_16878 Depth=2
	v_mov_b32_e32 v5, 0
	s_mov_b32 s27, exec_lo
	v_cmpx_ne_u32_e32 0, v7
	s_cbranch_execz .LBB6_16904
; %bb.16893:                            ;   in Loop: Header=BB6_16878 Depth=2
	v_bfe_u32 v5, v7, 23, 8
	v_and_b32_e32 v7, 0x7fffff, v7
	s_delay_alu instid0(VALU_DEP_2) | instskip(SKIP_1) | instid1(VALU_DEP_3)
	v_sub_nc_u32_e32 v8, 0x79, v5
	v_cmp_gt_u32_e32 vcc_lo, 0x7a, v5
	v_or_b32_e32 v16, 0x800000, v7
	s_delay_alu instid0(VALU_DEP_3) | instskip(SKIP_1) | instid1(VALU_DEP_3)
	v_cndmask_b32_e32 v8, 0, v8, vcc_lo
	v_cmp_eq_u32_e32 vcc_lo, 0, v5
	v_cndmask_b32_e32 v54, v16, v7, vcc_lo
	s_delay_alu instid0(VALU_DEP_3) | instskip(NEXT) | instid1(VALU_DEP_1)
	v_cndmask_b32_e64 v8, v8, 0x78, vcc_lo
	v_add_nc_u32_e32 v9, 20, v8
	s_delay_alu instid0(VALU_DEP_1) | instskip(SKIP_1) | instid1(VALU_DEP_1)
	v_lshlrev_b64_e64 v[14:15], v9, -1
	v_add_nc_u32_e32 v9, 19, v8
	v_lshlrev_b64_e64 v[16:17], v9, 1
	s_delay_alu instid0(VALU_DEP_3) | instskip(NEXT) | instid1(VALU_DEP_4)
	v_bfi_b32 v19, v15, 0, 0
	v_bfi_b32 v18, v14, 0, v54
	v_lshrrev_b64 v[14:15], v8, v[54:55]
	s_delay_alu instid0(VALU_DEP_2) | instskip(NEXT) | instid1(VALU_DEP_2)
	v_cmp_eq_u64_e64 s10, v[18:19], v[16:17]
	v_mov_b64_e32 v[16:17], v[14:15]
	s_and_saveexec_b32 s28, s10
; %bb.16894:                            ;   in Loop: Header=BB6_16878 Depth=2
	v_bfe_u32 v54, v14, 20, 1
	s_delay_alu instid0(VALU_DEP_1) | instskip(NEXT) | instid1(VALU_DEP_1)
	v_add_nc_u64_e32 v[16:17], v[14:15], v[54:55]
	v_add_nc_u64_e32 v[16:17], -1, v[16:17]
; %bb.16895:                            ;   in Loop: Header=BB6_16878 Depth=2
	s_or_b32 exec_lo, exec_lo, s28
	v_add_nc_u32_e32 v5, 0xffffff81, v5
	v_lshrrev_b32_e32 v7, 23, v14
	s_mov_b32 s10, exec_lo
	s_delay_alu instid0(VALU_DEP_2) | instskip(NEXT) | instid1(VALU_DEP_1)
	v_cndmask_b32_e64 v5, v5, 0xffffff82, vcc_lo
	v_add3_u32 v5, v8, v5, v7
	v_and_b32_e32 v7, 0xfffff, v16
	s_delay_alu instid0(VALU_DEP_1) | instskip(NEXT) | instid1(VALU_DEP_1)
	v_dual_add_nc_u32 v8, 6, v5 :: v_dual_add_nc_u32 v54, v7, v14
                                        ; implicit-def: $vgpr14_vgpr15
                                        ; implicit-def: $vgpr7
	v_cmpx_ne_u32_e32 0, v8
	s_xor_b32 s10, exec_lo, s10
; %bb.16896:                            ;   in Loop: Header=BB6_16878 Depth=2
	s_delay_alu instid0(VALU_DEP_2) | instskip(SKIP_1) | instid1(VALU_DEP_1)
	v_cmp_lt_u64_e32 vcc_lo, 0xffffff, v[54:55]
	v_add_nc_u32_e32 v5, 7, v5
	v_cndmask_b32_e32 v7, v8, v5, vcc_lo
	v_cndmask_b32_e64 v5, 0, 1, vcc_lo
	s_delay_alu instid0(VALU_DEP_1)
	v_lshrrev_b64 v[14:15], v5, v[54:55]
; %bb.16897:                            ;   in Loop: Header=BB6_16878 Depth=2
	s_and_not1_saveexec_b32 s10, s10
; %bb.16898:                            ;   in Loop: Header=BB6_16878 Depth=2
	v_mov_b64_e32 v[14:15], v[54:55]
	v_bfe_u32 v7, v54, 23, 1
; %bb.16899:                            ;   in Loop: Header=BB6_16878 Depth=2
	s_or_b32 exec_lo, exec_lo, s10
	s_delay_alu instid0(VALU_DEP_2) | instskip(NEXT) | instid1(VALU_DEP_2)
	v_lshrrev_b64 v[8:9], 20, v[14:15]
	v_cmp_gt_i32_e32 vcc_lo, 16, v7
	v_cmp_ne_u32_e64 s10, 0, v7
                                        ; implicit-def: $vgpr5
	s_delay_alu instid0(VALU_DEP_3) | instskip(NEXT) | instid1(VALU_DEP_1)
	v_dual_cndmask_b32 v15, 0, v9 :: v_dual_cndmask_b32 v14, 7, v8
	v_cmp_ne_u64_e32 vcc_lo, 0, v[14:15]
	s_or_b32 s10, s10, vcc_lo
	s_delay_alu instid0(SALU_CYCLE_1) | instskip(NEXT) | instid1(SALU_CYCLE_1)
	s_and_saveexec_b32 s28, s10
	s_xor_b32 s10, exec_lo, s28
; %bb.16900:                            ;   in Loop: Header=BB6_16878 Depth=2
	v_min_i32_e32 v5, 15, v7
	s_delay_alu instid0(VALU_DEP_1) | instskip(NEXT) | instid1(VALU_DEP_1)
	v_lshl_or_b32 v5, v5, 3, v6
                                        ; implicit-def: $vgpr6
	v_and_or_b32 v5, v14, 7, v5
; %bb.16901:                            ;   in Loop: Header=BB6_16878 Depth=2
	s_and_not1_saveexec_b32 s10, s10
; %bb.16902:                            ;   in Loop: Header=BB6_16878 Depth=2
	v_mov_b32_e32 v5, v6
; %bb.16903:                            ;   in Loop: Header=BB6_16878 Depth=2
	s_or_b32 exec_lo, exec_lo, s10
.LBB6_16904:                            ;   in Loop: Header=BB6_16878 Depth=2
	s_delay_alu instid0(SALU_CYCLE_1)
	s_or_b32 exec_lo, exec_lo, s27
                                        ; implicit-def: $vgpr6
.LBB6_16905:                            ;   in Loop: Header=BB6_16878 Depth=2
	s_and_not1_saveexec_b32 s10, s26
; %bb.16906:                            ;   in Loop: Header=BB6_16878 Depth=2
	v_or_b32_e32 v5, 0x7e, v6
; %bb.16907:                            ;   in Loop: Header=BB6_16878 Depth=2
	s_or_b32 exec_lo, exec_lo, s10
                                        ; implicit-def: $vgpr6
.LBB6_16908:                            ;   in Loop: Header=BB6_16878 Depth=2
	s_and_not1_saveexec_b32 s10, s11
; %bb.16909:                            ;   in Loop: Header=BB6_16878 Depth=2
	v_or_b32_e32 v5, 0x7f, v6
; %bb.16910:                            ;   in Loop: Header=BB6_16878 Depth=2
	s_or_b32 exec_lo, exec_lo, s10
	flat_load_u8 v6, v[12:13] offset:32 th:TH_LOAD_NT
	v_mov_b32_e32 v7, 0
	s_mov_b32 s10, exec_lo
	s_wait_loadcnt_dscnt 0x0
	s_wait_xcnt 0x0
	v_cmpx_ne_u16_e32 0, v6
	s_cbranch_execz .LBB6_16918
; %bb.16911:                            ;   in Loop: Header=BB6_16878 Depth=2
	v_bfrev_b32_e32 v7, 1
	s_mov_b32 s11, exec_lo
	v_cmpx_ne_u16_e32 0x80, v6
	s_cbranch_execz .LBB6_16917
; %bb.16912:                            ;   in Loop: Header=BB6_16878 Depth=2
	v_and_b32_e32 v9, 0xffff, v6
	v_mov_b32_e32 v7, 0x7f800001
	s_mov_b32 s26, exec_lo
	s_delay_alu instid0(VALU_DEP_2) | instskip(NEXT) | instid1(VALU_DEP_1)
	v_and_b32_e32 v8, 0x7f, v9
	v_cmpx_ne_u32_e32 0x7f, v8
	s_cbranch_execz .LBB6_16916
; %bb.16913:                            ;   in Loop: Header=BB6_16878 Depth=2
	v_dual_lshrrev_b32 v7, 3, v8 :: v_dual_bitop2_b32 v54, 7, v9 bitop3:0x40
	s_mov_b32 s27, exec_lo
	v_cmpx_gt_u32_e32 8, v8
; %bb.16914:                            ;   in Loop: Header=BB6_16878 Depth=2
	s_delay_alu instid0(VALU_DEP_2) | instskip(NEXT) | instid1(VALU_DEP_1)
	v_clz_i32_u32_e32 v7, v54
	v_min_u32_e32 v7, 32, v7
	s_delay_alu instid0(VALU_DEP_1) | instskip(NEXT) | instid1(VALU_DEP_1)
	v_subrev_nc_u32_e32 v8, 28, v7
	v_lshlrev_b64_e32 v[8:9], v8, v[54:55]
	s_delay_alu instid0(VALU_DEP_1)
	v_dual_sub_nc_u32 v7, 29, v7 :: v_dual_bitop2_b32 v54, 7, v8 bitop3:0x40
; %bb.16915:                            ;   in Loop: Header=BB6_16878 Depth=2
	s_or_b32 exec_lo, exec_lo, s27
	v_lshlrev_b32_e32 v6, 24, v6
	s_delay_alu instid0(VALU_DEP_2) | instskip(NEXT) | instid1(VALU_DEP_3)
	v_lshlrev_b32_e32 v8, 20, v54
	v_lshl_add_u32 v7, v7, 23, 0x3c000000
	s_delay_alu instid0(VALU_DEP_3) | instskip(NEXT) | instid1(VALU_DEP_1)
	v_and_b32_e32 v6, 0x80000000, v6
	v_or3_b32 v7, v8, v6, v7
.LBB6_16916:                            ;   in Loop: Header=BB6_16878 Depth=2
	s_or_b32 exec_lo, exec_lo, s26
.LBB6_16917:                            ;   in Loop: Header=BB6_16878 Depth=2
	s_delay_alu instid0(SALU_CYCLE_1)
	s_or_b32 exec_lo, exec_lo, s11
.LBB6_16918:                            ;   in Loop: Header=BB6_16878 Depth=2
	s_delay_alu instid0(SALU_CYCLE_1) | instskip(NEXT) | instid1(VALU_DEP_1)
	s_or_b32 exec_lo, exec_lo, s10
	v_mul_f32_e32 v8, s25, v7
                                        ; implicit-def: $vgpr6
	s_mov_b32 s10, exec_lo
	s_delay_alu instid0(VALU_DEP_1) | instskip(SKIP_1) | instid1(VALU_DEP_2)
	v_and_b32_e32 v54, 0x7f800000, v8
	v_lshrrev_b32_e32 v7, 24, v8
	v_cmpx_ne_u64_e32 0x7f800000, v[54:55]
	s_xor_b32 s11, exec_lo, s10
	s_cbranch_execz .LBB6_16936
; %bb.16919:                            ;   in Loop: Header=BB6_16878 Depth=2
	v_and_b32_e32 v54, 0x7fffffff, v8
	v_and_b32_e32 v7, 0x80, v7
                                        ; implicit-def: $vgpr6
	s_mov_b32 s10, exec_lo
	s_delay_alu instid0(VALU_DEP_2)
	v_cmpx_gt_u64_e32 0x43e00001, v[54:55]
	s_xor_b32 s26, exec_lo, s10
	s_cbranch_execz .LBB6_16933
; %bb.16920:                            ;   in Loop: Header=BB6_16878 Depth=2
	v_mov_b32_e32 v6, 0
	s_mov_b32 s27, exec_lo
	v_cmpx_ne_u32_e32 0, v8
	s_cbranch_execz .LBB6_16932
; %bb.16921:                            ;   in Loop: Header=BB6_16878 Depth=2
	v_bfe_u32 v6, v8, 23, 8
	v_and_b32_e32 v8, 0x7fffff, v8
	s_delay_alu instid0(VALU_DEP_2) | instskip(NEXT) | instid1(VALU_DEP_2)
	v_cmp_gt_u32_e32 vcc_lo, 0x7a, v6
	v_or_b32_e32 v16, 0x800000, v8
	v_sub_nc_u32_e32 v9, 0x79, v6
	s_delay_alu instid0(VALU_DEP_1) | instskip(SKIP_1) | instid1(VALU_DEP_2)
	v_cndmask_b32_e32 v9, 0, v9, vcc_lo
	v_cmp_eq_u32_e32 vcc_lo, 0, v6
	v_cndmask_b32_e64 v9, v9, 0x78, vcc_lo
	s_delay_alu instid0(VALU_DEP_1) | instskip(SKIP_1) | instid1(VALU_DEP_2)
	v_dual_cndmask_b32 v54, v16, v8, vcc_lo :: v_dual_add_nc_u32 v14, 20, v9
	v_add_nc_u32_e32 v17, 19, v9
	v_lshlrev_b64_e64 v[14:15], v14, -1
	s_delay_alu instid0(VALU_DEP_2) | instskip(NEXT) | instid1(VALU_DEP_2)
	v_lshlrev_b64_e64 v[16:17], v17, 1
	v_bfi_b32 v19, v15, 0, 0
	s_delay_alu instid0(VALU_DEP_3) | instskip(SKIP_1) | instid1(VALU_DEP_2)
	v_bfi_b32 v18, v14, 0, v54
	v_lshrrev_b64 v[14:15], v9, v[54:55]
	v_cmp_eq_u64_e64 s10, v[18:19], v[16:17]
	s_delay_alu instid0(VALU_DEP_2)
	v_mov_b64_e32 v[16:17], v[14:15]
	s_and_saveexec_b32 s28, s10
; %bb.16922:                            ;   in Loop: Header=BB6_16878 Depth=2
	v_bfe_u32 v54, v14, 20, 1
	s_delay_alu instid0(VALU_DEP_1) | instskip(NEXT) | instid1(VALU_DEP_1)
	v_add_nc_u64_e32 v[16:17], v[14:15], v[54:55]
	v_add_nc_u64_e32 v[16:17], -1, v[16:17]
; %bb.16923:                            ;   in Loop: Header=BB6_16878 Depth=2
	s_or_b32 exec_lo, exec_lo, s28
	v_add_nc_u32_e32 v6, 0xffffff81, v6
	v_lshrrev_b32_e32 v8, 23, v14
	s_mov_b32 s10, exec_lo
	s_delay_alu instid0(VALU_DEP_2) | instskip(NEXT) | instid1(VALU_DEP_1)
	v_cndmask_b32_e64 v6, v6, 0xffffff82, vcc_lo
	v_add3_u32 v6, v9, v6, v8
	v_and_b32_e32 v8, 0xfffff, v16
	s_delay_alu instid0(VALU_DEP_2) | instskip(NEXT) | instid1(VALU_DEP_2)
	v_add_nc_u32_e32 v9, 6, v6
	v_add_nc_u32_e32 v54, v8, v14
                                        ; implicit-def: $vgpr14_vgpr15
                                        ; implicit-def: $vgpr8
	s_delay_alu instid0(VALU_DEP_2)
	v_cmpx_ne_u32_e32 0, v9
	s_xor_b32 s10, exec_lo, s10
; %bb.16924:                            ;   in Loop: Header=BB6_16878 Depth=2
	s_delay_alu instid0(VALU_DEP_2) | instskip(SKIP_1) | instid1(VALU_DEP_1)
	v_cmp_lt_u64_e32 vcc_lo, 0xffffff, v[54:55]
	v_add_nc_u32_e32 v6, 7, v6
	v_cndmask_b32_e32 v8, v9, v6, vcc_lo
	v_cndmask_b32_e64 v6, 0, 1, vcc_lo
	s_delay_alu instid0(VALU_DEP_1)
	v_lshrrev_b64 v[14:15], v6, v[54:55]
; %bb.16925:                            ;   in Loop: Header=BB6_16878 Depth=2
	s_and_not1_saveexec_b32 s10, s10
; %bb.16926:                            ;   in Loop: Header=BB6_16878 Depth=2
	v_mov_b64_e32 v[14:15], v[54:55]
	v_bfe_u32 v8, v54, 23, 1
; %bb.16927:                            ;   in Loop: Header=BB6_16878 Depth=2
	s_or_b32 exec_lo, exec_lo, s10
	s_delay_alu instid0(VALU_DEP_2) | instskip(NEXT) | instid1(VALU_DEP_2)
	v_lshrrev_b64 v[14:15], 20, v[14:15]
	v_cmp_gt_i32_e32 vcc_lo, 16, v8
	v_cmp_ne_u32_e64 s10, 0, v8
                                        ; implicit-def: $vgpr6
	s_delay_alu instid0(VALU_DEP_3) | instskip(NEXT) | instid1(VALU_DEP_1)
	v_dual_cndmask_b32 v15, 0, v15 :: v_dual_cndmask_b32 v14, 7, v14
	v_cmp_ne_u64_e32 vcc_lo, 0, v[14:15]
	s_or_b32 s10, s10, vcc_lo
	s_delay_alu instid0(SALU_CYCLE_1) | instskip(NEXT) | instid1(SALU_CYCLE_1)
	s_and_saveexec_b32 s28, s10
	s_xor_b32 s10, exec_lo, s28
; %bb.16928:                            ;   in Loop: Header=BB6_16878 Depth=2
	v_min_i32_e32 v6, 15, v8
	s_delay_alu instid0(VALU_DEP_1) | instskip(NEXT) | instid1(VALU_DEP_1)
	v_lshl_or_b32 v6, v6, 3, v7
                                        ; implicit-def: $vgpr7
	v_and_or_b32 v6, v14, 7, v6
; %bb.16929:                            ;   in Loop: Header=BB6_16878 Depth=2
	s_and_not1_saveexec_b32 s10, s10
; %bb.16930:                            ;   in Loop: Header=BB6_16878 Depth=2
	v_mov_b32_e32 v6, v7
; %bb.16931:                            ;   in Loop: Header=BB6_16878 Depth=2
	s_or_b32 exec_lo, exec_lo, s10
.LBB6_16932:                            ;   in Loop: Header=BB6_16878 Depth=2
	s_delay_alu instid0(SALU_CYCLE_1)
	s_or_b32 exec_lo, exec_lo, s27
                                        ; implicit-def: $vgpr7
.LBB6_16933:                            ;   in Loop: Header=BB6_16878 Depth=2
	s_and_not1_saveexec_b32 s10, s26
; %bb.16934:                            ;   in Loop: Header=BB6_16878 Depth=2
	v_or_b32_e32 v6, 0x7e, v7
; %bb.16935:                            ;   in Loop: Header=BB6_16878 Depth=2
	s_or_b32 exec_lo, exec_lo, s10
                                        ; implicit-def: $vgpr7
.LBB6_16936:                            ;   in Loop: Header=BB6_16878 Depth=2
	s_and_not1_saveexec_b32 s10, s11
; %bb.16937:                            ;   in Loop: Header=BB6_16878 Depth=2
	v_or_b32_e32 v6, 0x7f, v7
; %bb.16938:                            ;   in Loop: Header=BB6_16878 Depth=2
	s_or_b32 exec_lo, exec_lo, s10
	flat_load_u8 v7, v[12:13] offset:64 th:TH_LOAD_NT
	v_mov_b32_e32 v8, 0
	s_mov_b32 s10, exec_lo
	s_wait_loadcnt_dscnt 0x0
	s_wait_xcnt 0x0
	v_cmpx_ne_u16_e32 0, v7
	s_cbranch_execz .LBB6_16946
; %bb.16939:                            ;   in Loop: Header=BB6_16878 Depth=2
	v_bfrev_b32_e32 v8, 1
	s_mov_b32 s11, exec_lo
	v_cmpx_ne_u16_e32 0x80, v7
	s_cbranch_execz .LBB6_16945
; %bb.16940:                            ;   in Loop: Header=BB6_16878 Depth=2
	v_and_b32_e32 v14, 0xffff, v7
	v_mov_b32_e32 v8, 0x7f800001
	s_mov_b32 s26, exec_lo
	s_delay_alu instid0(VALU_DEP_2) | instskip(NEXT) | instid1(VALU_DEP_1)
	v_and_b32_e32 v9, 0x7f, v14
	v_cmpx_ne_u32_e32 0x7f, v9
	s_cbranch_execz .LBB6_16944
; %bb.16941:                            ;   in Loop: Header=BB6_16878 Depth=2
	v_dual_lshrrev_b32 v8, 3, v9 :: v_dual_bitop2_b32 v54, 7, v14 bitop3:0x40
	s_mov_b32 s27, exec_lo
	v_cmpx_gt_u32_e32 8, v9
; %bb.16942:                            ;   in Loop: Header=BB6_16878 Depth=2
	s_delay_alu instid0(VALU_DEP_2) | instskip(NEXT) | instid1(VALU_DEP_1)
	v_clz_i32_u32_e32 v8, v54
	v_min_u32_e32 v8, 32, v8
	s_delay_alu instid0(VALU_DEP_1) | instskip(NEXT) | instid1(VALU_DEP_1)
	v_subrev_nc_u32_e32 v9, 28, v8
	v_lshlrev_b64_e32 v[14:15], v9, v[54:55]
	s_delay_alu instid0(VALU_DEP_1)
	v_dual_sub_nc_u32 v8, 29, v8 :: v_dual_bitop2_b32 v54, 7, v14 bitop3:0x40
; %bb.16943:                            ;   in Loop: Header=BB6_16878 Depth=2
	s_or_b32 exec_lo, exec_lo, s27
	s_delay_alu instid0(VALU_DEP_1) | instskip(NEXT) | instid1(VALU_DEP_2)
	v_dual_lshlrev_b32 v7, 24, v7 :: v_dual_lshlrev_b32 v9, 20, v54
	v_lshl_add_u32 v8, v8, 23, 0x3c000000
	s_delay_alu instid0(VALU_DEP_2) | instskip(NEXT) | instid1(VALU_DEP_1)
	v_and_b32_e32 v7, 0x80000000, v7
	v_or3_b32 v8, v9, v7, v8
.LBB6_16944:                            ;   in Loop: Header=BB6_16878 Depth=2
	s_or_b32 exec_lo, exec_lo, s26
.LBB6_16945:                            ;   in Loop: Header=BB6_16878 Depth=2
	s_delay_alu instid0(SALU_CYCLE_1)
	s_or_b32 exec_lo, exec_lo, s11
.LBB6_16946:                            ;   in Loop: Header=BB6_16878 Depth=2
	s_delay_alu instid0(SALU_CYCLE_1) | instskip(NEXT) | instid1(VALU_DEP_1)
	s_or_b32 exec_lo, exec_lo, s10
	v_mul_f32_e32 v9, s25, v8
                                        ; implicit-def: $vgpr7
	s_mov_b32 s10, exec_lo
	s_delay_alu instid0(VALU_DEP_1) | instskip(SKIP_1) | instid1(VALU_DEP_2)
	v_and_b32_e32 v54, 0x7f800000, v9
	v_lshrrev_b32_e32 v8, 24, v9
	v_cmpx_ne_u64_e32 0x7f800000, v[54:55]
	s_xor_b32 s11, exec_lo, s10
	s_cbranch_execz .LBB6_16964
; %bb.16947:                            ;   in Loop: Header=BB6_16878 Depth=2
	v_and_b32_e32 v54, 0x7fffffff, v9
	v_and_b32_e32 v8, 0x80, v8
                                        ; implicit-def: $vgpr7
	s_mov_b32 s10, exec_lo
	s_delay_alu instid0(VALU_DEP_2)
	v_cmpx_gt_u64_e32 0x43e00001, v[54:55]
	s_xor_b32 s26, exec_lo, s10
	s_cbranch_execz .LBB6_16961
; %bb.16948:                            ;   in Loop: Header=BB6_16878 Depth=2
	v_mov_b32_e32 v7, 0
	s_mov_b32 s27, exec_lo
	v_cmpx_ne_u32_e32 0, v9
	s_cbranch_execz .LBB6_16960
; %bb.16949:                            ;   in Loop: Header=BB6_16878 Depth=2
	v_bfe_u32 v7, v9, 23, 8
	v_and_b32_e32 v9, 0x7fffff, v9
	s_delay_alu instid0(VALU_DEP_2) | instskip(SKIP_1) | instid1(VALU_DEP_3)
	v_sub_nc_u32_e32 v14, 0x79, v7
	v_cmp_gt_u32_e32 vcc_lo, 0x7a, v7
	v_or_b32_e32 v16, 0x800000, v9
	s_delay_alu instid0(VALU_DEP_3) | instskip(SKIP_1) | instid1(VALU_DEP_3)
	v_cndmask_b32_e32 v14, 0, v14, vcc_lo
	v_cmp_eq_u32_e32 vcc_lo, 0, v7
	v_cndmask_b32_e32 v54, v16, v9, vcc_lo
	s_delay_alu instid0(VALU_DEP_3) | instskip(NEXT) | instid1(VALU_DEP_1)
	v_cndmask_b32_e64 v18, v14, 0x78, vcc_lo
	v_dual_add_nc_u32 v14, 20, v18 :: v_dual_add_nc_u32 v17, 19, v18
	s_delay_alu instid0(VALU_DEP_1) | instskip(NEXT) | instid1(VALU_DEP_2)
	v_lshlrev_b64_e64 v[14:15], v14, -1
	v_lshlrev_b64_e64 v[16:17], v17, 1
	s_delay_alu instid0(VALU_DEP_2) | instskip(NEXT) | instid1(VALU_DEP_3)
	v_bfi_b32 v21, v15, 0, 0
	v_bfi_b32 v20, v14, 0, v54
	v_lshrrev_b64 v[14:15], v18, v[54:55]
	s_delay_alu instid0(VALU_DEP_2) | instskip(NEXT) | instid1(VALU_DEP_2)
	v_cmp_eq_u64_e64 s10, v[20:21], v[16:17]
	v_mov_b64_e32 v[16:17], v[14:15]
	s_and_saveexec_b32 s28, s10
; %bb.16950:                            ;   in Loop: Header=BB6_16878 Depth=2
	v_bfe_u32 v54, v14, 20, 1
	s_delay_alu instid0(VALU_DEP_1) | instskip(NEXT) | instid1(VALU_DEP_1)
	v_add_nc_u64_e32 v[16:17], v[14:15], v[54:55]
	v_add_nc_u64_e32 v[16:17], -1, v[16:17]
; %bb.16951:                            ;   in Loop: Header=BB6_16878 Depth=2
	s_or_b32 exec_lo, exec_lo, s28
	v_add_nc_u32_e32 v7, 0xffffff81, v7
	v_lshrrev_b32_e32 v9, 23, v14
	s_mov_b32 s10, exec_lo
	s_delay_alu instid0(VALU_DEP_2) | instskip(NEXT) | instid1(VALU_DEP_1)
	v_cndmask_b32_e64 v7, v7, 0xffffff82, vcc_lo
	v_add3_u32 v7, v18, v7, v9
	v_and_b32_e32 v9, 0xfffff, v16
	s_delay_alu instid0(VALU_DEP_1) | instskip(NEXT) | instid1(VALU_DEP_1)
	v_dual_add_nc_u32 v16, 6, v7 :: v_dual_add_nc_u32 v54, v9, v14
                                        ; implicit-def: $vgpr14_vgpr15
                                        ; implicit-def: $vgpr9
	v_cmpx_ne_u32_e32 0, v16
	s_xor_b32 s10, exec_lo, s10
; %bb.16952:                            ;   in Loop: Header=BB6_16878 Depth=2
	s_delay_alu instid0(VALU_DEP_2) | instskip(SKIP_1) | instid1(VALU_DEP_1)
	v_cmp_lt_u64_e32 vcc_lo, 0xffffff, v[54:55]
	v_add_nc_u32_e32 v7, 7, v7
	v_cndmask_b32_e32 v9, v16, v7, vcc_lo
	v_cndmask_b32_e64 v7, 0, 1, vcc_lo
	s_delay_alu instid0(VALU_DEP_1)
	v_lshrrev_b64 v[14:15], v7, v[54:55]
; %bb.16953:                            ;   in Loop: Header=BB6_16878 Depth=2
	s_and_not1_saveexec_b32 s10, s10
; %bb.16954:                            ;   in Loop: Header=BB6_16878 Depth=2
	v_mov_b64_e32 v[14:15], v[54:55]
	v_bfe_u32 v9, v54, 23, 1
; %bb.16955:                            ;   in Loop: Header=BB6_16878 Depth=2
	s_or_b32 exec_lo, exec_lo, s10
	s_delay_alu instid0(VALU_DEP_2) | instskip(NEXT) | instid1(VALU_DEP_2)
	v_lshrrev_b64 v[14:15], 20, v[14:15]
	v_cmp_gt_i32_e32 vcc_lo, 16, v9
	v_cmp_ne_u32_e64 s10, 0, v9
                                        ; implicit-def: $vgpr7
	s_delay_alu instid0(VALU_DEP_3) | instskip(NEXT) | instid1(VALU_DEP_1)
	v_dual_cndmask_b32 v15, 0, v15 :: v_dual_cndmask_b32 v14, 7, v14
	v_cmp_ne_u64_e32 vcc_lo, 0, v[14:15]
	s_or_b32 s10, s10, vcc_lo
	s_delay_alu instid0(SALU_CYCLE_1) | instskip(NEXT) | instid1(SALU_CYCLE_1)
	s_and_saveexec_b32 s28, s10
	s_xor_b32 s10, exec_lo, s28
; %bb.16956:                            ;   in Loop: Header=BB6_16878 Depth=2
	v_min_i32_e32 v7, 15, v9
	s_delay_alu instid0(VALU_DEP_1) | instskip(NEXT) | instid1(VALU_DEP_1)
	v_lshl_or_b32 v7, v7, 3, v8
                                        ; implicit-def: $vgpr8
	v_and_or_b32 v7, v14, 7, v7
; %bb.16957:                            ;   in Loop: Header=BB6_16878 Depth=2
	s_and_not1_saveexec_b32 s10, s10
; %bb.16958:                            ;   in Loop: Header=BB6_16878 Depth=2
	v_mov_b32_e32 v7, v8
; %bb.16959:                            ;   in Loop: Header=BB6_16878 Depth=2
	s_or_b32 exec_lo, exec_lo, s10
.LBB6_16960:                            ;   in Loop: Header=BB6_16878 Depth=2
	s_delay_alu instid0(SALU_CYCLE_1)
	s_or_b32 exec_lo, exec_lo, s27
                                        ; implicit-def: $vgpr8
.LBB6_16961:                            ;   in Loop: Header=BB6_16878 Depth=2
	s_and_not1_saveexec_b32 s10, s26
; %bb.16962:                            ;   in Loop: Header=BB6_16878 Depth=2
	v_or_b32_e32 v7, 0x7e, v8
; %bb.16963:                            ;   in Loop: Header=BB6_16878 Depth=2
	s_or_b32 exec_lo, exec_lo, s10
                                        ; implicit-def: $vgpr8
.LBB6_16964:                            ;   in Loop: Header=BB6_16878 Depth=2
	s_and_not1_saveexec_b32 s10, s11
; %bb.16965:                            ;   in Loop: Header=BB6_16878 Depth=2
	v_or_b32_e32 v7, 0x7f, v8
; %bb.16966:                            ;   in Loop: Header=BB6_16878 Depth=2
	s_or_b32 exec_lo, exec_lo, s10
	flat_load_u8 v8, v[12:13] offset:96 th:TH_LOAD_NT
	v_mov_b32_e32 v9, 0
	s_mov_b32 s10, exec_lo
	s_wait_loadcnt_dscnt 0x0
	s_wait_xcnt 0x0
	v_cmpx_ne_u16_e32 0, v8
	s_cbranch_execz .LBB6_16974
; %bb.16967:                            ;   in Loop: Header=BB6_16878 Depth=2
	v_bfrev_b32_e32 v9, 1
	s_mov_b32 s11, exec_lo
	v_cmpx_ne_u16_e32 0x80, v8
	s_cbranch_execz .LBB6_16973
; %bb.16968:                            ;   in Loop: Header=BB6_16878 Depth=2
	v_and_b32_e32 v15, 0xffff, v8
	v_mov_b32_e32 v9, 0x7f800001
	s_mov_b32 s26, exec_lo
	s_delay_alu instid0(VALU_DEP_2) | instskip(NEXT) | instid1(VALU_DEP_1)
	v_and_b32_e32 v14, 0x7f, v15
	v_cmpx_ne_u32_e32 0x7f, v14
	s_cbranch_execz .LBB6_16972
; %bb.16969:                            ;   in Loop: Header=BB6_16878 Depth=2
	v_dual_lshrrev_b32 v9, 3, v14 :: v_dual_bitop2_b32 v54, 7, v15 bitop3:0x40
	s_mov_b32 s27, exec_lo
	v_cmpx_gt_u32_e32 8, v14
; %bb.16970:                            ;   in Loop: Header=BB6_16878 Depth=2
	s_delay_alu instid0(VALU_DEP_2) | instskip(NEXT) | instid1(VALU_DEP_1)
	v_clz_i32_u32_e32 v9, v54
	v_min_u32_e32 v9, 32, v9
	s_delay_alu instid0(VALU_DEP_1) | instskip(NEXT) | instid1(VALU_DEP_1)
	v_subrev_nc_u32_e32 v14, 28, v9
	v_lshlrev_b64_e32 v[14:15], v14, v[54:55]
	s_delay_alu instid0(VALU_DEP_1)
	v_dual_sub_nc_u32 v9, 29, v9 :: v_dual_bitop2_b32 v54, 7, v14 bitop3:0x40
; %bb.16971:                            ;   in Loop: Header=BB6_16878 Depth=2
	s_or_b32 exec_lo, exec_lo, s27
	s_delay_alu instid0(VALU_DEP_1) | instskip(NEXT) | instid1(VALU_DEP_2)
	v_dual_lshlrev_b32 v8, 24, v8 :: v_dual_lshlrev_b32 v14, 20, v54
	v_lshl_add_u32 v9, v9, 23, 0x3c000000
	s_delay_alu instid0(VALU_DEP_2) | instskip(NEXT) | instid1(VALU_DEP_1)
	v_and_b32_e32 v8, 0x80000000, v8
	v_or3_b32 v9, v14, v8, v9
.LBB6_16972:                            ;   in Loop: Header=BB6_16878 Depth=2
	s_or_b32 exec_lo, exec_lo, s26
.LBB6_16973:                            ;   in Loop: Header=BB6_16878 Depth=2
	s_delay_alu instid0(SALU_CYCLE_1)
	s_or_b32 exec_lo, exec_lo, s11
.LBB6_16974:                            ;   in Loop: Header=BB6_16878 Depth=2
	s_delay_alu instid0(SALU_CYCLE_1) | instskip(NEXT) | instid1(VALU_DEP_1)
	s_or_b32 exec_lo, exec_lo, s10
	v_mul_f32_e32 v14, s25, v9
                                        ; implicit-def: $vgpr8
	s_mov_b32 s10, exec_lo
	s_delay_alu instid0(VALU_DEP_1) | instskip(SKIP_1) | instid1(VALU_DEP_2)
	v_and_b32_e32 v54, 0x7f800000, v14
	v_lshrrev_b32_e32 v9, 24, v14
	v_cmpx_ne_u64_e32 0x7f800000, v[54:55]
	s_xor_b32 s11, exec_lo, s10
	s_cbranch_execz .LBB6_16992
; %bb.16975:                            ;   in Loop: Header=BB6_16878 Depth=2
	v_and_b32_e32 v54, 0x7fffffff, v14
	v_and_b32_e32 v9, 0x80, v9
                                        ; implicit-def: $vgpr8
	s_mov_b32 s10, exec_lo
	s_delay_alu instid0(VALU_DEP_2)
	v_cmpx_gt_u64_e32 0x43e00001, v[54:55]
	s_xor_b32 s26, exec_lo, s10
	s_cbranch_execz .LBB6_16989
; %bb.16976:                            ;   in Loop: Header=BB6_16878 Depth=2
	v_mov_b32_e32 v8, 0
	s_mov_b32 s27, exec_lo
	v_cmpx_ne_u32_e32 0, v14
	s_cbranch_execz .LBB6_16988
; %bb.16977:                            ;   in Loop: Header=BB6_16878 Depth=2
	v_bfe_u32 v8, v14, 23, 8
	v_and_b32_e32 v16, 0x7fffff, v14
	s_delay_alu instid0(VALU_DEP_2) | instskip(SKIP_1) | instid1(VALU_DEP_3)
	v_sub_nc_u32_e32 v15, 0x79, v8
	v_cmp_gt_u32_e32 vcc_lo, 0x7a, v8
	v_or_b32_e32 v17, 0x800000, v16
	s_delay_alu instid0(VALU_DEP_3) | instskip(SKIP_1) | instid1(VALU_DEP_2)
	v_cndmask_b32_e32 v15, 0, v15, vcc_lo
	v_cmp_eq_u32_e32 vcc_lo, 0, v8
	v_cndmask_b32_e64 v18, v15, 0x78, vcc_lo
	s_delay_alu instid0(VALU_DEP_1) | instskip(SKIP_1) | instid1(VALU_DEP_2)
	v_dual_cndmask_b32 v54, v17, v16 :: v_dual_add_nc_u32 v19, 19, v18
	v_add_nc_u32_e32 v14, 20, v18
	v_lshlrev_b64_e64 v[16:17], v19, 1
	s_delay_alu instid0(VALU_DEP_2) | instskip(NEXT) | instid1(VALU_DEP_1)
	v_lshlrev_b64_e64 v[14:15], v14, -1
	v_bfi_b32 v21, v15, 0, 0
	s_delay_alu instid0(VALU_DEP_2) | instskip(SKIP_1) | instid1(VALU_DEP_2)
	v_bfi_b32 v20, v14, 0, v54
	v_lshrrev_b64 v[14:15], v18, v[54:55]
	v_cmp_eq_u64_e64 s10, v[20:21], v[16:17]
	s_delay_alu instid0(VALU_DEP_2)
	v_mov_b64_e32 v[16:17], v[14:15]
	s_and_saveexec_b32 s28, s10
; %bb.16978:                            ;   in Loop: Header=BB6_16878 Depth=2
	v_bfe_u32 v54, v14, 20, 1
	s_delay_alu instid0(VALU_DEP_1) | instskip(NEXT) | instid1(VALU_DEP_1)
	v_add_nc_u64_e32 v[16:17], v[14:15], v[54:55]
	v_add_nc_u64_e32 v[16:17], -1, v[16:17]
; %bb.16979:                            ;   in Loop: Header=BB6_16878 Depth=2
	s_or_b32 exec_lo, exec_lo, s28
	v_add_nc_u32_e32 v8, 0xffffff81, v8
	v_lshrrev_b32_e32 v15, 23, v14
	s_mov_b32 s10, exec_lo
	s_delay_alu instid0(VALU_DEP_2) | instskip(NEXT) | instid1(VALU_DEP_1)
	v_cndmask_b32_e64 v8, v8, 0xffffff82, vcc_lo
	v_add3_u32 v8, v18, v8, v15
	v_and_b32_e32 v15, 0xfffff, v16
                                        ; implicit-def: $vgpr16
	s_delay_alu instid0(VALU_DEP_1) | instskip(NEXT) | instid1(VALU_DEP_1)
	v_dual_add_nc_u32 v17, 6, v8 :: v_dual_add_nc_u32 v54, v15, v14
                                        ; implicit-def: $vgpr14_vgpr15
	v_cmpx_ne_u32_e32 0, v17
	s_xor_b32 s10, exec_lo, s10
; %bb.16980:                            ;   in Loop: Header=BB6_16878 Depth=2
	s_delay_alu instid0(VALU_DEP_2) | instskip(SKIP_1) | instid1(VALU_DEP_1)
	v_cmp_lt_u64_e32 vcc_lo, 0xffffff, v[54:55]
	v_add_nc_u32_e32 v8, 7, v8
	v_cndmask_b32_e32 v16, v17, v8, vcc_lo
	v_cndmask_b32_e64 v8, 0, 1, vcc_lo
	s_delay_alu instid0(VALU_DEP_1)
	v_lshrrev_b64 v[14:15], v8, v[54:55]
; %bb.16981:                            ;   in Loop: Header=BB6_16878 Depth=2
	s_and_not1_saveexec_b32 s10, s10
; %bb.16982:                            ;   in Loop: Header=BB6_16878 Depth=2
	v_mov_b64_e32 v[14:15], v[54:55]
	v_bfe_u32 v16, v54, 23, 1
; %bb.16983:                            ;   in Loop: Header=BB6_16878 Depth=2
	s_or_b32 exec_lo, exec_lo, s10
	s_delay_alu instid0(VALU_DEP_2) | instskip(NEXT) | instid1(VALU_DEP_2)
	v_lshrrev_b64 v[14:15], 20, v[14:15]
	v_cmp_gt_i32_e32 vcc_lo, 16, v16
	v_cmp_ne_u32_e64 s10, 0, v16
                                        ; implicit-def: $vgpr8
	s_delay_alu instid0(VALU_DEP_3) | instskip(NEXT) | instid1(VALU_DEP_1)
	v_dual_cndmask_b32 v15, 0, v15 :: v_dual_cndmask_b32 v14, 7, v14
	v_cmp_ne_u64_e32 vcc_lo, 0, v[14:15]
	s_or_b32 s10, s10, vcc_lo
	s_delay_alu instid0(SALU_CYCLE_1) | instskip(NEXT) | instid1(SALU_CYCLE_1)
	s_and_saveexec_b32 s28, s10
	s_xor_b32 s10, exec_lo, s28
; %bb.16984:                            ;   in Loop: Header=BB6_16878 Depth=2
	v_min_i32_e32 v8, 15, v16
	s_delay_alu instid0(VALU_DEP_1) | instskip(NEXT) | instid1(VALU_DEP_1)
	v_lshl_or_b32 v8, v8, 3, v9
                                        ; implicit-def: $vgpr9
	v_and_or_b32 v8, v14, 7, v8
; %bb.16985:                            ;   in Loop: Header=BB6_16878 Depth=2
	s_and_not1_saveexec_b32 s10, s10
; %bb.16986:                            ;   in Loop: Header=BB6_16878 Depth=2
	v_mov_b32_e32 v8, v9
; %bb.16987:                            ;   in Loop: Header=BB6_16878 Depth=2
	s_or_b32 exec_lo, exec_lo, s10
.LBB6_16988:                            ;   in Loop: Header=BB6_16878 Depth=2
	s_delay_alu instid0(SALU_CYCLE_1)
	s_or_b32 exec_lo, exec_lo, s27
                                        ; implicit-def: $vgpr9
.LBB6_16989:                            ;   in Loop: Header=BB6_16878 Depth=2
	s_and_not1_saveexec_b32 s10, s26
; %bb.16990:                            ;   in Loop: Header=BB6_16878 Depth=2
	v_or_b32_e32 v8, 0x7e, v9
; %bb.16991:                            ;   in Loop: Header=BB6_16878 Depth=2
	s_or_b32 exec_lo, exec_lo, s10
                                        ; implicit-def: $vgpr9
.LBB6_16992:                            ;   in Loop: Header=BB6_16878 Depth=2
	s_and_not1_saveexec_b32 s10, s11
; %bb.16993:                            ;   in Loop: Header=BB6_16878 Depth=2
	v_or_b32_e32 v8, 0x7f, v9
; %bb.16994:                            ;   in Loop: Header=BB6_16878 Depth=2
	s_or_b32 exec_lo, exec_lo, s10
	flat_load_u8 v9, v[12:13] offset:128 th:TH_LOAD_NT
	v_mov_b32_e32 v14, 0
	s_mov_b32 s10, exec_lo
	s_wait_loadcnt_dscnt 0x0
	s_wait_xcnt 0x0
	v_cmpx_ne_u16_e32 0, v9
	s_cbranch_execz .LBB6_17002
; %bb.16995:                            ;   in Loop: Header=BB6_16878 Depth=2
	v_bfrev_b32_e32 v14, 1
	s_mov_b32 s11, exec_lo
	v_cmpx_ne_u16_e32 0x80, v9
	s_cbranch_execz .LBB6_17001
; %bb.16996:                            ;   in Loop: Header=BB6_16878 Depth=2
	v_and_b32_e32 v16, 0xffff, v9
	v_mov_b32_e32 v14, 0x7f800001
	s_mov_b32 s26, exec_lo
	s_delay_alu instid0(VALU_DEP_2) | instskip(NEXT) | instid1(VALU_DEP_1)
	v_and_b32_e32 v15, 0x7f, v16
	v_cmpx_ne_u32_e32 0x7f, v15
	s_cbranch_execz .LBB6_17000
; %bb.16997:                            ;   in Loop: Header=BB6_16878 Depth=2
	v_dual_lshrrev_b32 v14, 3, v15 :: v_dual_bitop2_b32 v54, 7, v16 bitop3:0x40
	s_mov_b32 s27, exec_lo
	v_cmpx_gt_u32_e32 8, v15
; %bb.16998:                            ;   in Loop: Header=BB6_16878 Depth=2
	s_delay_alu instid0(VALU_DEP_2) | instskip(NEXT) | instid1(VALU_DEP_1)
	v_clz_i32_u32_e32 v14, v54
	v_min_u32_e32 v14, 32, v14
	s_delay_alu instid0(VALU_DEP_1) | instskip(NEXT) | instid1(VALU_DEP_1)
	v_subrev_nc_u32_e32 v15, 28, v14
	v_lshlrev_b64_e32 v[16:17], v15, v[54:55]
	s_delay_alu instid0(VALU_DEP_1)
	v_dual_sub_nc_u32 v14, 29, v14 :: v_dual_bitop2_b32 v54, 7, v16 bitop3:0x40
; %bb.16999:                            ;   in Loop: Header=BB6_16878 Depth=2
	s_or_b32 exec_lo, exec_lo, s27
	s_delay_alu instid0(VALU_DEP_1) | instskip(NEXT) | instid1(VALU_DEP_2)
	v_dual_lshlrev_b32 v9, 24, v9 :: v_dual_lshlrev_b32 v15, 20, v54
	v_lshl_add_u32 v14, v14, 23, 0x3c000000
	s_delay_alu instid0(VALU_DEP_2) | instskip(NEXT) | instid1(VALU_DEP_1)
	v_and_b32_e32 v9, 0x80000000, v9
	v_or3_b32 v14, v15, v9, v14
.LBB6_17000:                            ;   in Loop: Header=BB6_16878 Depth=2
	s_or_b32 exec_lo, exec_lo, s26
.LBB6_17001:                            ;   in Loop: Header=BB6_16878 Depth=2
	s_delay_alu instid0(SALU_CYCLE_1)
	s_or_b32 exec_lo, exec_lo, s11
.LBB6_17002:                            ;   in Loop: Header=BB6_16878 Depth=2
	s_delay_alu instid0(SALU_CYCLE_1) | instskip(NEXT) | instid1(VALU_DEP_1)
	s_or_b32 exec_lo, exec_lo, s10
	v_mul_f32_e32 v14, s25, v14
                                        ; implicit-def: $vgpr9
	s_mov_b32 s10, exec_lo
	s_delay_alu instid0(VALU_DEP_1) | instskip(SKIP_1) | instid1(VALU_DEP_2)
	v_and_b32_e32 v54, 0x7f800000, v14
	v_lshrrev_b32_e32 v15, 24, v14
	v_cmpx_ne_u64_e32 0x7f800000, v[54:55]
	s_xor_b32 s11, exec_lo, s10
	s_cbranch_execz .LBB6_17020
; %bb.17003:                            ;   in Loop: Header=BB6_16878 Depth=2
	v_and_b32_e32 v54, 0x7fffffff, v14
	v_and_b32_e32 v18, 0x80, v15
                                        ; implicit-def: $vgpr9
	s_mov_b32 s10, exec_lo
	s_delay_alu instid0(VALU_DEP_2)
	v_cmpx_gt_u64_e32 0x43e00001, v[54:55]
	s_xor_b32 s26, exec_lo, s10
	s_cbranch_execz .LBB6_17017
; %bb.17004:                            ;   in Loop: Header=BB6_16878 Depth=2
	v_mov_b32_e32 v9, 0
	s_mov_b32 s27, exec_lo
	v_cmpx_ne_u32_e32 0, v14
	s_cbranch_execz .LBB6_17016
; %bb.17005:                            ;   in Loop: Header=BB6_16878 Depth=2
	v_bfe_u32 v9, v14, 23, 8
	v_and_b32_e32 v16, 0x7fffff, v14
	s_delay_alu instid0(VALU_DEP_2) | instskip(NEXT) | instid1(VALU_DEP_2)
	v_cmp_gt_u32_e32 vcc_lo, 0x7a, v9
	v_or_b32_e32 v17, 0x800000, v16
	v_sub_nc_u32_e32 v15, 0x79, v9
	s_delay_alu instid0(VALU_DEP_1) | instskip(SKIP_1) | instid1(VALU_DEP_2)
	v_cndmask_b32_e32 v15, 0, v15, vcc_lo
	v_cmp_eq_u32_e32 vcc_lo, 0, v9
	v_cndmask_b32_e64 v19, v15, 0x78, vcc_lo
	s_delay_alu instid0(VALU_DEP_1) | instskip(SKIP_1) | instid1(VALU_DEP_2)
	v_dual_cndmask_b32 v54, v17, v16, vcc_lo :: v_dual_add_nc_u32 v14, 20, v19
	v_add_nc_u32_e32 v20, 19, v19
	v_lshlrev_b64_e64 v[14:15], v14, -1
	s_delay_alu instid0(VALU_DEP_2) | instskip(NEXT) | instid1(VALU_DEP_2)
	v_lshlrev_b64_e64 v[16:17], v20, 1
	v_bfi_b32 v21, v15, 0, 0
	s_delay_alu instid0(VALU_DEP_3) | instskip(SKIP_1) | instid1(VALU_DEP_2)
	v_bfi_b32 v20, v14, 0, v54
	v_lshrrev_b64 v[14:15], v19, v[54:55]
	v_cmp_eq_u64_e64 s10, v[20:21], v[16:17]
	s_delay_alu instid0(VALU_DEP_2)
	v_mov_b64_e32 v[16:17], v[14:15]
	s_and_saveexec_b32 s28, s10
; %bb.17006:                            ;   in Loop: Header=BB6_16878 Depth=2
	v_bfe_u32 v54, v14, 20, 1
	s_delay_alu instid0(VALU_DEP_1) | instskip(NEXT) | instid1(VALU_DEP_1)
	v_add_nc_u64_e32 v[16:17], v[14:15], v[54:55]
	v_add_nc_u64_e32 v[16:17], -1, v[16:17]
; %bb.17007:                            ;   in Loop: Header=BB6_16878 Depth=2
	s_or_b32 exec_lo, exec_lo, s28
	v_add_nc_u32_e32 v9, 0xffffff81, v9
	v_lshrrev_b32_e32 v15, 23, v14
	s_mov_b32 s10, exec_lo
	s_delay_alu instid0(VALU_DEP_2) | instskip(NEXT) | instid1(VALU_DEP_1)
	v_cndmask_b32_e64 v9, v9, 0xffffff82, vcc_lo
	v_add3_u32 v9, v19, v9, v15
	v_and_b32_e32 v15, 0xfffff, v16
                                        ; implicit-def: $vgpr16
	s_delay_alu instid0(VALU_DEP_1) | instskip(NEXT) | instid1(VALU_DEP_1)
	v_dual_add_nc_u32 v17, 6, v9 :: v_dual_add_nc_u32 v54, v15, v14
                                        ; implicit-def: $vgpr14_vgpr15
	v_cmpx_ne_u32_e32 0, v17
	s_xor_b32 s10, exec_lo, s10
; %bb.17008:                            ;   in Loop: Header=BB6_16878 Depth=2
	s_delay_alu instid0(VALU_DEP_2) | instskip(SKIP_1) | instid1(VALU_DEP_1)
	v_cmp_lt_u64_e32 vcc_lo, 0xffffff, v[54:55]
	v_add_nc_u32_e32 v9, 7, v9
	v_cndmask_b32_e32 v16, v17, v9, vcc_lo
	v_cndmask_b32_e64 v9, 0, 1, vcc_lo
	s_delay_alu instid0(VALU_DEP_1)
	v_lshrrev_b64 v[14:15], v9, v[54:55]
; %bb.17009:                            ;   in Loop: Header=BB6_16878 Depth=2
	s_and_not1_saveexec_b32 s10, s10
; %bb.17010:                            ;   in Loop: Header=BB6_16878 Depth=2
	v_mov_b64_e32 v[14:15], v[54:55]
	v_bfe_u32 v16, v54, 23, 1
; %bb.17011:                            ;   in Loop: Header=BB6_16878 Depth=2
	s_or_b32 exec_lo, exec_lo, s10
	s_delay_alu instid0(VALU_DEP_2) | instskip(NEXT) | instid1(VALU_DEP_2)
	v_lshrrev_b64 v[14:15], 20, v[14:15]
	v_cmp_gt_i32_e32 vcc_lo, 16, v16
	v_cmp_ne_u32_e64 s10, 0, v16
                                        ; implicit-def: $vgpr9
	s_delay_alu instid0(VALU_DEP_3) | instskip(NEXT) | instid1(VALU_DEP_1)
	v_dual_cndmask_b32 v15, 0, v15 :: v_dual_cndmask_b32 v14, 7, v14
	v_cmp_ne_u64_e32 vcc_lo, 0, v[14:15]
	s_or_b32 s10, s10, vcc_lo
	s_delay_alu instid0(SALU_CYCLE_1) | instskip(NEXT) | instid1(SALU_CYCLE_1)
	s_and_saveexec_b32 s28, s10
	s_xor_b32 s10, exec_lo, s28
; %bb.17012:                            ;   in Loop: Header=BB6_16878 Depth=2
	v_min_i32_e32 v9, 15, v16
	s_delay_alu instid0(VALU_DEP_1) | instskip(NEXT) | instid1(VALU_DEP_1)
	v_lshl_or_b32 v9, v9, 3, v18
                                        ; implicit-def: $vgpr18
	v_and_or_b32 v9, v14, 7, v9
; %bb.17013:                            ;   in Loop: Header=BB6_16878 Depth=2
	s_and_not1_saveexec_b32 s10, s10
; %bb.17014:                            ;   in Loop: Header=BB6_16878 Depth=2
	v_mov_b32_e32 v9, v18
; %bb.17015:                            ;   in Loop: Header=BB6_16878 Depth=2
	s_or_b32 exec_lo, exec_lo, s10
.LBB6_17016:                            ;   in Loop: Header=BB6_16878 Depth=2
	s_delay_alu instid0(SALU_CYCLE_1)
	s_or_b32 exec_lo, exec_lo, s27
                                        ; implicit-def: $vgpr18
.LBB6_17017:                            ;   in Loop: Header=BB6_16878 Depth=2
	s_and_not1_saveexec_b32 s10, s26
; %bb.17018:                            ;   in Loop: Header=BB6_16878 Depth=2
	v_or_b32_e32 v9, 0x7e, v18
; %bb.17019:                            ;   in Loop: Header=BB6_16878 Depth=2
	s_or_b32 exec_lo, exec_lo, s10
                                        ; implicit-def: $vgpr15
.LBB6_17020:                            ;   in Loop: Header=BB6_16878 Depth=2
	s_and_not1_saveexec_b32 s10, s11
; %bb.17021:                            ;   in Loop: Header=BB6_16878 Depth=2
	v_or_b32_e32 v9, 0x7f, v15
; %bb.17022:                            ;   in Loop: Header=BB6_16878 Depth=2
	s_or_b32 exec_lo, exec_lo, s10
	flat_load_u8 v14, v[12:13] offset:160 th:TH_LOAD_NT
	v_mov_b32_e32 v15, 0
	s_mov_b32 s10, exec_lo
	s_wait_loadcnt_dscnt 0x0
	s_wait_xcnt 0x0
	v_cmpx_ne_u16_e32 0, v14
	s_cbranch_execz .LBB6_17030
; %bb.17023:                            ;   in Loop: Header=BB6_16878 Depth=2
	v_bfrev_b32_e32 v15, 1
	s_mov_b32 s11, exec_lo
	v_cmpx_ne_u16_e32 0x80, v14
	s_cbranch_execz .LBB6_17029
; %bb.17024:                            ;   in Loop: Header=BB6_16878 Depth=2
	v_and_b32_e32 v17, 0xffff, v14
	v_mov_b32_e32 v15, 0x7f800001
	s_mov_b32 s26, exec_lo
	s_delay_alu instid0(VALU_DEP_2) | instskip(NEXT) | instid1(VALU_DEP_1)
	v_and_b32_e32 v16, 0x7f, v17
	v_cmpx_ne_u32_e32 0x7f, v16
	s_cbranch_execz .LBB6_17028
; %bb.17025:                            ;   in Loop: Header=BB6_16878 Depth=2
	v_dual_lshrrev_b32 v15, 3, v16 :: v_dual_bitop2_b32 v54, 7, v17 bitop3:0x40
	s_mov_b32 s27, exec_lo
	v_cmpx_gt_u32_e32 8, v16
; %bb.17026:                            ;   in Loop: Header=BB6_16878 Depth=2
	s_delay_alu instid0(VALU_DEP_2) | instskip(NEXT) | instid1(VALU_DEP_1)
	v_clz_i32_u32_e32 v15, v54
	v_min_u32_e32 v15, 32, v15
	s_delay_alu instid0(VALU_DEP_1) | instskip(NEXT) | instid1(VALU_DEP_1)
	v_subrev_nc_u32_e32 v16, 28, v15
	v_lshlrev_b64_e32 v[16:17], v16, v[54:55]
	s_delay_alu instid0(VALU_DEP_1)
	v_dual_sub_nc_u32 v15, 29, v15 :: v_dual_bitop2_b32 v54, 7, v16 bitop3:0x40
; %bb.17027:                            ;   in Loop: Header=BB6_16878 Depth=2
	s_or_b32 exec_lo, exec_lo, s27
	v_lshlrev_b32_e32 v14, 24, v14
	s_delay_alu instid0(VALU_DEP_2) | instskip(NEXT) | instid1(VALU_DEP_3)
	v_lshlrev_b32_e32 v16, 20, v54
	v_lshl_add_u32 v15, v15, 23, 0x3c000000
	s_delay_alu instid0(VALU_DEP_3) | instskip(NEXT) | instid1(VALU_DEP_1)
	v_and_b32_e32 v14, 0x80000000, v14
	v_or3_b32 v15, v16, v14, v15
.LBB6_17028:                            ;   in Loop: Header=BB6_16878 Depth=2
	s_or_b32 exec_lo, exec_lo, s26
.LBB6_17029:                            ;   in Loop: Header=BB6_16878 Depth=2
	s_delay_alu instid0(SALU_CYCLE_1)
	s_or_b32 exec_lo, exec_lo, s11
.LBB6_17030:                            ;   in Loop: Header=BB6_16878 Depth=2
	s_delay_alu instid0(SALU_CYCLE_1) | instskip(NEXT) | instid1(VALU_DEP_1)
	s_or_b32 exec_lo, exec_lo, s10
	v_mul_f32_e32 v14, s25, v15
                                        ; implicit-def: $vgpr18
	s_mov_b32 s10, exec_lo
	s_delay_alu instid0(VALU_DEP_1) | instskip(SKIP_1) | instid1(VALU_DEP_2)
	v_and_b32_e32 v54, 0x7f800000, v14
	v_lshrrev_b32_e32 v15, 24, v14
	v_cmpx_ne_u64_e32 0x7f800000, v[54:55]
	s_xor_b32 s11, exec_lo, s10
	s_cbranch_execz .LBB6_17048
; %bb.17031:                            ;   in Loop: Header=BB6_16878 Depth=2
	v_and_b32_e32 v54, 0x7fffffff, v14
	v_and_b32_e32 v19, 0x80, v15
                                        ; implicit-def: $vgpr18
	s_mov_b32 s10, exec_lo
	s_delay_alu instid0(VALU_DEP_2)
	v_cmpx_gt_u64_e32 0x43e00001, v[54:55]
	s_xor_b32 s26, exec_lo, s10
	s_cbranch_execz .LBB6_17045
; %bb.17032:                            ;   in Loop: Header=BB6_16878 Depth=2
	v_mov_b32_e32 v18, 0
	s_mov_b32 s27, exec_lo
	v_cmpx_ne_u32_e32 0, v14
	s_cbranch_execz .LBB6_17044
; %bb.17033:                            ;   in Loop: Header=BB6_16878 Depth=2
	v_bfe_u32 v18, v14, 23, 8
	v_and_b32_e32 v16, 0x7fffff, v14
	s_delay_alu instid0(VALU_DEP_2) | instskip(NEXT) | instid1(VALU_DEP_2)
	v_cmp_gt_u32_e32 vcc_lo, 0x7a, v18
	v_or_b32_e32 v17, 0x800000, v16
	v_sub_nc_u32_e32 v15, 0x79, v18
	s_delay_alu instid0(VALU_DEP_1) | instskip(SKIP_1) | instid1(VALU_DEP_2)
	v_cndmask_b32_e32 v15, 0, v15, vcc_lo
	v_cmp_eq_u32_e32 vcc_lo, 0, v18
	v_cndmask_b32_e64 v20, v15, 0x78, vcc_lo
	v_cndmask_b32_e32 v54, v17, v16, vcc_lo
	s_delay_alu instid0(VALU_DEP_2) | instskip(NEXT) | instid1(VALU_DEP_1)
	v_dual_add_nc_u32 v14, 20, v20 :: v_dual_add_nc_u32 v21, 19, v20
	v_lshlrev_b64_e64 v[14:15], v14, -1
	s_delay_alu instid0(VALU_DEP_2) | instskip(NEXT) | instid1(VALU_DEP_2)
	v_lshlrev_b64_e64 v[16:17], v21, 1
	v_bfi_b32 v23, v15, 0, 0
	s_delay_alu instid0(VALU_DEP_3) | instskip(SKIP_1) | instid1(VALU_DEP_2)
	v_bfi_b32 v22, v14, 0, v54
	v_lshrrev_b64 v[14:15], v20, v[54:55]
	v_cmp_eq_u64_e64 s10, v[22:23], v[16:17]
	s_delay_alu instid0(VALU_DEP_2)
	v_mov_b64_e32 v[16:17], v[14:15]
	s_and_saveexec_b32 s28, s10
; %bb.17034:                            ;   in Loop: Header=BB6_16878 Depth=2
	v_bfe_u32 v54, v14, 20, 1
	s_delay_alu instid0(VALU_DEP_1) | instskip(NEXT) | instid1(VALU_DEP_1)
	v_add_nc_u64_e32 v[16:17], v[14:15], v[54:55]
	v_add_nc_u64_e32 v[16:17], -1, v[16:17]
; %bb.17035:                            ;   in Loop: Header=BB6_16878 Depth=2
	s_or_b32 exec_lo, exec_lo, s28
	v_add_nc_u32_e32 v15, 0xffffff81, v18
	v_lshrrev_b32_e32 v17, 23, v14
	s_mov_b32 s10, exec_lo
	s_delay_alu instid0(VALU_DEP_2) | instskip(NEXT) | instid1(VALU_DEP_1)
	v_cndmask_b32_e64 v15, v15, 0xffffff82, vcc_lo
	v_add3_u32 v17, v20, v15, v17
	v_and_b32_e32 v15, 0xfffff, v16
                                        ; implicit-def: $vgpr16
	s_delay_alu instid0(VALU_DEP_1) | instskip(NEXT) | instid1(VALU_DEP_1)
	v_dual_add_nc_u32 v18, 6, v17 :: v_dual_add_nc_u32 v54, v15, v14
                                        ; implicit-def: $vgpr14_vgpr15
	v_cmpx_ne_u32_e32 0, v18
	s_xor_b32 s10, exec_lo, s10
; %bb.17036:                            ;   in Loop: Header=BB6_16878 Depth=2
	s_delay_alu instid0(VALU_DEP_2) | instskip(SKIP_1) | instid1(VALU_DEP_1)
	v_cmp_lt_u64_e32 vcc_lo, 0xffffff, v[54:55]
	v_add_nc_u32_e32 v14, 7, v17
	v_cndmask_b32_e32 v16, v18, v14, vcc_lo
	v_cndmask_b32_e64 v14, 0, 1, vcc_lo
	s_delay_alu instid0(VALU_DEP_1)
	v_lshrrev_b64 v[14:15], v14, v[54:55]
; %bb.17037:                            ;   in Loop: Header=BB6_16878 Depth=2
	s_and_not1_saveexec_b32 s10, s10
; %bb.17038:                            ;   in Loop: Header=BB6_16878 Depth=2
	v_mov_b64_e32 v[14:15], v[54:55]
	v_bfe_u32 v16, v54, 23, 1
; %bb.17039:                            ;   in Loop: Header=BB6_16878 Depth=2
	s_or_b32 exec_lo, exec_lo, s10
	s_delay_alu instid0(VALU_DEP_2) | instskip(NEXT) | instid1(VALU_DEP_2)
	v_lshrrev_b64 v[14:15], 20, v[14:15]
	v_cmp_gt_i32_e32 vcc_lo, 16, v16
	v_cmp_ne_u32_e64 s10, 0, v16
                                        ; implicit-def: $vgpr18
	s_delay_alu instid0(VALU_DEP_3) | instskip(NEXT) | instid1(VALU_DEP_1)
	v_dual_cndmask_b32 v15, 0, v15 :: v_dual_cndmask_b32 v14, 7, v14
	v_cmp_ne_u64_e32 vcc_lo, 0, v[14:15]
	s_or_b32 s10, s10, vcc_lo
	s_delay_alu instid0(SALU_CYCLE_1) | instskip(NEXT) | instid1(SALU_CYCLE_1)
	s_and_saveexec_b32 s28, s10
	s_xor_b32 s10, exec_lo, s28
; %bb.17040:                            ;   in Loop: Header=BB6_16878 Depth=2
	v_min_i32_e32 v15, 15, v16
	s_delay_alu instid0(VALU_DEP_1) | instskip(NEXT) | instid1(VALU_DEP_1)
	v_lshl_or_b32 v15, v15, 3, v19
                                        ; implicit-def: $vgpr19
	v_and_or_b32 v18, v14, 7, v15
; %bb.17041:                            ;   in Loop: Header=BB6_16878 Depth=2
	s_and_not1_saveexec_b32 s10, s10
; %bb.17042:                            ;   in Loop: Header=BB6_16878 Depth=2
	v_mov_b32_e32 v18, v19
; %bb.17043:                            ;   in Loop: Header=BB6_16878 Depth=2
	s_or_b32 exec_lo, exec_lo, s10
.LBB6_17044:                            ;   in Loop: Header=BB6_16878 Depth=2
	s_delay_alu instid0(SALU_CYCLE_1)
	s_or_b32 exec_lo, exec_lo, s27
                                        ; implicit-def: $vgpr19
.LBB6_17045:                            ;   in Loop: Header=BB6_16878 Depth=2
	s_and_not1_saveexec_b32 s10, s26
; %bb.17046:                            ;   in Loop: Header=BB6_16878 Depth=2
	v_or_b32_e32 v18, 0x7e, v19
; %bb.17047:                            ;   in Loop: Header=BB6_16878 Depth=2
	s_or_b32 exec_lo, exec_lo, s10
                                        ; implicit-def: $vgpr15
.LBB6_17048:                            ;   in Loop: Header=BB6_16878 Depth=2
	s_and_not1_saveexec_b32 s10, s11
; %bb.17049:                            ;   in Loop: Header=BB6_16878 Depth=2
	v_or_b32_e32 v18, 0x7f, v15
; %bb.17050:                            ;   in Loop: Header=BB6_16878 Depth=2
	s_or_b32 exec_lo, exec_lo, s10
	flat_load_u8 v14, v[12:13] offset:192 th:TH_LOAD_NT
	v_mov_b32_e32 v15, 0
	s_mov_b32 s10, exec_lo
	s_wait_loadcnt_dscnt 0x0
	s_wait_xcnt 0x0
	v_cmpx_ne_u16_e32 0, v14
	s_cbranch_execz .LBB6_17058
; %bb.17051:                            ;   in Loop: Header=BB6_16878 Depth=2
	v_bfrev_b32_e32 v15, 1
	s_mov_b32 s11, exec_lo
	v_cmpx_ne_u16_e32 0x80, v14
	s_cbranch_execz .LBB6_17057
; %bb.17052:                            ;   in Loop: Header=BB6_16878 Depth=2
	v_and_b32_e32 v17, 0xffff, v14
	v_mov_b32_e32 v15, 0x7f800001
	s_mov_b32 s26, exec_lo
	s_delay_alu instid0(VALU_DEP_2) | instskip(NEXT) | instid1(VALU_DEP_1)
	v_and_b32_e32 v16, 0x7f, v17
	v_cmpx_ne_u32_e32 0x7f, v16
	s_cbranch_execz .LBB6_17056
; %bb.17053:                            ;   in Loop: Header=BB6_16878 Depth=2
	v_dual_lshrrev_b32 v15, 3, v16 :: v_dual_bitop2_b32 v54, 7, v17 bitop3:0x40
	s_mov_b32 s27, exec_lo
	v_cmpx_gt_u32_e32 8, v16
; %bb.17054:                            ;   in Loop: Header=BB6_16878 Depth=2
	s_delay_alu instid0(VALU_DEP_2) | instskip(NEXT) | instid1(VALU_DEP_1)
	v_clz_i32_u32_e32 v15, v54
	v_min_u32_e32 v15, 32, v15
	s_delay_alu instid0(VALU_DEP_1) | instskip(NEXT) | instid1(VALU_DEP_1)
	v_subrev_nc_u32_e32 v16, 28, v15
	v_lshlrev_b64_e32 v[16:17], v16, v[54:55]
	s_delay_alu instid0(VALU_DEP_1)
	v_dual_sub_nc_u32 v15, 29, v15 :: v_dual_bitop2_b32 v54, 7, v16 bitop3:0x40
; %bb.17055:                            ;   in Loop: Header=BB6_16878 Depth=2
	s_or_b32 exec_lo, exec_lo, s27
	v_lshlrev_b32_e32 v14, 24, v14
	s_delay_alu instid0(VALU_DEP_2) | instskip(NEXT) | instid1(VALU_DEP_3)
	v_lshlrev_b32_e32 v16, 20, v54
	v_lshl_add_u32 v15, v15, 23, 0x3c000000
	s_delay_alu instid0(VALU_DEP_3) | instskip(NEXT) | instid1(VALU_DEP_1)
	v_and_b32_e32 v14, 0x80000000, v14
	v_or3_b32 v15, v16, v14, v15
.LBB6_17056:                            ;   in Loop: Header=BB6_16878 Depth=2
	s_or_b32 exec_lo, exec_lo, s26
.LBB6_17057:                            ;   in Loop: Header=BB6_16878 Depth=2
	s_delay_alu instid0(SALU_CYCLE_1)
	s_or_b32 exec_lo, exec_lo, s11
.LBB6_17058:                            ;   in Loop: Header=BB6_16878 Depth=2
	s_delay_alu instid0(SALU_CYCLE_1) | instskip(NEXT) | instid1(VALU_DEP_1)
	s_or_b32 exec_lo, exec_lo, s10
	v_mul_f32_e32 v14, s25, v15
                                        ; implicit-def: $vgpr19
	s_mov_b32 s10, exec_lo
	s_delay_alu instid0(VALU_DEP_1) | instskip(SKIP_1) | instid1(VALU_DEP_2)
	v_and_b32_e32 v54, 0x7f800000, v14
	v_lshrrev_b32_e32 v15, 24, v14
	v_cmpx_ne_u64_e32 0x7f800000, v[54:55]
	s_xor_b32 s11, exec_lo, s10
	s_cbranch_execz .LBB6_17076
; %bb.17059:                            ;   in Loop: Header=BB6_16878 Depth=2
	v_and_b32_e32 v54, 0x7fffffff, v14
	v_and_b32_e32 v20, 0x80, v15
                                        ; implicit-def: $vgpr19
	s_mov_b32 s10, exec_lo
	s_delay_alu instid0(VALU_DEP_2)
	v_cmpx_gt_u64_e32 0x43e00001, v[54:55]
	s_xor_b32 s26, exec_lo, s10
	s_cbranch_execz .LBB6_17073
; %bb.17060:                            ;   in Loop: Header=BB6_16878 Depth=2
	v_mov_b32_e32 v19, 0
	s_mov_b32 s27, exec_lo
	v_cmpx_ne_u32_e32 0, v14
	s_cbranch_execz .LBB6_17072
; %bb.17061:                            ;   in Loop: Header=BB6_16878 Depth=2
	v_bfe_u32 v19, v14, 23, 8
	v_and_b32_e32 v16, 0x7fffff, v14
	s_delay_alu instid0(VALU_DEP_2) | instskip(NEXT) | instid1(VALU_DEP_2)
	v_cmp_gt_u32_e32 vcc_lo, 0x7a, v19
	v_or_b32_e32 v17, 0x800000, v16
	v_sub_nc_u32_e32 v15, 0x79, v19
	s_delay_alu instid0(VALU_DEP_1) | instskip(SKIP_1) | instid1(VALU_DEP_2)
	v_cndmask_b32_e32 v15, 0, v15, vcc_lo
	v_cmp_eq_u32_e32 vcc_lo, 0, v19
	v_cndmask_b32_e64 v21, v15, 0x78, vcc_lo
	s_delay_alu instid0(VALU_DEP_1) | instskip(SKIP_1) | instid1(VALU_DEP_2)
	v_dual_cndmask_b32 v54, v17, v16, vcc_lo :: v_dual_add_nc_u32 v14, 20, v21
	v_add_nc_u32_e32 v22, 19, v21
	v_lshlrev_b64_e64 v[14:15], v14, -1
	s_delay_alu instid0(VALU_DEP_2) | instskip(NEXT) | instid1(VALU_DEP_2)
	v_lshlrev_b64_e64 v[16:17], v22, 1
	v_bfi_b32 v23, v15, 0, 0
	s_delay_alu instid0(VALU_DEP_3) | instskip(SKIP_1) | instid1(VALU_DEP_2)
	v_bfi_b32 v22, v14, 0, v54
	v_lshrrev_b64 v[14:15], v21, v[54:55]
	v_cmp_eq_u64_e64 s10, v[22:23], v[16:17]
	s_delay_alu instid0(VALU_DEP_2)
	v_mov_b64_e32 v[16:17], v[14:15]
	s_and_saveexec_b32 s28, s10
; %bb.17062:                            ;   in Loop: Header=BB6_16878 Depth=2
	v_bfe_u32 v54, v14, 20, 1
	s_delay_alu instid0(VALU_DEP_1) | instskip(NEXT) | instid1(VALU_DEP_1)
	v_add_nc_u64_e32 v[16:17], v[14:15], v[54:55]
	v_add_nc_u64_e32 v[16:17], -1, v[16:17]
; %bb.17063:                            ;   in Loop: Header=BB6_16878 Depth=2
	s_or_b32 exec_lo, exec_lo, s28
	v_add_nc_u32_e32 v15, 0xffffff81, v19
	v_lshrrev_b32_e32 v17, 23, v14
	s_mov_b32 s10, exec_lo
	s_delay_alu instid0(VALU_DEP_2) | instskip(NEXT) | instid1(VALU_DEP_1)
	v_cndmask_b32_e64 v15, v15, 0xffffff82, vcc_lo
	v_add3_u32 v17, v21, v15, v17
	v_and_b32_e32 v15, 0xfffff, v16
                                        ; implicit-def: $vgpr16
	s_delay_alu instid0(VALU_DEP_1) | instskip(NEXT) | instid1(VALU_DEP_1)
	v_dual_add_nc_u32 v19, 6, v17 :: v_dual_add_nc_u32 v54, v15, v14
                                        ; implicit-def: $vgpr14_vgpr15
	v_cmpx_ne_u32_e32 0, v19
	s_xor_b32 s10, exec_lo, s10
; %bb.17064:                            ;   in Loop: Header=BB6_16878 Depth=2
	s_delay_alu instid0(VALU_DEP_2) | instskip(SKIP_1) | instid1(VALU_DEP_1)
	v_cmp_lt_u64_e32 vcc_lo, 0xffffff, v[54:55]
	v_add_nc_u32_e32 v14, 7, v17
	v_cndmask_b32_e32 v16, v19, v14, vcc_lo
	v_cndmask_b32_e64 v14, 0, 1, vcc_lo
	s_delay_alu instid0(VALU_DEP_1)
	v_lshrrev_b64 v[14:15], v14, v[54:55]
; %bb.17065:                            ;   in Loop: Header=BB6_16878 Depth=2
	s_and_not1_saveexec_b32 s10, s10
; %bb.17066:                            ;   in Loop: Header=BB6_16878 Depth=2
	v_mov_b64_e32 v[14:15], v[54:55]
	v_bfe_u32 v16, v54, 23, 1
; %bb.17067:                            ;   in Loop: Header=BB6_16878 Depth=2
	s_or_b32 exec_lo, exec_lo, s10
	s_delay_alu instid0(VALU_DEP_2) | instskip(NEXT) | instid1(VALU_DEP_2)
	v_lshrrev_b64 v[14:15], 20, v[14:15]
	v_cmp_gt_i32_e32 vcc_lo, 16, v16
	v_cmp_ne_u32_e64 s10, 0, v16
                                        ; implicit-def: $vgpr19
	s_delay_alu instid0(VALU_DEP_3) | instskip(NEXT) | instid1(VALU_DEP_1)
	v_dual_cndmask_b32 v15, 0, v15 :: v_dual_cndmask_b32 v14, 7, v14
	v_cmp_ne_u64_e32 vcc_lo, 0, v[14:15]
	s_or_b32 s10, s10, vcc_lo
	s_delay_alu instid0(SALU_CYCLE_1) | instskip(NEXT) | instid1(SALU_CYCLE_1)
	s_and_saveexec_b32 s28, s10
	s_xor_b32 s10, exec_lo, s28
; %bb.17068:                            ;   in Loop: Header=BB6_16878 Depth=2
	v_min_i32_e32 v15, 15, v16
	s_delay_alu instid0(VALU_DEP_1) | instskip(NEXT) | instid1(VALU_DEP_1)
	v_lshl_or_b32 v15, v15, 3, v20
                                        ; implicit-def: $vgpr20
	v_and_or_b32 v19, v14, 7, v15
; %bb.17069:                            ;   in Loop: Header=BB6_16878 Depth=2
	s_and_not1_saveexec_b32 s10, s10
; %bb.17070:                            ;   in Loop: Header=BB6_16878 Depth=2
	v_mov_b32_e32 v19, v20
; %bb.17071:                            ;   in Loop: Header=BB6_16878 Depth=2
	s_or_b32 exec_lo, exec_lo, s10
.LBB6_17072:                            ;   in Loop: Header=BB6_16878 Depth=2
	s_delay_alu instid0(SALU_CYCLE_1)
	s_or_b32 exec_lo, exec_lo, s27
                                        ; implicit-def: $vgpr20
.LBB6_17073:                            ;   in Loop: Header=BB6_16878 Depth=2
	s_and_not1_saveexec_b32 s10, s26
; %bb.17074:                            ;   in Loop: Header=BB6_16878 Depth=2
	v_or_b32_e32 v19, 0x7e, v20
; %bb.17075:                            ;   in Loop: Header=BB6_16878 Depth=2
	s_or_b32 exec_lo, exec_lo, s10
                                        ; implicit-def: $vgpr15
.LBB6_17076:                            ;   in Loop: Header=BB6_16878 Depth=2
	s_and_not1_saveexec_b32 s10, s11
; %bb.17077:                            ;   in Loop: Header=BB6_16878 Depth=2
	v_or_b32_e32 v19, 0x7f, v15
; %bb.17078:                            ;   in Loop: Header=BB6_16878 Depth=2
	s_or_b32 exec_lo, exec_lo, s10
	flat_load_u8 v14, v[12:13] offset:224 th:TH_LOAD_NT
	v_mov_b32_e32 v15, 0
	s_mov_b32 s10, exec_lo
	s_wait_loadcnt_dscnt 0x0
	s_wait_xcnt 0x0
	v_cmpx_ne_u16_e32 0, v14
	s_cbranch_execz .LBB6_17086
; %bb.17079:                            ;   in Loop: Header=BB6_16878 Depth=2
	v_bfrev_b32_e32 v15, 1
	s_mov_b32 s11, exec_lo
	v_cmpx_ne_u16_e32 0x80, v14
	s_cbranch_execz .LBB6_17085
; %bb.17080:                            ;   in Loop: Header=BB6_16878 Depth=2
	v_and_b32_e32 v17, 0xffff, v14
	v_mov_b32_e32 v15, 0x7f800001
	s_mov_b32 s26, exec_lo
	s_delay_alu instid0(VALU_DEP_2) | instskip(NEXT) | instid1(VALU_DEP_1)
	v_and_b32_e32 v16, 0x7f, v17
	v_cmpx_ne_u32_e32 0x7f, v16
	s_cbranch_execz .LBB6_17084
; %bb.17081:                            ;   in Loop: Header=BB6_16878 Depth=2
	v_dual_lshrrev_b32 v15, 3, v16 :: v_dual_bitop2_b32 v54, 7, v17 bitop3:0x40
	s_mov_b32 s27, exec_lo
	v_cmpx_gt_u32_e32 8, v16
; %bb.17082:                            ;   in Loop: Header=BB6_16878 Depth=2
	s_delay_alu instid0(VALU_DEP_2) | instskip(NEXT) | instid1(VALU_DEP_1)
	v_clz_i32_u32_e32 v15, v54
	v_min_u32_e32 v15, 32, v15
	s_delay_alu instid0(VALU_DEP_1) | instskip(NEXT) | instid1(VALU_DEP_1)
	v_subrev_nc_u32_e32 v16, 28, v15
	v_lshlrev_b64_e32 v[16:17], v16, v[54:55]
	s_delay_alu instid0(VALU_DEP_1)
	v_dual_sub_nc_u32 v15, 29, v15 :: v_dual_bitop2_b32 v54, 7, v16 bitop3:0x40
; %bb.17083:                            ;   in Loop: Header=BB6_16878 Depth=2
	s_or_b32 exec_lo, exec_lo, s27
	v_lshlrev_b32_e32 v14, 24, v14
	s_delay_alu instid0(VALU_DEP_2) | instskip(NEXT) | instid1(VALU_DEP_3)
	v_lshlrev_b32_e32 v16, 20, v54
	v_lshl_add_u32 v15, v15, 23, 0x3c000000
	s_delay_alu instid0(VALU_DEP_3) | instskip(NEXT) | instid1(VALU_DEP_1)
	v_and_b32_e32 v14, 0x80000000, v14
	v_or3_b32 v15, v16, v14, v15
.LBB6_17084:                            ;   in Loop: Header=BB6_16878 Depth=2
	s_or_b32 exec_lo, exec_lo, s26
.LBB6_17085:                            ;   in Loop: Header=BB6_16878 Depth=2
	s_delay_alu instid0(SALU_CYCLE_1)
	s_or_b32 exec_lo, exec_lo, s11
.LBB6_17086:                            ;   in Loop: Header=BB6_16878 Depth=2
	s_delay_alu instid0(SALU_CYCLE_1) | instskip(NEXT) | instid1(VALU_DEP_1)
	s_or_b32 exec_lo, exec_lo, s10
	v_mul_f32_e32 v14, s25, v15
                                        ; implicit-def: $vgpr20
	s_mov_b32 s10, exec_lo
	s_delay_alu instid0(VALU_DEP_1) | instskip(SKIP_1) | instid1(VALU_DEP_2)
	v_and_b32_e32 v54, 0x7f800000, v14
	v_lshrrev_b32_e32 v15, 24, v14
	v_cmpx_ne_u64_e32 0x7f800000, v[54:55]
	s_xor_b32 s11, exec_lo, s10
	s_cbranch_execz .LBB6_17104
; %bb.17087:                            ;   in Loop: Header=BB6_16878 Depth=2
	v_and_b32_e32 v54, 0x7fffffff, v14
	v_and_b32_e32 v21, 0x80, v15
                                        ; implicit-def: $vgpr20
	s_mov_b32 s10, exec_lo
	s_delay_alu instid0(VALU_DEP_2)
	v_cmpx_gt_u64_e32 0x43e00001, v[54:55]
	s_xor_b32 s26, exec_lo, s10
	s_cbranch_execz .LBB6_17101
; %bb.17088:                            ;   in Loop: Header=BB6_16878 Depth=2
	v_mov_b32_e32 v20, 0
	s_mov_b32 s27, exec_lo
	v_cmpx_ne_u32_e32 0, v14
	s_cbranch_execz .LBB6_17100
; %bb.17089:                            ;   in Loop: Header=BB6_16878 Depth=2
	v_bfe_u32 v20, v14, 23, 8
	v_and_b32_e32 v16, 0x7fffff, v14
	s_delay_alu instid0(VALU_DEP_2) | instskip(SKIP_1) | instid1(VALU_DEP_3)
	v_sub_nc_u32_e32 v15, 0x79, v20
	v_cmp_gt_u32_e32 vcc_lo, 0x7a, v20
	v_or_b32_e32 v17, 0x800000, v16
	s_delay_alu instid0(VALU_DEP_3) | instskip(SKIP_1) | instid1(VALU_DEP_2)
	v_cndmask_b32_e32 v15, 0, v15, vcc_lo
	v_cmp_eq_u32_e32 vcc_lo, 0, v20
	v_cndmask_b32_e64 v22, v15, 0x78, vcc_lo
	s_delay_alu instid0(VALU_DEP_1) | instskip(SKIP_1) | instid1(VALU_DEP_2)
	v_dual_cndmask_b32 v54, v17, v16 :: v_dual_add_nc_u32 v23, 19, v22
	v_add_nc_u32_e32 v14, 20, v22
	v_lshlrev_b64_e64 v[16:17], v23, 1
	s_delay_alu instid0(VALU_DEP_2) | instskip(NEXT) | instid1(VALU_DEP_1)
	v_lshlrev_b64_e64 v[14:15], v14, -1
	v_bfi_b32 v25, v15, 0, 0
	s_delay_alu instid0(VALU_DEP_2) | instskip(SKIP_1) | instid1(VALU_DEP_2)
	v_bfi_b32 v24, v14, 0, v54
	v_lshrrev_b64 v[14:15], v22, v[54:55]
	v_cmp_eq_u64_e64 s10, v[24:25], v[16:17]
	s_delay_alu instid0(VALU_DEP_2)
	v_mov_b64_e32 v[16:17], v[14:15]
	s_and_saveexec_b32 s28, s10
; %bb.17090:                            ;   in Loop: Header=BB6_16878 Depth=2
	v_bfe_u32 v54, v14, 20, 1
	s_delay_alu instid0(VALU_DEP_1) | instskip(NEXT) | instid1(VALU_DEP_1)
	v_add_nc_u64_e32 v[16:17], v[14:15], v[54:55]
	v_add_nc_u64_e32 v[16:17], -1, v[16:17]
; %bb.17091:                            ;   in Loop: Header=BB6_16878 Depth=2
	s_or_b32 exec_lo, exec_lo, s28
	v_add_nc_u32_e32 v15, 0xffffff81, v20
	v_lshrrev_b32_e32 v17, 23, v14
	s_mov_b32 s10, exec_lo
	s_delay_alu instid0(VALU_DEP_2) | instskip(NEXT) | instid1(VALU_DEP_1)
	v_cndmask_b32_e64 v15, v15, 0xffffff82, vcc_lo
	v_add3_u32 v17, v22, v15, v17
	v_and_b32_e32 v15, 0xfffff, v16
                                        ; implicit-def: $vgpr16
	s_delay_alu instid0(VALU_DEP_1) | instskip(NEXT) | instid1(VALU_DEP_1)
	v_dual_add_nc_u32 v20, 6, v17 :: v_dual_add_nc_u32 v54, v15, v14
                                        ; implicit-def: $vgpr14_vgpr15
	v_cmpx_ne_u32_e32 0, v20
	s_xor_b32 s10, exec_lo, s10
; %bb.17092:                            ;   in Loop: Header=BB6_16878 Depth=2
	s_delay_alu instid0(VALU_DEP_2) | instskip(SKIP_1) | instid1(VALU_DEP_1)
	v_cmp_lt_u64_e32 vcc_lo, 0xffffff, v[54:55]
	v_add_nc_u32_e32 v14, 7, v17
	v_cndmask_b32_e32 v16, v20, v14, vcc_lo
	v_cndmask_b32_e64 v14, 0, 1, vcc_lo
	s_delay_alu instid0(VALU_DEP_1)
	v_lshrrev_b64 v[14:15], v14, v[54:55]
; %bb.17093:                            ;   in Loop: Header=BB6_16878 Depth=2
	s_and_not1_saveexec_b32 s10, s10
; %bb.17094:                            ;   in Loop: Header=BB6_16878 Depth=2
	v_mov_b64_e32 v[14:15], v[54:55]
	v_bfe_u32 v16, v54, 23, 1
; %bb.17095:                            ;   in Loop: Header=BB6_16878 Depth=2
	s_or_b32 exec_lo, exec_lo, s10
	s_delay_alu instid0(VALU_DEP_2) | instskip(NEXT) | instid1(VALU_DEP_2)
	v_lshrrev_b64 v[14:15], 20, v[14:15]
	v_cmp_gt_i32_e32 vcc_lo, 16, v16
	v_cmp_ne_u32_e64 s10, 0, v16
                                        ; implicit-def: $vgpr20
	s_delay_alu instid0(VALU_DEP_3) | instskip(NEXT) | instid1(VALU_DEP_1)
	v_dual_cndmask_b32 v15, 0, v15 :: v_dual_cndmask_b32 v14, 7, v14
	v_cmp_ne_u64_e32 vcc_lo, 0, v[14:15]
	s_or_b32 s10, s10, vcc_lo
	s_delay_alu instid0(SALU_CYCLE_1) | instskip(NEXT) | instid1(SALU_CYCLE_1)
	s_and_saveexec_b32 s28, s10
	s_xor_b32 s10, exec_lo, s28
; %bb.17096:                            ;   in Loop: Header=BB6_16878 Depth=2
	v_min_i32_e32 v15, 15, v16
	s_delay_alu instid0(VALU_DEP_1) | instskip(NEXT) | instid1(VALU_DEP_1)
	v_lshl_or_b32 v15, v15, 3, v21
                                        ; implicit-def: $vgpr21
	v_and_or_b32 v20, v14, 7, v15
; %bb.17097:                            ;   in Loop: Header=BB6_16878 Depth=2
	s_and_not1_saveexec_b32 s10, s10
; %bb.17098:                            ;   in Loop: Header=BB6_16878 Depth=2
	v_mov_b32_e32 v20, v21
; %bb.17099:                            ;   in Loop: Header=BB6_16878 Depth=2
	s_or_b32 exec_lo, exec_lo, s10
.LBB6_17100:                            ;   in Loop: Header=BB6_16878 Depth=2
	s_delay_alu instid0(SALU_CYCLE_1)
	s_or_b32 exec_lo, exec_lo, s27
                                        ; implicit-def: $vgpr21
.LBB6_17101:                            ;   in Loop: Header=BB6_16878 Depth=2
	s_and_not1_saveexec_b32 s10, s26
; %bb.17102:                            ;   in Loop: Header=BB6_16878 Depth=2
	v_or_b32_e32 v20, 0x7e, v21
; %bb.17103:                            ;   in Loop: Header=BB6_16878 Depth=2
	s_or_b32 exec_lo, exec_lo, s10
                                        ; implicit-def: $vgpr15
.LBB6_17104:                            ;   in Loop: Header=BB6_16878 Depth=2
	s_and_not1_saveexec_b32 s10, s11
; %bb.17105:                            ;   in Loop: Header=BB6_16878 Depth=2
	v_or_b32_e32 v20, 0x7f, v15
; %bb.17106:                            ;   in Loop: Header=BB6_16878 Depth=2
	s_or_b32 exec_lo, exec_lo, s10
	flat_load_u8 v14, v[12:13] offset:256 th:TH_LOAD_NT
	v_mov_b32_e32 v15, 0
	s_mov_b32 s10, exec_lo
	s_wait_loadcnt_dscnt 0x0
	s_wait_xcnt 0x0
	v_cmpx_ne_u16_e32 0, v14
	s_cbranch_execz .LBB6_17114
; %bb.17107:                            ;   in Loop: Header=BB6_16878 Depth=2
	v_bfrev_b32_e32 v15, 1
	s_mov_b32 s11, exec_lo
	v_cmpx_ne_u16_e32 0x80, v14
	s_cbranch_execz .LBB6_17113
; %bb.17108:                            ;   in Loop: Header=BB6_16878 Depth=2
	v_and_b32_e32 v17, 0xffff, v14
	v_mov_b32_e32 v15, 0x7f800001
	s_mov_b32 s26, exec_lo
	s_delay_alu instid0(VALU_DEP_2) | instskip(NEXT) | instid1(VALU_DEP_1)
	v_and_b32_e32 v16, 0x7f, v17
	v_cmpx_ne_u32_e32 0x7f, v16
	s_cbranch_execz .LBB6_17112
; %bb.17109:                            ;   in Loop: Header=BB6_16878 Depth=2
	v_dual_lshrrev_b32 v15, 3, v16 :: v_dual_bitop2_b32 v54, 7, v17 bitop3:0x40
	s_mov_b32 s27, exec_lo
	v_cmpx_gt_u32_e32 8, v16
; %bb.17110:                            ;   in Loop: Header=BB6_16878 Depth=2
	s_delay_alu instid0(VALU_DEP_2) | instskip(NEXT) | instid1(VALU_DEP_1)
	v_clz_i32_u32_e32 v15, v54
	v_min_u32_e32 v15, 32, v15
	s_delay_alu instid0(VALU_DEP_1) | instskip(NEXT) | instid1(VALU_DEP_1)
	v_subrev_nc_u32_e32 v16, 28, v15
	v_lshlrev_b64_e32 v[16:17], v16, v[54:55]
	s_delay_alu instid0(VALU_DEP_1)
	v_dual_sub_nc_u32 v15, 29, v15 :: v_dual_bitop2_b32 v54, 7, v16 bitop3:0x40
; %bb.17111:                            ;   in Loop: Header=BB6_16878 Depth=2
	s_or_b32 exec_lo, exec_lo, s27
	v_lshlrev_b32_e32 v14, 24, v14
	s_delay_alu instid0(VALU_DEP_2) | instskip(NEXT) | instid1(VALU_DEP_3)
	v_lshlrev_b32_e32 v16, 20, v54
	v_lshl_add_u32 v15, v15, 23, 0x3c000000
	s_delay_alu instid0(VALU_DEP_3) | instskip(NEXT) | instid1(VALU_DEP_1)
	v_and_b32_e32 v14, 0x80000000, v14
	v_or3_b32 v15, v16, v14, v15
.LBB6_17112:                            ;   in Loop: Header=BB6_16878 Depth=2
	s_or_b32 exec_lo, exec_lo, s26
.LBB6_17113:                            ;   in Loop: Header=BB6_16878 Depth=2
	s_delay_alu instid0(SALU_CYCLE_1)
	s_or_b32 exec_lo, exec_lo, s11
.LBB6_17114:                            ;   in Loop: Header=BB6_16878 Depth=2
	s_delay_alu instid0(SALU_CYCLE_1) | instskip(NEXT) | instid1(VALU_DEP_1)
	s_or_b32 exec_lo, exec_lo, s10
	v_mul_f32_e32 v14, s25, v15
                                        ; implicit-def: $vgpr21
	s_mov_b32 s10, exec_lo
	s_delay_alu instid0(VALU_DEP_1) | instskip(SKIP_1) | instid1(VALU_DEP_2)
	v_and_b32_e32 v54, 0x7f800000, v14
	v_lshrrev_b32_e32 v15, 24, v14
	v_cmpx_ne_u64_e32 0x7f800000, v[54:55]
	s_xor_b32 s11, exec_lo, s10
	s_cbranch_execz .LBB6_17132
; %bb.17115:                            ;   in Loop: Header=BB6_16878 Depth=2
	v_and_b32_e32 v54, 0x7fffffff, v14
	v_and_b32_e32 v22, 0x80, v15
                                        ; implicit-def: $vgpr21
	s_mov_b32 s10, exec_lo
	s_delay_alu instid0(VALU_DEP_2)
	v_cmpx_gt_u64_e32 0x43e00001, v[54:55]
	s_xor_b32 s26, exec_lo, s10
	s_cbranch_execz .LBB6_17129
; %bb.17116:                            ;   in Loop: Header=BB6_16878 Depth=2
	v_mov_b32_e32 v21, 0
	s_mov_b32 s27, exec_lo
	v_cmpx_ne_u32_e32 0, v14
	s_cbranch_execz .LBB6_17128
; %bb.17117:                            ;   in Loop: Header=BB6_16878 Depth=2
	v_bfe_u32 v21, v14, 23, 8
	v_and_b32_e32 v16, 0x7fffff, v14
	s_delay_alu instid0(VALU_DEP_2) | instskip(NEXT) | instid1(VALU_DEP_2)
	v_cmp_gt_u32_e32 vcc_lo, 0x7a, v21
	v_or_b32_e32 v17, 0x800000, v16
	v_sub_nc_u32_e32 v15, 0x79, v21
	s_delay_alu instid0(VALU_DEP_1) | instskip(SKIP_1) | instid1(VALU_DEP_2)
	v_cndmask_b32_e32 v15, 0, v15, vcc_lo
	v_cmp_eq_u32_e32 vcc_lo, 0, v21
	v_cndmask_b32_e64 v23, v15, 0x78, vcc_lo
	s_delay_alu instid0(VALU_DEP_1) | instskip(SKIP_1) | instid1(VALU_DEP_2)
	v_dual_cndmask_b32 v54, v17, v16, vcc_lo :: v_dual_add_nc_u32 v14, 20, v23
	v_add_nc_u32_e32 v24, 19, v23
	v_lshlrev_b64_e64 v[14:15], v14, -1
	s_delay_alu instid0(VALU_DEP_2) | instskip(NEXT) | instid1(VALU_DEP_2)
	v_lshlrev_b64_e64 v[16:17], v24, 1
	v_bfi_b32 v25, v15, 0, 0
	s_delay_alu instid0(VALU_DEP_3) | instskip(SKIP_1) | instid1(VALU_DEP_2)
	v_bfi_b32 v24, v14, 0, v54
	v_lshrrev_b64 v[14:15], v23, v[54:55]
	v_cmp_eq_u64_e64 s10, v[24:25], v[16:17]
	s_delay_alu instid0(VALU_DEP_2)
	v_mov_b64_e32 v[16:17], v[14:15]
	s_and_saveexec_b32 s28, s10
; %bb.17118:                            ;   in Loop: Header=BB6_16878 Depth=2
	v_bfe_u32 v54, v14, 20, 1
	s_delay_alu instid0(VALU_DEP_1) | instskip(NEXT) | instid1(VALU_DEP_1)
	v_add_nc_u64_e32 v[16:17], v[14:15], v[54:55]
	v_add_nc_u64_e32 v[16:17], -1, v[16:17]
; %bb.17119:                            ;   in Loop: Header=BB6_16878 Depth=2
	s_or_b32 exec_lo, exec_lo, s28
	v_add_nc_u32_e32 v15, 0xffffff81, v21
	v_lshrrev_b32_e32 v17, 23, v14
	s_mov_b32 s10, exec_lo
	s_delay_alu instid0(VALU_DEP_2) | instskip(NEXT) | instid1(VALU_DEP_1)
	v_cndmask_b32_e64 v15, v15, 0xffffff82, vcc_lo
	v_add3_u32 v17, v23, v15, v17
	v_and_b32_e32 v15, 0xfffff, v16
                                        ; implicit-def: $vgpr16
	s_delay_alu instid0(VALU_DEP_1) | instskip(NEXT) | instid1(VALU_DEP_1)
	v_dual_add_nc_u32 v21, 6, v17 :: v_dual_add_nc_u32 v54, v15, v14
                                        ; implicit-def: $vgpr14_vgpr15
	v_cmpx_ne_u32_e32 0, v21
	s_xor_b32 s10, exec_lo, s10
; %bb.17120:                            ;   in Loop: Header=BB6_16878 Depth=2
	s_delay_alu instid0(VALU_DEP_2) | instskip(SKIP_1) | instid1(VALU_DEP_1)
	v_cmp_lt_u64_e32 vcc_lo, 0xffffff, v[54:55]
	v_add_nc_u32_e32 v14, 7, v17
	v_cndmask_b32_e32 v16, v21, v14, vcc_lo
	v_cndmask_b32_e64 v14, 0, 1, vcc_lo
	s_delay_alu instid0(VALU_DEP_1)
	v_lshrrev_b64 v[14:15], v14, v[54:55]
; %bb.17121:                            ;   in Loop: Header=BB6_16878 Depth=2
	s_and_not1_saveexec_b32 s10, s10
; %bb.17122:                            ;   in Loop: Header=BB6_16878 Depth=2
	v_mov_b64_e32 v[14:15], v[54:55]
	v_bfe_u32 v16, v54, 23, 1
; %bb.17123:                            ;   in Loop: Header=BB6_16878 Depth=2
	s_or_b32 exec_lo, exec_lo, s10
	s_delay_alu instid0(VALU_DEP_2) | instskip(NEXT) | instid1(VALU_DEP_2)
	v_lshrrev_b64 v[14:15], 20, v[14:15]
	v_cmp_gt_i32_e32 vcc_lo, 16, v16
	v_cmp_ne_u32_e64 s10, 0, v16
                                        ; implicit-def: $vgpr21
	s_delay_alu instid0(VALU_DEP_3) | instskip(NEXT) | instid1(VALU_DEP_1)
	v_dual_cndmask_b32 v15, 0, v15 :: v_dual_cndmask_b32 v14, 7, v14
	v_cmp_ne_u64_e32 vcc_lo, 0, v[14:15]
	s_or_b32 s10, s10, vcc_lo
	s_delay_alu instid0(SALU_CYCLE_1) | instskip(NEXT) | instid1(SALU_CYCLE_1)
	s_and_saveexec_b32 s28, s10
	s_xor_b32 s10, exec_lo, s28
; %bb.17124:                            ;   in Loop: Header=BB6_16878 Depth=2
	v_min_i32_e32 v15, 15, v16
	s_delay_alu instid0(VALU_DEP_1) | instskip(NEXT) | instid1(VALU_DEP_1)
	v_lshl_or_b32 v15, v15, 3, v22
                                        ; implicit-def: $vgpr22
	v_and_or_b32 v21, v14, 7, v15
; %bb.17125:                            ;   in Loop: Header=BB6_16878 Depth=2
	s_and_not1_saveexec_b32 s10, s10
; %bb.17126:                            ;   in Loop: Header=BB6_16878 Depth=2
	v_mov_b32_e32 v21, v22
; %bb.17127:                            ;   in Loop: Header=BB6_16878 Depth=2
	s_or_b32 exec_lo, exec_lo, s10
.LBB6_17128:                            ;   in Loop: Header=BB6_16878 Depth=2
	s_delay_alu instid0(SALU_CYCLE_1)
	s_or_b32 exec_lo, exec_lo, s27
                                        ; implicit-def: $vgpr22
.LBB6_17129:                            ;   in Loop: Header=BB6_16878 Depth=2
	s_and_not1_saveexec_b32 s10, s26
; %bb.17130:                            ;   in Loop: Header=BB6_16878 Depth=2
	v_or_b32_e32 v21, 0x7e, v22
; %bb.17131:                            ;   in Loop: Header=BB6_16878 Depth=2
	s_or_b32 exec_lo, exec_lo, s10
                                        ; implicit-def: $vgpr15
.LBB6_17132:                            ;   in Loop: Header=BB6_16878 Depth=2
	s_and_not1_saveexec_b32 s10, s11
; %bb.17133:                            ;   in Loop: Header=BB6_16878 Depth=2
	v_or_b32_e32 v21, 0x7f, v15
; %bb.17134:                            ;   in Loop: Header=BB6_16878 Depth=2
	s_or_b32 exec_lo, exec_lo, s10
	flat_load_u8 v14, v[12:13] offset:288 th:TH_LOAD_NT
	v_mov_b32_e32 v15, 0
	s_mov_b32 s10, exec_lo
	s_wait_loadcnt_dscnt 0x0
	s_wait_xcnt 0x0
	v_cmpx_ne_u16_e32 0, v14
	s_cbranch_execz .LBB6_17142
; %bb.17135:                            ;   in Loop: Header=BB6_16878 Depth=2
	v_bfrev_b32_e32 v15, 1
	s_mov_b32 s11, exec_lo
	v_cmpx_ne_u16_e32 0x80, v14
	s_cbranch_execz .LBB6_17141
; %bb.17136:                            ;   in Loop: Header=BB6_16878 Depth=2
	v_and_b32_e32 v17, 0xffff, v14
	v_mov_b32_e32 v15, 0x7f800001
	s_mov_b32 s26, exec_lo
	s_delay_alu instid0(VALU_DEP_2) | instskip(NEXT) | instid1(VALU_DEP_1)
	v_and_b32_e32 v16, 0x7f, v17
	v_cmpx_ne_u32_e32 0x7f, v16
	s_cbranch_execz .LBB6_17140
; %bb.17137:                            ;   in Loop: Header=BB6_16878 Depth=2
	v_dual_lshrrev_b32 v15, 3, v16 :: v_dual_bitop2_b32 v54, 7, v17 bitop3:0x40
	s_mov_b32 s27, exec_lo
	v_cmpx_gt_u32_e32 8, v16
; %bb.17138:                            ;   in Loop: Header=BB6_16878 Depth=2
	s_delay_alu instid0(VALU_DEP_2) | instskip(NEXT) | instid1(VALU_DEP_1)
	v_clz_i32_u32_e32 v15, v54
	v_min_u32_e32 v15, 32, v15
	s_delay_alu instid0(VALU_DEP_1) | instskip(NEXT) | instid1(VALU_DEP_1)
	v_subrev_nc_u32_e32 v16, 28, v15
	v_lshlrev_b64_e32 v[16:17], v16, v[54:55]
	s_delay_alu instid0(VALU_DEP_1)
	v_dual_sub_nc_u32 v15, 29, v15 :: v_dual_bitop2_b32 v54, 7, v16 bitop3:0x40
; %bb.17139:                            ;   in Loop: Header=BB6_16878 Depth=2
	s_or_b32 exec_lo, exec_lo, s27
	v_lshlrev_b32_e32 v14, 24, v14
	s_delay_alu instid0(VALU_DEP_2) | instskip(NEXT) | instid1(VALU_DEP_3)
	v_lshlrev_b32_e32 v16, 20, v54
	v_lshl_add_u32 v15, v15, 23, 0x3c000000
	s_delay_alu instid0(VALU_DEP_3) | instskip(NEXT) | instid1(VALU_DEP_1)
	v_and_b32_e32 v14, 0x80000000, v14
	v_or3_b32 v15, v16, v14, v15
.LBB6_17140:                            ;   in Loop: Header=BB6_16878 Depth=2
	s_or_b32 exec_lo, exec_lo, s26
.LBB6_17141:                            ;   in Loop: Header=BB6_16878 Depth=2
	s_delay_alu instid0(SALU_CYCLE_1)
	s_or_b32 exec_lo, exec_lo, s11
.LBB6_17142:                            ;   in Loop: Header=BB6_16878 Depth=2
	s_delay_alu instid0(SALU_CYCLE_1) | instskip(NEXT) | instid1(VALU_DEP_1)
	s_or_b32 exec_lo, exec_lo, s10
	v_mul_f32_e32 v14, s25, v15
                                        ; implicit-def: $vgpr22
	s_mov_b32 s10, exec_lo
	s_delay_alu instid0(VALU_DEP_1) | instskip(SKIP_1) | instid1(VALU_DEP_2)
	v_and_b32_e32 v54, 0x7f800000, v14
	v_lshrrev_b32_e32 v15, 24, v14
	v_cmpx_ne_u64_e32 0x7f800000, v[54:55]
	s_xor_b32 s11, exec_lo, s10
	s_cbranch_execz .LBB6_17160
; %bb.17143:                            ;   in Loop: Header=BB6_16878 Depth=2
	v_and_b32_e32 v54, 0x7fffffff, v14
	v_and_b32_e32 v23, 0x80, v15
                                        ; implicit-def: $vgpr22
	s_mov_b32 s10, exec_lo
	s_delay_alu instid0(VALU_DEP_2)
	v_cmpx_gt_u64_e32 0x43e00001, v[54:55]
	s_xor_b32 s26, exec_lo, s10
	s_cbranch_execz .LBB6_17157
; %bb.17144:                            ;   in Loop: Header=BB6_16878 Depth=2
	v_mov_b32_e32 v22, 0
	s_mov_b32 s27, exec_lo
	v_cmpx_ne_u32_e32 0, v14
	s_cbranch_execz .LBB6_17156
; %bb.17145:                            ;   in Loop: Header=BB6_16878 Depth=2
	v_bfe_u32 v22, v14, 23, 8
	v_and_b32_e32 v16, 0x7fffff, v14
	s_delay_alu instid0(VALU_DEP_2) | instskip(NEXT) | instid1(VALU_DEP_2)
	v_cmp_gt_u32_e32 vcc_lo, 0x7a, v22
	v_or_b32_e32 v17, 0x800000, v16
	v_sub_nc_u32_e32 v15, 0x79, v22
	s_delay_alu instid0(VALU_DEP_1) | instskip(SKIP_1) | instid1(VALU_DEP_2)
	v_cndmask_b32_e32 v15, 0, v15, vcc_lo
	v_cmp_eq_u32_e32 vcc_lo, 0, v22
	v_cndmask_b32_e64 v24, v15, 0x78, vcc_lo
	v_cndmask_b32_e32 v54, v17, v16, vcc_lo
	s_delay_alu instid0(VALU_DEP_2) | instskip(NEXT) | instid1(VALU_DEP_1)
	v_dual_add_nc_u32 v14, 20, v24 :: v_dual_add_nc_u32 v25, 19, v24
	v_lshlrev_b64_e64 v[14:15], v14, -1
	s_delay_alu instid0(VALU_DEP_2) | instskip(NEXT) | instid1(VALU_DEP_2)
	v_lshlrev_b64_e64 v[16:17], v25, 1
	v_bfi_b32 v27, v15, 0, 0
	s_delay_alu instid0(VALU_DEP_3) | instskip(SKIP_1) | instid1(VALU_DEP_2)
	v_bfi_b32 v26, v14, 0, v54
	v_lshrrev_b64 v[14:15], v24, v[54:55]
	v_cmp_eq_u64_e64 s10, v[26:27], v[16:17]
	s_delay_alu instid0(VALU_DEP_2)
	v_mov_b64_e32 v[16:17], v[14:15]
	s_and_saveexec_b32 s28, s10
; %bb.17146:                            ;   in Loop: Header=BB6_16878 Depth=2
	v_bfe_u32 v54, v14, 20, 1
	s_delay_alu instid0(VALU_DEP_1) | instskip(NEXT) | instid1(VALU_DEP_1)
	v_add_nc_u64_e32 v[16:17], v[14:15], v[54:55]
	v_add_nc_u64_e32 v[16:17], -1, v[16:17]
; %bb.17147:                            ;   in Loop: Header=BB6_16878 Depth=2
	s_or_b32 exec_lo, exec_lo, s28
	v_add_nc_u32_e32 v15, 0xffffff81, v22
	v_lshrrev_b32_e32 v17, 23, v14
	s_mov_b32 s10, exec_lo
	s_delay_alu instid0(VALU_DEP_2) | instskip(NEXT) | instid1(VALU_DEP_1)
	v_cndmask_b32_e64 v15, v15, 0xffffff82, vcc_lo
	v_add3_u32 v17, v24, v15, v17
	v_and_b32_e32 v15, 0xfffff, v16
                                        ; implicit-def: $vgpr16
	s_delay_alu instid0(VALU_DEP_1) | instskip(NEXT) | instid1(VALU_DEP_1)
	v_dual_add_nc_u32 v22, 6, v17 :: v_dual_add_nc_u32 v54, v15, v14
                                        ; implicit-def: $vgpr14_vgpr15
	v_cmpx_ne_u32_e32 0, v22
	s_xor_b32 s10, exec_lo, s10
; %bb.17148:                            ;   in Loop: Header=BB6_16878 Depth=2
	s_delay_alu instid0(VALU_DEP_2) | instskip(SKIP_1) | instid1(VALU_DEP_1)
	v_cmp_lt_u64_e32 vcc_lo, 0xffffff, v[54:55]
	v_add_nc_u32_e32 v14, 7, v17
	v_cndmask_b32_e32 v16, v22, v14, vcc_lo
	v_cndmask_b32_e64 v14, 0, 1, vcc_lo
	s_delay_alu instid0(VALU_DEP_1)
	v_lshrrev_b64 v[14:15], v14, v[54:55]
; %bb.17149:                            ;   in Loop: Header=BB6_16878 Depth=2
	s_and_not1_saveexec_b32 s10, s10
; %bb.17150:                            ;   in Loop: Header=BB6_16878 Depth=2
	v_mov_b64_e32 v[14:15], v[54:55]
	v_bfe_u32 v16, v54, 23, 1
; %bb.17151:                            ;   in Loop: Header=BB6_16878 Depth=2
	s_or_b32 exec_lo, exec_lo, s10
	s_delay_alu instid0(VALU_DEP_2) | instskip(NEXT) | instid1(VALU_DEP_2)
	v_lshrrev_b64 v[14:15], 20, v[14:15]
	v_cmp_gt_i32_e32 vcc_lo, 16, v16
	v_cmp_ne_u32_e64 s10, 0, v16
                                        ; implicit-def: $vgpr22
	s_delay_alu instid0(VALU_DEP_3) | instskip(NEXT) | instid1(VALU_DEP_1)
	v_dual_cndmask_b32 v15, 0, v15 :: v_dual_cndmask_b32 v14, 7, v14
	v_cmp_ne_u64_e32 vcc_lo, 0, v[14:15]
	s_or_b32 s10, s10, vcc_lo
	s_delay_alu instid0(SALU_CYCLE_1) | instskip(NEXT) | instid1(SALU_CYCLE_1)
	s_and_saveexec_b32 s28, s10
	s_xor_b32 s10, exec_lo, s28
; %bb.17152:                            ;   in Loop: Header=BB6_16878 Depth=2
	v_min_i32_e32 v15, 15, v16
	s_delay_alu instid0(VALU_DEP_1) | instskip(NEXT) | instid1(VALU_DEP_1)
	v_lshl_or_b32 v15, v15, 3, v23
                                        ; implicit-def: $vgpr23
	v_and_or_b32 v22, v14, 7, v15
; %bb.17153:                            ;   in Loop: Header=BB6_16878 Depth=2
	s_and_not1_saveexec_b32 s10, s10
; %bb.17154:                            ;   in Loop: Header=BB6_16878 Depth=2
	v_mov_b32_e32 v22, v23
; %bb.17155:                            ;   in Loop: Header=BB6_16878 Depth=2
	s_or_b32 exec_lo, exec_lo, s10
.LBB6_17156:                            ;   in Loop: Header=BB6_16878 Depth=2
	s_delay_alu instid0(SALU_CYCLE_1)
	s_or_b32 exec_lo, exec_lo, s27
                                        ; implicit-def: $vgpr23
.LBB6_17157:                            ;   in Loop: Header=BB6_16878 Depth=2
	s_and_not1_saveexec_b32 s10, s26
; %bb.17158:                            ;   in Loop: Header=BB6_16878 Depth=2
	v_or_b32_e32 v22, 0x7e, v23
; %bb.17159:                            ;   in Loop: Header=BB6_16878 Depth=2
	s_or_b32 exec_lo, exec_lo, s10
                                        ; implicit-def: $vgpr15
.LBB6_17160:                            ;   in Loop: Header=BB6_16878 Depth=2
	s_and_not1_saveexec_b32 s10, s11
; %bb.17161:                            ;   in Loop: Header=BB6_16878 Depth=2
	v_or_b32_e32 v22, 0x7f, v15
; %bb.17162:                            ;   in Loop: Header=BB6_16878 Depth=2
	s_or_b32 exec_lo, exec_lo, s10
	flat_load_u8 v14, v[12:13] offset:320 th:TH_LOAD_NT
	v_mov_b32_e32 v15, 0
	s_mov_b32 s10, exec_lo
	s_wait_loadcnt_dscnt 0x0
	s_wait_xcnt 0x0
	v_cmpx_ne_u16_e32 0, v14
	s_cbranch_execz .LBB6_17170
; %bb.17163:                            ;   in Loop: Header=BB6_16878 Depth=2
	v_bfrev_b32_e32 v15, 1
	s_mov_b32 s11, exec_lo
	v_cmpx_ne_u16_e32 0x80, v14
	s_cbranch_execz .LBB6_17169
; %bb.17164:                            ;   in Loop: Header=BB6_16878 Depth=2
	v_and_b32_e32 v17, 0xffff, v14
	v_mov_b32_e32 v15, 0x7f800001
	s_mov_b32 s26, exec_lo
	s_delay_alu instid0(VALU_DEP_2) | instskip(NEXT) | instid1(VALU_DEP_1)
	v_and_b32_e32 v16, 0x7f, v17
	v_cmpx_ne_u32_e32 0x7f, v16
	s_cbranch_execz .LBB6_17168
; %bb.17165:                            ;   in Loop: Header=BB6_16878 Depth=2
	v_dual_lshrrev_b32 v15, 3, v16 :: v_dual_bitop2_b32 v54, 7, v17 bitop3:0x40
	s_mov_b32 s27, exec_lo
	v_cmpx_gt_u32_e32 8, v16
; %bb.17166:                            ;   in Loop: Header=BB6_16878 Depth=2
	s_delay_alu instid0(VALU_DEP_2) | instskip(NEXT) | instid1(VALU_DEP_1)
	v_clz_i32_u32_e32 v15, v54
	v_min_u32_e32 v15, 32, v15
	s_delay_alu instid0(VALU_DEP_1) | instskip(NEXT) | instid1(VALU_DEP_1)
	v_subrev_nc_u32_e32 v16, 28, v15
	v_lshlrev_b64_e32 v[16:17], v16, v[54:55]
	s_delay_alu instid0(VALU_DEP_1)
	v_dual_sub_nc_u32 v15, 29, v15 :: v_dual_bitop2_b32 v54, 7, v16 bitop3:0x40
; %bb.17167:                            ;   in Loop: Header=BB6_16878 Depth=2
	s_or_b32 exec_lo, exec_lo, s27
	v_lshlrev_b32_e32 v14, 24, v14
	s_delay_alu instid0(VALU_DEP_2) | instskip(NEXT) | instid1(VALU_DEP_3)
	v_lshlrev_b32_e32 v16, 20, v54
	v_lshl_add_u32 v15, v15, 23, 0x3c000000
	s_delay_alu instid0(VALU_DEP_3) | instskip(NEXT) | instid1(VALU_DEP_1)
	v_and_b32_e32 v14, 0x80000000, v14
	v_or3_b32 v15, v16, v14, v15
.LBB6_17168:                            ;   in Loop: Header=BB6_16878 Depth=2
	s_or_b32 exec_lo, exec_lo, s26
.LBB6_17169:                            ;   in Loop: Header=BB6_16878 Depth=2
	s_delay_alu instid0(SALU_CYCLE_1)
	s_or_b32 exec_lo, exec_lo, s11
.LBB6_17170:                            ;   in Loop: Header=BB6_16878 Depth=2
	s_delay_alu instid0(SALU_CYCLE_1) | instskip(NEXT) | instid1(VALU_DEP_1)
	s_or_b32 exec_lo, exec_lo, s10
	v_mul_f32_e32 v14, s25, v15
                                        ; implicit-def: $vgpr23
	s_mov_b32 s10, exec_lo
	s_delay_alu instid0(VALU_DEP_1) | instskip(SKIP_1) | instid1(VALU_DEP_2)
	v_and_b32_e32 v54, 0x7f800000, v14
	v_lshrrev_b32_e32 v15, 24, v14
	v_cmpx_ne_u64_e32 0x7f800000, v[54:55]
	s_xor_b32 s11, exec_lo, s10
	s_cbranch_execz .LBB6_17188
; %bb.17171:                            ;   in Loop: Header=BB6_16878 Depth=2
	v_and_b32_e32 v54, 0x7fffffff, v14
	v_and_b32_e32 v24, 0x80, v15
                                        ; implicit-def: $vgpr23
	s_mov_b32 s10, exec_lo
	s_delay_alu instid0(VALU_DEP_2)
	v_cmpx_gt_u64_e32 0x43e00001, v[54:55]
	s_xor_b32 s26, exec_lo, s10
	s_cbranch_execz .LBB6_17185
; %bb.17172:                            ;   in Loop: Header=BB6_16878 Depth=2
	v_mov_b32_e32 v23, 0
	s_mov_b32 s27, exec_lo
	v_cmpx_ne_u32_e32 0, v14
	s_cbranch_execz .LBB6_17184
; %bb.17173:                            ;   in Loop: Header=BB6_16878 Depth=2
	v_bfe_u32 v23, v14, 23, 8
	v_and_b32_e32 v16, 0x7fffff, v14
	s_delay_alu instid0(VALU_DEP_2) | instskip(NEXT) | instid1(VALU_DEP_2)
	v_cmp_gt_u32_e32 vcc_lo, 0x7a, v23
	v_or_b32_e32 v17, 0x800000, v16
	v_sub_nc_u32_e32 v15, 0x79, v23
	s_delay_alu instid0(VALU_DEP_1) | instskip(SKIP_1) | instid1(VALU_DEP_2)
	v_cndmask_b32_e32 v15, 0, v15, vcc_lo
	v_cmp_eq_u32_e32 vcc_lo, 0, v23
	v_cndmask_b32_e64 v25, v15, 0x78, vcc_lo
	s_delay_alu instid0(VALU_DEP_1) | instskip(SKIP_1) | instid1(VALU_DEP_2)
	v_dual_cndmask_b32 v54, v17, v16, vcc_lo :: v_dual_add_nc_u32 v14, 20, v25
	v_add_nc_u32_e32 v26, 19, v25
	v_lshlrev_b64_e64 v[14:15], v14, -1
	s_delay_alu instid0(VALU_DEP_2) | instskip(NEXT) | instid1(VALU_DEP_2)
	v_lshlrev_b64_e64 v[16:17], v26, 1
	v_bfi_b32 v27, v15, 0, 0
	s_delay_alu instid0(VALU_DEP_3) | instskip(SKIP_1) | instid1(VALU_DEP_2)
	v_bfi_b32 v26, v14, 0, v54
	v_lshrrev_b64 v[14:15], v25, v[54:55]
	v_cmp_eq_u64_e64 s10, v[26:27], v[16:17]
	s_delay_alu instid0(VALU_DEP_2)
	v_mov_b64_e32 v[16:17], v[14:15]
	s_and_saveexec_b32 s28, s10
; %bb.17174:                            ;   in Loop: Header=BB6_16878 Depth=2
	v_bfe_u32 v54, v14, 20, 1
	s_delay_alu instid0(VALU_DEP_1) | instskip(NEXT) | instid1(VALU_DEP_1)
	v_add_nc_u64_e32 v[16:17], v[14:15], v[54:55]
	v_add_nc_u64_e32 v[16:17], -1, v[16:17]
; %bb.17175:                            ;   in Loop: Header=BB6_16878 Depth=2
	s_or_b32 exec_lo, exec_lo, s28
	v_add_nc_u32_e32 v15, 0xffffff81, v23
	v_lshrrev_b32_e32 v17, 23, v14
	s_mov_b32 s10, exec_lo
	s_delay_alu instid0(VALU_DEP_2) | instskip(NEXT) | instid1(VALU_DEP_1)
	v_cndmask_b32_e64 v15, v15, 0xffffff82, vcc_lo
	v_add3_u32 v17, v25, v15, v17
	v_and_b32_e32 v15, 0xfffff, v16
                                        ; implicit-def: $vgpr16
	s_delay_alu instid0(VALU_DEP_1) | instskip(NEXT) | instid1(VALU_DEP_1)
	v_dual_add_nc_u32 v23, 6, v17 :: v_dual_add_nc_u32 v54, v15, v14
                                        ; implicit-def: $vgpr14_vgpr15
	v_cmpx_ne_u32_e32 0, v23
	s_xor_b32 s10, exec_lo, s10
; %bb.17176:                            ;   in Loop: Header=BB6_16878 Depth=2
	s_delay_alu instid0(VALU_DEP_2) | instskip(SKIP_1) | instid1(VALU_DEP_1)
	v_cmp_lt_u64_e32 vcc_lo, 0xffffff, v[54:55]
	v_add_nc_u32_e32 v14, 7, v17
	v_cndmask_b32_e32 v16, v23, v14, vcc_lo
	v_cndmask_b32_e64 v14, 0, 1, vcc_lo
	s_delay_alu instid0(VALU_DEP_1)
	v_lshrrev_b64 v[14:15], v14, v[54:55]
; %bb.17177:                            ;   in Loop: Header=BB6_16878 Depth=2
	s_and_not1_saveexec_b32 s10, s10
; %bb.17178:                            ;   in Loop: Header=BB6_16878 Depth=2
	v_mov_b64_e32 v[14:15], v[54:55]
	v_bfe_u32 v16, v54, 23, 1
; %bb.17179:                            ;   in Loop: Header=BB6_16878 Depth=2
	s_or_b32 exec_lo, exec_lo, s10
	s_delay_alu instid0(VALU_DEP_2) | instskip(NEXT) | instid1(VALU_DEP_2)
	v_lshrrev_b64 v[14:15], 20, v[14:15]
	v_cmp_gt_i32_e32 vcc_lo, 16, v16
	v_cmp_ne_u32_e64 s10, 0, v16
                                        ; implicit-def: $vgpr23
	s_delay_alu instid0(VALU_DEP_3) | instskip(NEXT) | instid1(VALU_DEP_1)
	v_dual_cndmask_b32 v15, 0, v15 :: v_dual_cndmask_b32 v14, 7, v14
	v_cmp_ne_u64_e32 vcc_lo, 0, v[14:15]
	s_or_b32 s10, s10, vcc_lo
	s_delay_alu instid0(SALU_CYCLE_1) | instskip(NEXT) | instid1(SALU_CYCLE_1)
	s_and_saveexec_b32 s28, s10
	s_xor_b32 s10, exec_lo, s28
; %bb.17180:                            ;   in Loop: Header=BB6_16878 Depth=2
	v_min_i32_e32 v15, 15, v16
	s_delay_alu instid0(VALU_DEP_1) | instskip(NEXT) | instid1(VALU_DEP_1)
	v_lshl_or_b32 v15, v15, 3, v24
                                        ; implicit-def: $vgpr24
	v_and_or_b32 v23, v14, 7, v15
; %bb.17181:                            ;   in Loop: Header=BB6_16878 Depth=2
	s_and_not1_saveexec_b32 s10, s10
; %bb.17182:                            ;   in Loop: Header=BB6_16878 Depth=2
	v_mov_b32_e32 v23, v24
; %bb.17183:                            ;   in Loop: Header=BB6_16878 Depth=2
	s_or_b32 exec_lo, exec_lo, s10
.LBB6_17184:                            ;   in Loop: Header=BB6_16878 Depth=2
	s_delay_alu instid0(SALU_CYCLE_1)
	s_or_b32 exec_lo, exec_lo, s27
                                        ; implicit-def: $vgpr24
.LBB6_17185:                            ;   in Loop: Header=BB6_16878 Depth=2
	s_and_not1_saveexec_b32 s10, s26
; %bb.17186:                            ;   in Loop: Header=BB6_16878 Depth=2
	v_or_b32_e32 v23, 0x7e, v24
; %bb.17187:                            ;   in Loop: Header=BB6_16878 Depth=2
	s_or_b32 exec_lo, exec_lo, s10
                                        ; implicit-def: $vgpr15
.LBB6_17188:                            ;   in Loop: Header=BB6_16878 Depth=2
	s_and_not1_saveexec_b32 s10, s11
; %bb.17189:                            ;   in Loop: Header=BB6_16878 Depth=2
	v_or_b32_e32 v23, 0x7f, v15
; %bb.17190:                            ;   in Loop: Header=BB6_16878 Depth=2
	s_or_b32 exec_lo, exec_lo, s10
	flat_load_u8 v14, v[12:13] offset:352 th:TH_LOAD_NT
	v_mov_b32_e32 v15, 0
	s_mov_b32 s10, exec_lo
	s_wait_loadcnt_dscnt 0x0
	s_wait_xcnt 0x0
	v_cmpx_ne_u16_e32 0, v14
	s_cbranch_execz .LBB6_17198
; %bb.17191:                            ;   in Loop: Header=BB6_16878 Depth=2
	v_bfrev_b32_e32 v15, 1
	s_mov_b32 s11, exec_lo
	v_cmpx_ne_u16_e32 0x80, v14
	s_cbranch_execz .LBB6_17197
; %bb.17192:                            ;   in Loop: Header=BB6_16878 Depth=2
	v_and_b32_e32 v17, 0xffff, v14
	v_mov_b32_e32 v15, 0x7f800001
	s_mov_b32 s26, exec_lo
	s_delay_alu instid0(VALU_DEP_2) | instskip(NEXT) | instid1(VALU_DEP_1)
	v_and_b32_e32 v16, 0x7f, v17
	v_cmpx_ne_u32_e32 0x7f, v16
	s_cbranch_execz .LBB6_17196
; %bb.17193:                            ;   in Loop: Header=BB6_16878 Depth=2
	v_dual_lshrrev_b32 v15, 3, v16 :: v_dual_bitop2_b32 v54, 7, v17 bitop3:0x40
	s_mov_b32 s27, exec_lo
	v_cmpx_gt_u32_e32 8, v16
; %bb.17194:                            ;   in Loop: Header=BB6_16878 Depth=2
	s_delay_alu instid0(VALU_DEP_2) | instskip(NEXT) | instid1(VALU_DEP_1)
	v_clz_i32_u32_e32 v15, v54
	v_min_u32_e32 v15, 32, v15
	s_delay_alu instid0(VALU_DEP_1) | instskip(NEXT) | instid1(VALU_DEP_1)
	v_subrev_nc_u32_e32 v16, 28, v15
	v_lshlrev_b64_e32 v[16:17], v16, v[54:55]
	s_delay_alu instid0(VALU_DEP_1)
	v_dual_sub_nc_u32 v15, 29, v15 :: v_dual_bitop2_b32 v54, 7, v16 bitop3:0x40
; %bb.17195:                            ;   in Loop: Header=BB6_16878 Depth=2
	s_or_b32 exec_lo, exec_lo, s27
	v_lshlrev_b32_e32 v14, 24, v14
	s_delay_alu instid0(VALU_DEP_2) | instskip(NEXT) | instid1(VALU_DEP_3)
	v_lshlrev_b32_e32 v16, 20, v54
	v_lshl_add_u32 v15, v15, 23, 0x3c000000
	s_delay_alu instid0(VALU_DEP_3) | instskip(NEXT) | instid1(VALU_DEP_1)
	v_and_b32_e32 v14, 0x80000000, v14
	v_or3_b32 v15, v16, v14, v15
.LBB6_17196:                            ;   in Loop: Header=BB6_16878 Depth=2
	s_or_b32 exec_lo, exec_lo, s26
.LBB6_17197:                            ;   in Loop: Header=BB6_16878 Depth=2
	s_delay_alu instid0(SALU_CYCLE_1)
	s_or_b32 exec_lo, exec_lo, s11
.LBB6_17198:                            ;   in Loop: Header=BB6_16878 Depth=2
	s_delay_alu instid0(SALU_CYCLE_1) | instskip(NEXT) | instid1(VALU_DEP_1)
	s_or_b32 exec_lo, exec_lo, s10
	v_mul_f32_e32 v14, s25, v15
                                        ; implicit-def: $vgpr24
	s_mov_b32 s10, exec_lo
	s_delay_alu instid0(VALU_DEP_1) | instskip(SKIP_1) | instid1(VALU_DEP_2)
	v_and_b32_e32 v54, 0x7f800000, v14
	v_lshrrev_b32_e32 v15, 24, v14
	v_cmpx_ne_u64_e32 0x7f800000, v[54:55]
	s_xor_b32 s11, exec_lo, s10
	s_cbranch_execz .LBB6_17216
; %bb.17199:                            ;   in Loop: Header=BB6_16878 Depth=2
	v_and_b32_e32 v54, 0x7fffffff, v14
	v_and_b32_e32 v25, 0x80, v15
                                        ; implicit-def: $vgpr24
	s_mov_b32 s10, exec_lo
	s_delay_alu instid0(VALU_DEP_2)
	v_cmpx_gt_u64_e32 0x43e00001, v[54:55]
	s_xor_b32 s26, exec_lo, s10
	s_cbranch_execz .LBB6_17213
; %bb.17200:                            ;   in Loop: Header=BB6_16878 Depth=2
	v_mov_b32_e32 v24, 0
	s_mov_b32 s27, exec_lo
	v_cmpx_ne_u32_e32 0, v14
	s_cbranch_execz .LBB6_17212
; %bb.17201:                            ;   in Loop: Header=BB6_16878 Depth=2
	v_bfe_u32 v24, v14, 23, 8
	v_and_b32_e32 v16, 0x7fffff, v14
	s_delay_alu instid0(VALU_DEP_2) | instskip(SKIP_1) | instid1(VALU_DEP_3)
	v_sub_nc_u32_e32 v15, 0x79, v24
	v_cmp_gt_u32_e32 vcc_lo, 0x7a, v24
	v_or_b32_e32 v17, 0x800000, v16
	s_delay_alu instid0(VALU_DEP_3) | instskip(SKIP_1) | instid1(VALU_DEP_2)
	v_cndmask_b32_e32 v15, 0, v15, vcc_lo
	v_cmp_eq_u32_e32 vcc_lo, 0, v24
	v_cndmask_b32_e64 v26, v15, 0x78, vcc_lo
	s_delay_alu instid0(VALU_DEP_1) | instskip(SKIP_1) | instid1(VALU_DEP_2)
	v_dual_cndmask_b32 v54, v17, v16 :: v_dual_add_nc_u32 v27, 19, v26
	v_add_nc_u32_e32 v14, 20, v26
	v_lshlrev_b64_e64 v[16:17], v27, 1
	s_delay_alu instid0(VALU_DEP_2) | instskip(NEXT) | instid1(VALU_DEP_1)
	v_lshlrev_b64_e64 v[14:15], v14, -1
	v_bfi_b32 v29, v15, 0, 0
	s_delay_alu instid0(VALU_DEP_2) | instskip(SKIP_1) | instid1(VALU_DEP_2)
	v_bfi_b32 v28, v14, 0, v54
	v_lshrrev_b64 v[14:15], v26, v[54:55]
	v_cmp_eq_u64_e64 s10, v[28:29], v[16:17]
	s_delay_alu instid0(VALU_DEP_2)
	v_mov_b64_e32 v[16:17], v[14:15]
	s_and_saveexec_b32 s28, s10
; %bb.17202:                            ;   in Loop: Header=BB6_16878 Depth=2
	v_bfe_u32 v54, v14, 20, 1
	s_delay_alu instid0(VALU_DEP_1) | instskip(NEXT) | instid1(VALU_DEP_1)
	v_add_nc_u64_e32 v[16:17], v[14:15], v[54:55]
	v_add_nc_u64_e32 v[16:17], -1, v[16:17]
; %bb.17203:                            ;   in Loop: Header=BB6_16878 Depth=2
	s_or_b32 exec_lo, exec_lo, s28
	v_add_nc_u32_e32 v15, 0xffffff81, v24
	v_lshrrev_b32_e32 v17, 23, v14
	s_mov_b32 s10, exec_lo
	s_delay_alu instid0(VALU_DEP_2) | instskip(NEXT) | instid1(VALU_DEP_1)
	v_cndmask_b32_e64 v15, v15, 0xffffff82, vcc_lo
	v_add3_u32 v17, v26, v15, v17
	v_and_b32_e32 v15, 0xfffff, v16
                                        ; implicit-def: $vgpr16
	s_delay_alu instid0(VALU_DEP_1) | instskip(NEXT) | instid1(VALU_DEP_1)
	v_dual_add_nc_u32 v24, 6, v17 :: v_dual_add_nc_u32 v54, v15, v14
                                        ; implicit-def: $vgpr14_vgpr15
	v_cmpx_ne_u32_e32 0, v24
	s_xor_b32 s10, exec_lo, s10
; %bb.17204:                            ;   in Loop: Header=BB6_16878 Depth=2
	s_delay_alu instid0(VALU_DEP_2) | instskip(SKIP_1) | instid1(VALU_DEP_1)
	v_cmp_lt_u64_e32 vcc_lo, 0xffffff, v[54:55]
	v_add_nc_u32_e32 v14, 7, v17
	v_cndmask_b32_e32 v16, v24, v14, vcc_lo
	v_cndmask_b32_e64 v14, 0, 1, vcc_lo
	s_delay_alu instid0(VALU_DEP_1)
	v_lshrrev_b64 v[14:15], v14, v[54:55]
; %bb.17205:                            ;   in Loop: Header=BB6_16878 Depth=2
	s_and_not1_saveexec_b32 s10, s10
; %bb.17206:                            ;   in Loop: Header=BB6_16878 Depth=2
	v_mov_b64_e32 v[14:15], v[54:55]
	v_bfe_u32 v16, v54, 23, 1
; %bb.17207:                            ;   in Loop: Header=BB6_16878 Depth=2
	s_or_b32 exec_lo, exec_lo, s10
	s_delay_alu instid0(VALU_DEP_2) | instskip(NEXT) | instid1(VALU_DEP_2)
	v_lshrrev_b64 v[14:15], 20, v[14:15]
	v_cmp_gt_i32_e32 vcc_lo, 16, v16
	v_cmp_ne_u32_e64 s10, 0, v16
                                        ; implicit-def: $vgpr24
	s_delay_alu instid0(VALU_DEP_3) | instskip(NEXT) | instid1(VALU_DEP_1)
	v_dual_cndmask_b32 v15, 0, v15 :: v_dual_cndmask_b32 v14, 7, v14
	v_cmp_ne_u64_e32 vcc_lo, 0, v[14:15]
	s_or_b32 s10, s10, vcc_lo
	s_delay_alu instid0(SALU_CYCLE_1) | instskip(NEXT) | instid1(SALU_CYCLE_1)
	s_and_saveexec_b32 s28, s10
	s_xor_b32 s10, exec_lo, s28
; %bb.17208:                            ;   in Loop: Header=BB6_16878 Depth=2
	v_min_i32_e32 v15, 15, v16
	s_delay_alu instid0(VALU_DEP_1) | instskip(NEXT) | instid1(VALU_DEP_1)
	v_lshl_or_b32 v15, v15, 3, v25
                                        ; implicit-def: $vgpr25
	v_and_or_b32 v24, v14, 7, v15
; %bb.17209:                            ;   in Loop: Header=BB6_16878 Depth=2
	s_and_not1_saveexec_b32 s10, s10
; %bb.17210:                            ;   in Loop: Header=BB6_16878 Depth=2
	v_mov_b32_e32 v24, v25
; %bb.17211:                            ;   in Loop: Header=BB6_16878 Depth=2
	s_or_b32 exec_lo, exec_lo, s10
.LBB6_17212:                            ;   in Loop: Header=BB6_16878 Depth=2
	s_delay_alu instid0(SALU_CYCLE_1)
	s_or_b32 exec_lo, exec_lo, s27
                                        ; implicit-def: $vgpr25
.LBB6_17213:                            ;   in Loop: Header=BB6_16878 Depth=2
	s_and_not1_saveexec_b32 s10, s26
; %bb.17214:                            ;   in Loop: Header=BB6_16878 Depth=2
	v_or_b32_e32 v24, 0x7e, v25
; %bb.17215:                            ;   in Loop: Header=BB6_16878 Depth=2
	s_or_b32 exec_lo, exec_lo, s10
                                        ; implicit-def: $vgpr15
.LBB6_17216:                            ;   in Loop: Header=BB6_16878 Depth=2
	s_and_not1_saveexec_b32 s10, s11
; %bb.17217:                            ;   in Loop: Header=BB6_16878 Depth=2
	v_or_b32_e32 v24, 0x7f, v15
; %bb.17218:                            ;   in Loop: Header=BB6_16878 Depth=2
	s_or_b32 exec_lo, exec_lo, s10
	flat_load_u8 v14, v[12:13] offset:384 th:TH_LOAD_NT
	v_mov_b32_e32 v15, 0
	s_mov_b32 s10, exec_lo
	s_wait_loadcnt_dscnt 0x0
	s_wait_xcnt 0x0
	v_cmpx_ne_u16_e32 0, v14
	s_cbranch_execz .LBB6_17226
; %bb.17219:                            ;   in Loop: Header=BB6_16878 Depth=2
	v_bfrev_b32_e32 v15, 1
	s_mov_b32 s11, exec_lo
	v_cmpx_ne_u16_e32 0x80, v14
	s_cbranch_execz .LBB6_17225
; %bb.17220:                            ;   in Loop: Header=BB6_16878 Depth=2
	v_and_b32_e32 v17, 0xffff, v14
	v_mov_b32_e32 v15, 0x7f800001
	s_mov_b32 s26, exec_lo
	s_delay_alu instid0(VALU_DEP_2) | instskip(NEXT) | instid1(VALU_DEP_1)
	v_and_b32_e32 v16, 0x7f, v17
	v_cmpx_ne_u32_e32 0x7f, v16
	s_cbranch_execz .LBB6_17224
; %bb.17221:                            ;   in Loop: Header=BB6_16878 Depth=2
	v_dual_lshrrev_b32 v15, 3, v16 :: v_dual_bitop2_b32 v54, 7, v17 bitop3:0x40
	s_mov_b32 s27, exec_lo
	v_cmpx_gt_u32_e32 8, v16
; %bb.17222:                            ;   in Loop: Header=BB6_16878 Depth=2
	s_delay_alu instid0(VALU_DEP_2) | instskip(NEXT) | instid1(VALU_DEP_1)
	v_clz_i32_u32_e32 v15, v54
	v_min_u32_e32 v15, 32, v15
	s_delay_alu instid0(VALU_DEP_1) | instskip(NEXT) | instid1(VALU_DEP_1)
	v_subrev_nc_u32_e32 v16, 28, v15
	v_lshlrev_b64_e32 v[16:17], v16, v[54:55]
	s_delay_alu instid0(VALU_DEP_1)
	v_dual_sub_nc_u32 v15, 29, v15 :: v_dual_bitop2_b32 v54, 7, v16 bitop3:0x40
; %bb.17223:                            ;   in Loop: Header=BB6_16878 Depth=2
	s_or_b32 exec_lo, exec_lo, s27
	v_lshlrev_b32_e32 v14, 24, v14
	s_delay_alu instid0(VALU_DEP_2) | instskip(NEXT) | instid1(VALU_DEP_3)
	v_lshlrev_b32_e32 v16, 20, v54
	v_lshl_add_u32 v15, v15, 23, 0x3c000000
	s_delay_alu instid0(VALU_DEP_3) | instskip(NEXT) | instid1(VALU_DEP_1)
	v_and_b32_e32 v14, 0x80000000, v14
	v_or3_b32 v15, v16, v14, v15
.LBB6_17224:                            ;   in Loop: Header=BB6_16878 Depth=2
	s_or_b32 exec_lo, exec_lo, s26
.LBB6_17225:                            ;   in Loop: Header=BB6_16878 Depth=2
	s_delay_alu instid0(SALU_CYCLE_1)
	s_or_b32 exec_lo, exec_lo, s11
.LBB6_17226:                            ;   in Loop: Header=BB6_16878 Depth=2
	s_delay_alu instid0(SALU_CYCLE_1) | instskip(NEXT) | instid1(VALU_DEP_1)
	s_or_b32 exec_lo, exec_lo, s10
	v_mul_f32_e32 v14, s25, v15
                                        ; implicit-def: $vgpr25
	s_mov_b32 s10, exec_lo
	s_delay_alu instid0(VALU_DEP_1) | instskip(SKIP_1) | instid1(VALU_DEP_2)
	v_and_b32_e32 v54, 0x7f800000, v14
	v_lshrrev_b32_e32 v15, 24, v14
	v_cmpx_ne_u64_e32 0x7f800000, v[54:55]
	s_xor_b32 s11, exec_lo, s10
	s_cbranch_execz .LBB6_17244
; %bb.17227:                            ;   in Loop: Header=BB6_16878 Depth=2
	v_and_b32_e32 v54, 0x7fffffff, v14
	v_and_b32_e32 v26, 0x80, v15
                                        ; implicit-def: $vgpr25
	s_mov_b32 s10, exec_lo
	s_delay_alu instid0(VALU_DEP_2)
	v_cmpx_gt_u64_e32 0x43e00001, v[54:55]
	s_xor_b32 s26, exec_lo, s10
	s_cbranch_execz .LBB6_17241
; %bb.17228:                            ;   in Loop: Header=BB6_16878 Depth=2
	v_mov_b32_e32 v25, 0
	s_mov_b32 s27, exec_lo
	v_cmpx_ne_u32_e32 0, v14
	s_cbranch_execz .LBB6_17240
; %bb.17229:                            ;   in Loop: Header=BB6_16878 Depth=2
	v_bfe_u32 v25, v14, 23, 8
	v_and_b32_e32 v16, 0x7fffff, v14
	s_delay_alu instid0(VALU_DEP_2) | instskip(NEXT) | instid1(VALU_DEP_2)
	v_cmp_gt_u32_e32 vcc_lo, 0x7a, v25
	v_or_b32_e32 v17, 0x800000, v16
	v_sub_nc_u32_e32 v15, 0x79, v25
	s_delay_alu instid0(VALU_DEP_1) | instskip(SKIP_1) | instid1(VALU_DEP_2)
	v_cndmask_b32_e32 v15, 0, v15, vcc_lo
	v_cmp_eq_u32_e32 vcc_lo, 0, v25
	v_cndmask_b32_e64 v27, v15, 0x78, vcc_lo
	s_delay_alu instid0(VALU_DEP_1) | instskip(SKIP_1) | instid1(VALU_DEP_2)
	v_dual_cndmask_b32 v54, v17, v16, vcc_lo :: v_dual_add_nc_u32 v14, 20, v27
	v_add_nc_u32_e32 v28, 19, v27
	v_lshlrev_b64_e64 v[14:15], v14, -1
	s_delay_alu instid0(VALU_DEP_2) | instskip(NEXT) | instid1(VALU_DEP_2)
	v_lshlrev_b64_e64 v[16:17], v28, 1
	v_bfi_b32 v29, v15, 0, 0
	s_delay_alu instid0(VALU_DEP_3) | instskip(SKIP_1) | instid1(VALU_DEP_2)
	v_bfi_b32 v28, v14, 0, v54
	v_lshrrev_b64 v[14:15], v27, v[54:55]
	v_cmp_eq_u64_e64 s10, v[28:29], v[16:17]
	s_delay_alu instid0(VALU_DEP_2)
	v_mov_b64_e32 v[16:17], v[14:15]
	s_and_saveexec_b32 s28, s10
; %bb.17230:                            ;   in Loop: Header=BB6_16878 Depth=2
	v_bfe_u32 v54, v14, 20, 1
	s_delay_alu instid0(VALU_DEP_1) | instskip(NEXT) | instid1(VALU_DEP_1)
	v_add_nc_u64_e32 v[16:17], v[14:15], v[54:55]
	v_add_nc_u64_e32 v[16:17], -1, v[16:17]
; %bb.17231:                            ;   in Loop: Header=BB6_16878 Depth=2
	s_or_b32 exec_lo, exec_lo, s28
	v_add_nc_u32_e32 v15, 0xffffff81, v25
	v_lshrrev_b32_e32 v17, 23, v14
	s_mov_b32 s10, exec_lo
	s_delay_alu instid0(VALU_DEP_2) | instskip(NEXT) | instid1(VALU_DEP_1)
	v_cndmask_b32_e64 v15, v15, 0xffffff82, vcc_lo
	v_add3_u32 v17, v27, v15, v17
	v_and_b32_e32 v15, 0xfffff, v16
                                        ; implicit-def: $vgpr16
	s_delay_alu instid0(VALU_DEP_1) | instskip(NEXT) | instid1(VALU_DEP_1)
	v_dual_add_nc_u32 v25, 6, v17 :: v_dual_add_nc_u32 v54, v15, v14
                                        ; implicit-def: $vgpr14_vgpr15
	v_cmpx_ne_u32_e32 0, v25
	s_xor_b32 s10, exec_lo, s10
; %bb.17232:                            ;   in Loop: Header=BB6_16878 Depth=2
	s_delay_alu instid0(VALU_DEP_2) | instskip(SKIP_1) | instid1(VALU_DEP_1)
	v_cmp_lt_u64_e32 vcc_lo, 0xffffff, v[54:55]
	v_add_nc_u32_e32 v14, 7, v17
	v_cndmask_b32_e32 v16, v25, v14, vcc_lo
	v_cndmask_b32_e64 v14, 0, 1, vcc_lo
	s_delay_alu instid0(VALU_DEP_1)
	v_lshrrev_b64 v[14:15], v14, v[54:55]
; %bb.17233:                            ;   in Loop: Header=BB6_16878 Depth=2
	s_and_not1_saveexec_b32 s10, s10
; %bb.17234:                            ;   in Loop: Header=BB6_16878 Depth=2
	v_mov_b64_e32 v[14:15], v[54:55]
	v_bfe_u32 v16, v54, 23, 1
; %bb.17235:                            ;   in Loop: Header=BB6_16878 Depth=2
	s_or_b32 exec_lo, exec_lo, s10
	s_delay_alu instid0(VALU_DEP_2) | instskip(NEXT) | instid1(VALU_DEP_2)
	v_lshrrev_b64 v[14:15], 20, v[14:15]
	v_cmp_gt_i32_e32 vcc_lo, 16, v16
	v_cmp_ne_u32_e64 s10, 0, v16
                                        ; implicit-def: $vgpr25
	s_delay_alu instid0(VALU_DEP_3) | instskip(NEXT) | instid1(VALU_DEP_1)
	v_dual_cndmask_b32 v15, 0, v15 :: v_dual_cndmask_b32 v14, 7, v14
	v_cmp_ne_u64_e32 vcc_lo, 0, v[14:15]
	s_or_b32 s10, s10, vcc_lo
	s_delay_alu instid0(SALU_CYCLE_1) | instskip(NEXT) | instid1(SALU_CYCLE_1)
	s_and_saveexec_b32 s28, s10
	s_xor_b32 s10, exec_lo, s28
; %bb.17236:                            ;   in Loop: Header=BB6_16878 Depth=2
	v_min_i32_e32 v15, 15, v16
	s_delay_alu instid0(VALU_DEP_1) | instskip(NEXT) | instid1(VALU_DEP_1)
	v_lshl_or_b32 v15, v15, 3, v26
                                        ; implicit-def: $vgpr26
	v_and_or_b32 v25, v14, 7, v15
; %bb.17237:                            ;   in Loop: Header=BB6_16878 Depth=2
	s_and_not1_saveexec_b32 s10, s10
; %bb.17238:                            ;   in Loop: Header=BB6_16878 Depth=2
	v_mov_b32_e32 v25, v26
; %bb.17239:                            ;   in Loop: Header=BB6_16878 Depth=2
	s_or_b32 exec_lo, exec_lo, s10
.LBB6_17240:                            ;   in Loop: Header=BB6_16878 Depth=2
	s_delay_alu instid0(SALU_CYCLE_1)
	s_or_b32 exec_lo, exec_lo, s27
                                        ; implicit-def: $vgpr26
.LBB6_17241:                            ;   in Loop: Header=BB6_16878 Depth=2
	s_and_not1_saveexec_b32 s10, s26
; %bb.17242:                            ;   in Loop: Header=BB6_16878 Depth=2
	v_or_b32_e32 v25, 0x7e, v26
; %bb.17243:                            ;   in Loop: Header=BB6_16878 Depth=2
	s_or_b32 exec_lo, exec_lo, s10
                                        ; implicit-def: $vgpr15
.LBB6_17244:                            ;   in Loop: Header=BB6_16878 Depth=2
	s_and_not1_saveexec_b32 s10, s11
; %bb.17245:                            ;   in Loop: Header=BB6_16878 Depth=2
	v_or_b32_e32 v25, 0x7f, v15
; %bb.17246:                            ;   in Loop: Header=BB6_16878 Depth=2
	s_or_b32 exec_lo, exec_lo, s10
	flat_load_u8 v14, v[12:13] offset:416 th:TH_LOAD_NT
	v_mov_b32_e32 v15, 0
	s_mov_b32 s10, exec_lo
	s_wait_loadcnt_dscnt 0x0
	s_wait_xcnt 0x0
	v_cmpx_ne_u16_e32 0, v14
	s_cbranch_execz .LBB6_17254
; %bb.17247:                            ;   in Loop: Header=BB6_16878 Depth=2
	v_bfrev_b32_e32 v15, 1
	s_mov_b32 s11, exec_lo
	v_cmpx_ne_u16_e32 0x80, v14
	s_cbranch_execz .LBB6_17253
; %bb.17248:                            ;   in Loop: Header=BB6_16878 Depth=2
	v_and_b32_e32 v17, 0xffff, v14
	v_mov_b32_e32 v15, 0x7f800001
	s_mov_b32 s26, exec_lo
	s_delay_alu instid0(VALU_DEP_2) | instskip(NEXT) | instid1(VALU_DEP_1)
	v_and_b32_e32 v16, 0x7f, v17
	v_cmpx_ne_u32_e32 0x7f, v16
	s_cbranch_execz .LBB6_17252
; %bb.17249:                            ;   in Loop: Header=BB6_16878 Depth=2
	v_dual_lshrrev_b32 v15, 3, v16 :: v_dual_bitop2_b32 v54, 7, v17 bitop3:0x40
	s_mov_b32 s27, exec_lo
	v_cmpx_gt_u32_e32 8, v16
; %bb.17250:                            ;   in Loop: Header=BB6_16878 Depth=2
	s_delay_alu instid0(VALU_DEP_2) | instskip(NEXT) | instid1(VALU_DEP_1)
	v_clz_i32_u32_e32 v15, v54
	v_min_u32_e32 v15, 32, v15
	s_delay_alu instid0(VALU_DEP_1) | instskip(NEXT) | instid1(VALU_DEP_1)
	v_subrev_nc_u32_e32 v16, 28, v15
	v_lshlrev_b64_e32 v[16:17], v16, v[54:55]
	s_delay_alu instid0(VALU_DEP_1)
	v_dual_sub_nc_u32 v15, 29, v15 :: v_dual_bitop2_b32 v54, 7, v16 bitop3:0x40
; %bb.17251:                            ;   in Loop: Header=BB6_16878 Depth=2
	s_or_b32 exec_lo, exec_lo, s27
	v_lshlrev_b32_e32 v14, 24, v14
	s_delay_alu instid0(VALU_DEP_2) | instskip(NEXT) | instid1(VALU_DEP_3)
	v_lshlrev_b32_e32 v16, 20, v54
	v_lshl_add_u32 v15, v15, 23, 0x3c000000
	s_delay_alu instid0(VALU_DEP_3) | instskip(NEXT) | instid1(VALU_DEP_1)
	v_and_b32_e32 v14, 0x80000000, v14
	v_or3_b32 v15, v16, v14, v15
.LBB6_17252:                            ;   in Loop: Header=BB6_16878 Depth=2
	s_or_b32 exec_lo, exec_lo, s26
.LBB6_17253:                            ;   in Loop: Header=BB6_16878 Depth=2
	s_delay_alu instid0(SALU_CYCLE_1)
	s_or_b32 exec_lo, exec_lo, s11
.LBB6_17254:                            ;   in Loop: Header=BB6_16878 Depth=2
	s_delay_alu instid0(SALU_CYCLE_1) | instskip(NEXT) | instid1(VALU_DEP_1)
	s_or_b32 exec_lo, exec_lo, s10
	v_mul_f32_e32 v14, s25, v15
                                        ; implicit-def: $vgpr26
	s_mov_b32 s10, exec_lo
	s_delay_alu instid0(VALU_DEP_1) | instskip(SKIP_1) | instid1(VALU_DEP_2)
	v_and_b32_e32 v54, 0x7f800000, v14
	v_lshrrev_b32_e32 v15, 24, v14
	v_cmpx_ne_u64_e32 0x7f800000, v[54:55]
	s_xor_b32 s11, exec_lo, s10
	s_cbranch_execz .LBB6_17272
; %bb.17255:                            ;   in Loop: Header=BB6_16878 Depth=2
	v_and_b32_e32 v54, 0x7fffffff, v14
	v_and_b32_e32 v27, 0x80, v15
                                        ; implicit-def: $vgpr26
	s_mov_b32 s10, exec_lo
	s_delay_alu instid0(VALU_DEP_2)
	v_cmpx_gt_u64_e32 0x43e00001, v[54:55]
	s_xor_b32 s26, exec_lo, s10
	s_cbranch_execz .LBB6_17269
; %bb.17256:                            ;   in Loop: Header=BB6_16878 Depth=2
	v_mov_b32_e32 v26, 0
	s_mov_b32 s27, exec_lo
	v_cmpx_ne_u32_e32 0, v14
	s_cbranch_execz .LBB6_17268
; %bb.17257:                            ;   in Loop: Header=BB6_16878 Depth=2
	v_bfe_u32 v26, v14, 23, 8
	v_and_b32_e32 v16, 0x7fffff, v14
	s_delay_alu instid0(VALU_DEP_2) | instskip(NEXT) | instid1(VALU_DEP_2)
	v_cmp_gt_u32_e32 vcc_lo, 0x7a, v26
	v_or_b32_e32 v17, 0x800000, v16
	v_sub_nc_u32_e32 v15, 0x79, v26
	s_delay_alu instid0(VALU_DEP_1) | instskip(SKIP_1) | instid1(VALU_DEP_2)
	v_cndmask_b32_e32 v15, 0, v15, vcc_lo
	v_cmp_eq_u32_e32 vcc_lo, 0, v26
	v_cndmask_b32_e64 v28, v15, 0x78, vcc_lo
	v_cndmask_b32_e32 v54, v17, v16, vcc_lo
	s_delay_alu instid0(VALU_DEP_2) | instskip(NEXT) | instid1(VALU_DEP_1)
	v_dual_add_nc_u32 v14, 20, v28 :: v_dual_add_nc_u32 v29, 19, v28
	v_lshlrev_b64_e64 v[14:15], v14, -1
	s_delay_alu instid0(VALU_DEP_2) | instskip(NEXT) | instid1(VALU_DEP_2)
	v_lshlrev_b64_e64 v[16:17], v29, 1
	v_bfi_b32 v31, v15, 0, 0
	s_delay_alu instid0(VALU_DEP_3) | instskip(SKIP_1) | instid1(VALU_DEP_2)
	v_bfi_b32 v30, v14, 0, v54
	v_lshrrev_b64 v[14:15], v28, v[54:55]
	v_cmp_eq_u64_e64 s10, v[30:31], v[16:17]
	s_delay_alu instid0(VALU_DEP_2)
	v_mov_b64_e32 v[16:17], v[14:15]
	s_and_saveexec_b32 s28, s10
; %bb.17258:                            ;   in Loop: Header=BB6_16878 Depth=2
	v_bfe_u32 v54, v14, 20, 1
	s_delay_alu instid0(VALU_DEP_1) | instskip(NEXT) | instid1(VALU_DEP_1)
	v_add_nc_u64_e32 v[16:17], v[14:15], v[54:55]
	v_add_nc_u64_e32 v[16:17], -1, v[16:17]
; %bb.17259:                            ;   in Loop: Header=BB6_16878 Depth=2
	s_or_b32 exec_lo, exec_lo, s28
	v_add_nc_u32_e32 v15, 0xffffff81, v26
	v_lshrrev_b32_e32 v17, 23, v14
	s_mov_b32 s10, exec_lo
	s_delay_alu instid0(VALU_DEP_2) | instskip(NEXT) | instid1(VALU_DEP_1)
	v_cndmask_b32_e64 v15, v15, 0xffffff82, vcc_lo
	v_add3_u32 v17, v28, v15, v17
	v_and_b32_e32 v15, 0xfffff, v16
                                        ; implicit-def: $vgpr16
	s_delay_alu instid0(VALU_DEP_1) | instskip(NEXT) | instid1(VALU_DEP_1)
	v_dual_add_nc_u32 v26, 6, v17 :: v_dual_add_nc_u32 v54, v15, v14
                                        ; implicit-def: $vgpr14_vgpr15
	v_cmpx_ne_u32_e32 0, v26
	s_xor_b32 s10, exec_lo, s10
; %bb.17260:                            ;   in Loop: Header=BB6_16878 Depth=2
	s_delay_alu instid0(VALU_DEP_2) | instskip(SKIP_1) | instid1(VALU_DEP_1)
	v_cmp_lt_u64_e32 vcc_lo, 0xffffff, v[54:55]
	v_add_nc_u32_e32 v14, 7, v17
	v_cndmask_b32_e32 v16, v26, v14, vcc_lo
	v_cndmask_b32_e64 v14, 0, 1, vcc_lo
	s_delay_alu instid0(VALU_DEP_1)
	v_lshrrev_b64 v[14:15], v14, v[54:55]
; %bb.17261:                            ;   in Loop: Header=BB6_16878 Depth=2
	s_and_not1_saveexec_b32 s10, s10
; %bb.17262:                            ;   in Loop: Header=BB6_16878 Depth=2
	v_mov_b64_e32 v[14:15], v[54:55]
	v_bfe_u32 v16, v54, 23, 1
; %bb.17263:                            ;   in Loop: Header=BB6_16878 Depth=2
	s_or_b32 exec_lo, exec_lo, s10
	s_delay_alu instid0(VALU_DEP_2) | instskip(NEXT) | instid1(VALU_DEP_2)
	v_lshrrev_b64 v[14:15], 20, v[14:15]
	v_cmp_gt_i32_e32 vcc_lo, 16, v16
	v_cmp_ne_u32_e64 s10, 0, v16
                                        ; implicit-def: $vgpr26
	s_delay_alu instid0(VALU_DEP_3) | instskip(NEXT) | instid1(VALU_DEP_1)
	v_dual_cndmask_b32 v15, 0, v15 :: v_dual_cndmask_b32 v14, 7, v14
	v_cmp_ne_u64_e32 vcc_lo, 0, v[14:15]
	s_or_b32 s10, s10, vcc_lo
	s_delay_alu instid0(SALU_CYCLE_1) | instskip(NEXT) | instid1(SALU_CYCLE_1)
	s_and_saveexec_b32 s28, s10
	s_xor_b32 s10, exec_lo, s28
; %bb.17264:                            ;   in Loop: Header=BB6_16878 Depth=2
	v_min_i32_e32 v15, 15, v16
	s_delay_alu instid0(VALU_DEP_1) | instskip(NEXT) | instid1(VALU_DEP_1)
	v_lshl_or_b32 v15, v15, 3, v27
                                        ; implicit-def: $vgpr27
	v_and_or_b32 v26, v14, 7, v15
; %bb.17265:                            ;   in Loop: Header=BB6_16878 Depth=2
	s_and_not1_saveexec_b32 s10, s10
; %bb.17266:                            ;   in Loop: Header=BB6_16878 Depth=2
	v_mov_b32_e32 v26, v27
; %bb.17267:                            ;   in Loop: Header=BB6_16878 Depth=2
	s_or_b32 exec_lo, exec_lo, s10
.LBB6_17268:                            ;   in Loop: Header=BB6_16878 Depth=2
	s_delay_alu instid0(SALU_CYCLE_1)
	s_or_b32 exec_lo, exec_lo, s27
                                        ; implicit-def: $vgpr27
.LBB6_17269:                            ;   in Loop: Header=BB6_16878 Depth=2
	s_and_not1_saveexec_b32 s10, s26
; %bb.17270:                            ;   in Loop: Header=BB6_16878 Depth=2
	v_or_b32_e32 v26, 0x7e, v27
; %bb.17271:                            ;   in Loop: Header=BB6_16878 Depth=2
	s_or_b32 exec_lo, exec_lo, s10
                                        ; implicit-def: $vgpr15
.LBB6_17272:                            ;   in Loop: Header=BB6_16878 Depth=2
	s_and_not1_saveexec_b32 s10, s11
; %bb.17273:                            ;   in Loop: Header=BB6_16878 Depth=2
	v_or_b32_e32 v26, 0x7f, v15
; %bb.17274:                            ;   in Loop: Header=BB6_16878 Depth=2
	s_or_b32 exec_lo, exec_lo, s10
	flat_load_u8 v14, v[12:13] offset:448 th:TH_LOAD_NT
	v_mov_b32_e32 v15, 0
	s_mov_b32 s10, exec_lo
	s_wait_loadcnt_dscnt 0x0
	s_wait_xcnt 0x0
	v_cmpx_ne_u16_e32 0, v14
	s_cbranch_execz .LBB6_17282
; %bb.17275:                            ;   in Loop: Header=BB6_16878 Depth=2
	v_bfrev_b32_e32 v15, 1
	s_mov_b32 s11, exec_lo
	v_cmpx_ne_u16_e32 0x80, v14
	s_cbranch_execz .LBB6_17281
; %bb.17276:                            ;   in Loop: Header=BB6_16878 Depth=2
	v_and_b32_e32 v17, 0xffff, v14
	v_mov_b32_e32 v15, 0x7f800001
	s_mov_b32 s26, exec_lo
	s_delay_alu instid0(VALU_DEP_2) | instskip(NEXT) | instid1(VALU_DEP_1)
	v_and_b32_e32 v16, 0x7f, v17
	v_cmpx_ne_u32_e32 0x7f, v16
	s_cbranch_execz .LBB6_17280
; %bb.17277:                            ;   in Loop: Header=BB6_16878 Depth=2
	v_dual_lshrrev_b32 v15, 3, v16 :: v_dual_bitop2_b32 v54, 7, v17 bitop3:0x40
	s_mov_b32 s27, exec_lo
	v_cmpx_gt_u32_e32 8, v16
; %bb.17278:                            ;   in Loop: Header=BB6_16878 Depth=2
	s_delay_alu instid0(VALU_DEP_2) | instskip(NEXT) | instid1(VALU_DEP_1)
	v_clz_i32_u32_e32 v15, v54
	v_min_u32_e32 v15, 32, v15
	s_delay_alu instid0(VALU_DEP_1) | instskip(NEXT) | instid1(VALU_DEP_1)
	v_subrev_nc_u32_e32 v16, 28, v15
	v_lshlrev_b64_e32 v[16:17], v16, v[54:55]
	s_delay_alu instid0(VALU_DEP_1)
	v_dual_sub_nc_u32 v15, 29, v15 :: v_dual_bitop2_b32 v54, 7, v16 bitop3:0x40
; %bb.17279:                            ;   in Loop: Header=BB6_16878 Depth=2
	s_or_b32 exec_lo, exec_lo, s27
	v_lshlrev_b32_e32 v14, 24, v14
	s_delay_alu instid0(VALU_DEP_2) | instskip(NEXT) | instid1(VALU_DEP_3)
	v_lshlrev_b32_e32 v16, 20, v54
	v_lshl_add_u32 v15, v15, 23, 0x3c000000
	s_delay_alu instid0(VALU_DEP_3) | instskip(NEXT) | instid1(VALU_DEP_1)
	v_and_b32_e32 v14, 0x80000000, v14
	v_or3_b32 v15, v16, v14, v15
.LBB6_17280:                            ;   in Loop: Header=BB6_16878 Depth=2
	s_or_b32 exec_lo, exec_lo, s26
.LBB6_17281:                            ;   in Loop: Header=BB6_16878 Depth=2
	s_delay_alu instid0(SALU_CYCLE_1)
	s_or_b32 exec_lo, exec_lo, s11
.LBB6_17282:                            ;   in Loop: Header=BB6_16878 Depth=2
	s_delay_alu instid0(SALU_CYCLE_1) | instskip(NEXT) | instid1(VALU_DEP_1)
	s_or_b32 exec_lo, exec_lo, s10
	v_mul_f32_e32 v14, s25, v15
                                        ; implicit-def: $vgpr27
	s_mov_b32 s10, exec_lo
	s_delay_alu instid0(VALU_DEP_1) | instskip(SKIP_1) | instid1(VALU_DEP_2)
	v_and_b32_e32 v54, 0x7f800000, v14
	v_lshrrev_b32_e32 v15, 24, v14
	v_cmpx_ne_u64_e32 0x7f800000, v[54:55]
	s_xor_b32 s11, exec_lo, s10
	s_cbranch_execz .LBB6_17300
; %bb.17283:                            ;   in Loop: Header=BB6_16878 Depth=2
	v_and_b32_e32 v54, 0x7fffffff, v14
	v_and_b32_e32 v28, 0x80, v15
                                        ; implicit-def: $vgpr27
	s_mov_b32 s10, exec_lo
	s_delay_alu instid0(VALU_DEP_2)
	v_cmpx_gt_u64_e32 0x43e00001, v[54:55]
	s_xor_b32 s26, exec_lo, s10
	s_cbranch_execz .LBB6_17297
; %bb.17284:                            ;   in Loop: Header=BB6_16878 Depth=2
	v_mov_b32_e32 v27, 0
	s_mov_b32 s27, exec_lo
	v_cmpx_ne_u32_e32 0, v14
	s_cbranch_execz .LBB6_17296
; %bb.17285:                            ;   in Loop: Header=BB6_16878 Depth=2
	v_bfe_u32 v27, v14, 23, 8
	v_and_b32_e32 v16, 0x7fffff, v14
	s_delay_alu instid0(VALU_DEP_2) | instskip(NEXT) | instid1(VALU_DEP_2)
	v_cmp_gt_u32_e32 vcc_lo, 0x7a, v27
	v_or_b32_e32 v17, 0x800000, v16
	v_sub_nc_u32_e32 v15, 0x79, v27
	s_delay_alu instid0(VALU_DEP_1) | instskip(SKIP_1) | instid1(VALU_DEP_2)
	v_cndmask_b32_e32 v15, 0, v15, vcc_lo
	v_cmp_eq_u32_e32 vcc_lo, 0, v27
	v_cndmask_b32_e64 v29, v15, 0x78, vcc_lo
	s_delay_alu instid0(VALU_DEP_1) | instskip(SKIP_1) | instid1(VALU_DEP_2)
	v_dual_cndmask_b32 v54, v17, v16, vcc_lo :: v_dual_add_nc_u32 v14, 20, v29
	v_add_nc_u32_e32 v30, 19, v29
	v_lshlrev_b64_e64 v[14:15], v14, -1
	s_delay_alu instid0(VALU_DEP_2) | instskip(NEXT) | instid1(VALU_DEP_2)
	v_lshlrev_b64_e64 v[16:17], v30, 1
	v_bfi_b32 v31, v15, 0, 0
	s_delay_alu instid0(VALU_DEP_3) | instskip(SKIP_1) | instid1(VALU_DEP_2)
	v_bfi_b32 v30, v14, 0, v54
	v_lshrrev_b64 v[14:15], v29, v[54:55]
	v_cmp_eq_u64_e64 s10, v[30:31], v[16:17]
	s_delay_alu instid0(VALU_DEP_2)
	v_mov_b64_e32 v[16:17], v[14:15]
	s_and_saveexec_b32 s28, s10
; %bb.17286:                            ;   in Loop: Header=BB6_16878 Depth=2
	v_bfe_u32 v54, v14, 20, 1
	s_delay_alu instid0(VALU_DEP_1) | instskip(NEXT) | instid1(VALU_DEP_1)
	v_add_nc_u64_e32 v[16:17], v[14:15], v[54:55]
	v_add_nc_u64_e32 v[16:17], -1, v[16:17]
; %bb.17287:                            ;   in Loop: Header=BB6_16878 Depth=2
	s_or_b32 exec_lo, exec_lo, s28
	v_add_nc_u32_e32 v15, 0xffffff81, v27
	v_lshrrev_b32_e32 v17, 23, v14
	s_mov_b32 s10, exec_lo
	s_delay_alu instid0(VALU_DEP_2) | instskip(NEXT) | instid1(VALU_DEP_1)
	v_cndmask_b32_e64 v15, v15, 0xffffff82, vcc_lo
	v_add3_u32 v17, v29, v15, v17
	v_and_b32_e32 v15, 0xfffff, v16
                                        ; implicit-def: $vgpr16
	s_delay_alu instid0(VALU_DEP_1) | instskip(NEXT) | instid1(VALU_DEP_1)
	v_dual_add_nc_u32 v27, 6, v17 :: v_dual_add_nc_u32 v54, v15, v14
                                        ; implicit-def: $vgpr14_vgpr15
	v_cmpx_ne_u32_e32 0, v27
	s_xor_b32 s10, exec_lo, s10
; %bb.17288:                            ;   in Loop: Header=BB6_16878 Depth=2
	s_delay_alu instid0(VALU_DEP_2) | instskip(SKIP_1) | instid1(VALU_DEP_1)
	v_cmp_lt_u64_e32 vcc_lo, 0xffffff, v[54:55]
	v_add_nc_u32_e32 v14, 7, v17
	v_cndmask_b32_e32 v16, v27, v14, vcc_lo
	v_cndmask_b32_e64 v14, 0, 1, vcc_lo
	s_delay_alu instid0(VALU_DEP_1)
	v_lshrrev_b64 v[14:15], v14, v[54:55]
; %bb.17289:                            ;   in Loop: Header=BB6_16878 Depth=2
	s_and_not1_saveexec_b32 s10, s10
; %bb.17290:                            ;   in Loop: Header=BB6_16878 Depth=2
	v_mov_b64_e32 v[14:15], v[54:55]
	v_bfe_u32 v16, v54, 23, 1
; %bb.17291:                            ;   in Loop: Header=BB6_16878 Depth=2
	s_or_b32 exec_lo, exec_lo, s10
	s_delay_alu instid0(VALU_DEP_2) | instskip(NEXT) | instid1(VALU_DEP_2)
	v_lshrrev_b64 v[14:15], 20, v[14:15]
	v_cmp_gt_i32_e32 vcc_lo, 16, v16
	v_cmp_ne_u32_e64 s10, 0, v16
                                        ; implicit-def: $vgpr27
	s_delay_alu instid0(VALU_DEP_3) | instskip(NEXT) | instid1(VALU_DEP_1)
	v_dual_cndmask_b32 v15, 0, v15 :: v_dual_cndmask_b32 v14, 7, v14
	v_cmp_ne_u64_e32 vcc_lo, 0, v[14:15]
	s_or_b32 s10, s10, vcc_lo
	s_delay_alu instid0(SALU_CYCLE_1) | instskip(NEXT) | instid1(SALU_CYCLE_1)
	s_and_saveexec_b32 s28, s10
	s_xor_b32 s10, exec_lo, s28
; %bb.17292:                            ;   in Loop: Header=BB6_16878 Depth=2
	v_min_i32_e32 v15, 15, v16
	s_delay_alu instid0(VALU_DEP_1) | instskip(NEXT) | instid1(VALU_DEP_1)
	v_lshl_or_b32 v15, v15, 3, v28
                                        ; implicit-def: $vgpr28
	v_and_or_b32 v27, v14, 7, v15
; %bb.17293:                            ;   in Loop: Header=BB6_16878 Depth=2
	s_and_not1_saveexec_b32 s10, s10
; %bb.17294:                            ;   in Loop: Header=BB6_16878 Depth=2
	v_mov_b32_e32 v27, v28
; %bb.17295:                            ;   in Loop: Header=BB6_16878 Depth=2
	s_or_b32 exec_lo, exec_lo, s10
.LBB6_17296:                            ;   in Loop: Header=BB6_16878 Depth=2
	s_delay_alu instid0(SALU_CYCLE_1)
	s_or_b32 exec_lo, exec_lo, s27
                                        ; implicit-def: $vgpr28
.LBB6_17297:                            ;   in Loop: Header=BB6_16878 Depth=2
	s_and_not1_saveexec_b32 s10, s26
; %bb.17298:                            ;   in Loop: Header=BB6_16878 Depth=2
	v_or_b32_e32 v27, 0x7e, v28
; %bb.17299:                            ;   in Loop: Header=BB6_16878 Depth=2
	s_or_b32 exec_lo, exec_lo, s10
                                        ; implicit-def: $vgpr15
.LBB6_17300:                            ;   in Loop: Header=BB6_16878 Depth=2
	s_and_not1_saveexec_b32 s10, s11
; %bb.17301:                            ;   in Loop: Header=BB6_16878 Depth=2
	v_or_b32_e32 v27, 0x7f, v15
; %bb.17302:                            ;   in Loop: Header=BB6_16878 Depth=2
	s_or_b32 exec_lo, exec_lo, s10
	flat_load_u8 v14, v[12:13] offset:480 th:TH_LOAD_NT
	v_mov_b32_e32 v15, 0
	s_mov_b32 s10, exec_lo
	s_wait_loadcnt_dscnt 0x0
	s_wait_xcnt 0x0
	v_cmpx_ne_u16_e32 0, v14
	s_cbranch_execz .LBB6_17310
; %bb.17303:                            ;   in Loop: Header=BB6_16878 Depth=2
	v_bfrev_b32_e32 v15, 1
	s_mov_b32 s11, exec_lo
	v_cmpx_ne_u16_e32 0x80, v14
	s_cbranch_execz .LBB6_17309
; %bb.17304:                            ;   in Loop: Header=BB6_16878 Depth=2
	v_and_b32_e32 v17, 0xffff, v14
	v_mov_b32_e32 v15, 0x7f800001
	s_mov_b32 s26, exec_lo
	s_delay_alu instid0(VALU_DEP_2) | instskip(NEXT) | instid1(VALU_DEP_1)
	v_and_b32_e32 v16, 0x7f, v17
	v_cmpx_ne_u32_e32 0x7f, v16
	s_cbranch_execz .LBB6_17308
; %bb.17305:                            ;   in Loop: Header=BB6_16878 Depth=2
	v_dual_lshrrev_b32 v15, 3, v16 :: v_dual_bitop2_b32 v54, 7, v17 bitop3:0x40
	s_mov_b32 s27, exec_lo
	v_cmpx_gt_u32_e32 8, v16
; %bb.17306:                            ;   in Loop: Header=BB6_16878 Depth=2
	s_delay_alu instid0(VALU_DEP_2) | instskip(NEXT) | instid1(VALU_DEP_1)
	v_clz_i32_u32_e32 v15, v54
	v_min_u32_e32 v15, 32, v15
	s_delay_alu instid0(VALU_DEP_1) | instskip(NEXT) | instid1(VALU_DEP_1)
	v_subrev_nc_u32_e32 v16, 28, v15
	v_lshlrev_b64_e32 v[16:17], v16, v[54:55]
	s_delay_alu instid0(VALU_DEP_1)
	v_dual_sub_nc_u32 v15, 29, v15 :: v_dual_bitop2_b32 v54, 7, v16 bitop3:0x40
; %bb.17307:                            ;   in Loop: Header=BB6_16878 Depth=2
	s_or_b32 exec_lo, exec_lo, s27
	v_lshlrev_b32_e32 v14, 24, v14
	s_delay_alu instid0(VALU_DEP_2) | instskip(NEXT) | instid1(VALU_DEP_3)
	v_lshlrev_b32_e32 v16, 20, v54
	v_lshl_add_u32 v15, v15, 23, 0x3c000000
	s_delay_alu instid0(VALU_DEP_3) | instskip(NEXT) | instid1(VALU_DEP_1)
	v_and_b32_e32 v14, 0x80000000, v14
	v_or3_b32 v15, v16, v14, v15
.LBB6_17308:                            ;   in Loop: Header=BB6_16878 Depth=2
	s_or_b32 exec_lo, exec_lo, s26
.LBB6_17309:                            ;   in Loop: Header=BB6_16878 Depth=2
	s_delay_alu instid0(SALU_CYCLE_1)
	s_or_b32 exec_lo, exec_lo, s11
.LBB6_17310:                            ;   in Loop: Header=BB6_16878 Depth=2
	s_delay_alu instid0(SALU_CYCLE_1) | instskip(NEXT) | instid1(VALU_DEP_1)
	s_or_b32 exec_lo, exec_lo, s10
	v_mul_f32_e32 v14, s25, v15
                                        ; implicit-def: $vgpr28
	s_mov_b32 s10, exec_lo
	s_delay_alu instid0(VALU_DEP_1) | instskip(SKIP_1) | instid1(VALU_DEP_2)
	v_and_b32_e32 v54, 0x7f800000, v14
	v_lshrrev_b32_e32 v15, 24, v14
	v_cmpx_ne_u64_e32 0x7f800000, v[54:55]
	s_xor_b32 s11, exec_lo, s10
	s_cbranch_execz .LBB6_17328
; %bb.17311:                            ;   in Loop: Header=BB6_16878 Depth=2
	v_and_b32_e32 v54, 0x7fffffff, v14
	v_and_b32_e32 v29, 0x80, v15
                                        ; implicit-def: $vgpr28
	s_mov_b32 s10, exec_lo
	s_delay_alu instid0(VALU_DEP_2)
	v_cmpx_gt_u64_e32 0x43e00001, v[54:55]
	s_xor_b32 s26, exec_lo, s10
	s_cbranch_execz .LBB6_17325
; %bb.17312:                            ;   in Loop: Header=BB6_16878 Depth=2
	v_mov_b32_e32 v28, 0
	s_mov_b32 s27, exec_lo
	v_cmpx_ne_u32_e32 0, v14
	s_cbranch_execz .LBB6_17324
; %bb.17313:                            ;   in Loop: Header=BB6_16878 Depth=2
	v_bfe_u32 v28, v14, 23, 8
	v_and_b32_e32 v16, 0x7fffff, v14
	s_delay_alu instid0(VALU_DEP_2) | instskip(SKIP_1) | instid1(VALU_DEP_3)
	v_sub_nc_u32_e32 v15, 0x79, v28
	v_cmp_gt_u32_e32 vcc_lo, 0x7a, v28
	v_or_b32_e32 v17, 0x800000, v16
	s_delay_alu instid0(VALU_DEP_3) | instskip(SKIP_1) | instid1(VALU_DEP_2)
	v_cndmask_b32_e32 v15, 0, v15, vcc_lo
	v_cmp_eq_u32_e32 vcc_lo, 0, v28
	v_cndmask_b32_e64 v30, v15, 0x78, vcc_lo
	s_delay_alu instid0(VALU_DEP_1) | instskip(SKIP_1) | instid1(VALU_DEP_2)
	v_dual_cndmask_b32 v54, v17, v16 :: v_dual_add_nc_u32 v31, 19, v30
	v_add_nc_u32_e32 v14, 20, v30
	v_lshlrev_b64_e64 v[16:17], v31, 1
	s_delay_alu instid0(VALU_DEP_2) | instskip(NEXT) | instid1(VALU_DEP_1)
	v_lshlrev_b64_e64 v[14:15], v14, -1
	v_bfi_b32 v35, v15, 0, 0
	s_delay_alu instid0(VALU_DEP_2) | instskip(SKIP_1) | instid1(VALU_DEP_2)
	v_bfi_b32 v34, v14, 0, v54
	v_lshrrev_b64 v[14:15], v30, v[54:55]
	v_cmp_eq_u64_e64 s10, v[34:35], v[16:17]
	s_delay_alu instid0(VALU_DEP_2)
	v_mov_b64_e32 v[16:17], v[14:15]
	s_and_saveexec_b32 s28, s10
; %bb.17314:                            ;   in Loop: Header=BB6_16878 Depth=2
	v_bfe_u32 v54, v14, 20, 1
	s_delay_alu instid0(VALU_DEP_1) | instskip(NEXT) | instid1(VALU_DEP_1)
	v_add_nc_u64_e32 v[16:17], v[14:15], v[54:55]
	v_add_nc_u64_e32 v[16:17], -1, v[16:17]
; %bb.17315:                            ;   in Loop: Header=BB6_16878 Depth=2
	s_or_b32 exec_lo, exec_lo, s28
	v_add_nc_u32_e32 v15, 0xffffff81, v28
	v_lshrrev_b32_e32 v17, 23, v14
	s_mov_b32 s10, exec_lo
	s_delay_alu instid0(VALU_DEP_2) | instskip(NEXT) | instid1(VALU_DEP_1)
	v_cndmask_b32_e64 v15, v15, 0xffffff82, vcc_lo
	v_add3_u32 v17, v30, v15, v17
	v_and_b32_e32 v15, 0xfffff, v16
                                        ; implicit-def: $vgpr16
	s_delay_alu instid0(VALU_DEP_1) | instskip(NEXT) | instid1(VALU_DEP_1)
	v_dual_add_nc_u32 v28, 6, v17 :: v_dual_add_nc_u32 v54, v15, v14
                                        ; implicit-def: $vgpr14_vgpr15
	v_cmpx_ne_u32_e32 0, v28
	s_xor_b32 s10, exec_lo, s10
; %bb.17316:                            ;   in Loop: Header=BB6_16878 Depth=2
	s_delay_alu instid0(VALU_DEP_2) | instskip(SKIP_1) | instid1(VALU_DEP_1)
	v_cmp_lt_u64_e32 vcc_lo, 0xffffff, v[54:55]
	v_add_nc_u32_e32 v14, 7, v17
	v_cndmask_b32_e32 v16, v28, v14, vcc_lo
	v_cndmask_b32_e64 v14, 0, 1, vcc_lo
	s_delay_alu instid0(VALU_DEP_1)
	v_lshrrev_b64 v[14:15], v14, v[54:55]
; %bb.17317:                            ;   in Loop: Header=BB6_16878 Depth=2
	s_and_not1_saveexec_b32 s10, s10
; %bb.17318:                            ;   in Loop: Header=BB6_16878 Depth=2
	v_mov_b64_e32 v[14:15], v[54:55]
	v_bfe_u32 v16, v54, 23, 1
; %bb.17319:                            ;   in Loop: Header=BB6_16878 Depth=2
	s_or_b32 exec_lo, exec_lo, s10
	s_delay_alu instid0(VALU_DEP_2) | instskip(NEXT) | instid1(VALU_DEP_2)
	v_lshrrev_b64 v[14:15], 20, v[14:15]
	v_cmp_gt_i32_e32 vcc_lo, 16, v16
	v_cmp_ne_u32_e64 s10, 0, v16
                                        ; implicit-def: $vgpr28
	s_delay_alu instid0(VALU_DEP_3) | instskip(NEXT) | instid1(VALU_DEP_1)
	v_dual_cndmask_b32 v15, 0, v15 :: v_dual_cndmask_b32 v14, 7, v14
	v_cmp_ne_u64_e32 vcc_lo, 0, v[14:15]
	s_or_b32 s10, s10, vcc_lo
	s_delay_alu instid0(SALU_CYCLE_1) | instskip(NEXT) | instid1(SALU_CYCLE_1)
	s_and_saveexec_b32 s28, s10
	s_xor_b32 s10, exec_lo, s28
; %bb.17320:                            ;   in Loop: Header=BB6_16878 Depth=2
	v_min_i32_e32 v15, 15, v16
	s_delay_alu instid0(VALU_DEP_1) | instskip(NEXT) | instid1(VALU_DEP_1)
	v_lshl_or_b32 v15, v15, 3, v29
                                        ; implicit-def: $vgpr29
	v_and_or_b32 v28, v14, 7, v15
; %bb.17321:                            ;   in Loop: Header=BB6_16878 Depth=2
	s_and_not1_saveexec_b32 s10, s10
; %bb.17322:                            ;   in Loop: Header=BB6_16878 Depth=2
	v_mov_b32_e32 v28, v29
; %bb.17323:                            ;   in Loop: Header=BB6_16878 Depth=2
	s_or_b32 exec_lo, exec_lo, s10
.LBB6_17324:                            ;   in Loop: Header=BB6_16878 Depth=2
	s_delay_alu instid0(SALU_CYCLE_1)
	s_or_b32 exec_lo, exec_lo, s27
                                        ; implicit-def: $vgpr29
.LBB6_17325:                            ;   in Loop: Header=BB6_16878 Depth=2
	s_and_not1_saveexec_b32 s10, s26
; %bb.17326:                            ;   in Loop: Header=BB6_16878 Depth=2
	v_or_b32_e32 v28, 0x7e, v29
; %bb.17327:                            ;   in Loop: Header=BB6_16878 Depth=2
	s_or_b32 exec_lo, exec_lo, s10
                                        ; implicit-def: $vgpr15
.LBB6_17328:                            ;   in Loop: Header=BB6_16878 Depth=2
	s_and_not1_saveexec_b32 s10, s11
; %bb.17329:                            ;   in Loop: Header=BB6_16878 Depth=2
	v_or_b32_e32 v28, 0x7f, v15
; %bb.17330:                            ;   in Loop: Header=BB6_16878 Depth=2
	s_or_b32 exec_lo, exec_lo, s10
	flat_load_u8 v14, v[12:13] offset:512 th:TH_LOAD_NT
	v_mov_b32_e32 v15, 0
	s_mov_b32 s10, exec_lo
	s_wait_loadcnt_dscnt 0x0
	s_wait_xcnt 0x0
	v_cmpx_ne_u16_e32 0, v14
	s_cbranch_execz .LBB6_17338
; %bb.17331:                            ;   in Loop: Header=BB6_16878 Depth=2
	v_bfrev_b32_e32 v15, 1
	s_mov_b32 s11, exec_lo
	v_cmpx_ne_u16_e32 0x80, v14
	s_cbranch_execz .LBB6_17337
; %bb.17332:                            ;   in Loop: Header=BB6_16878 Depth=2
	v_and_b32_e32 v17, 0xffff, v14
	v_mov_b32_e32 v15, 0x7f800001
	s_mov_b32 s26, exec_lo
	s_delay_alu instid0(VALU_DEP_2) | instskip(NEXT) | instid1(VALU_DEP_1)
	v_and_b32_e32 v16, 0x7f, v17
	v_cmpx_ne_u32_e32 0x7f, v16
	s_cbranch_execz .LBB6_17336
; %bb.17333:                            ;   in Loop: Header=BB6_16878 Depth=2
	v_dual_lshrrev_b32 v15, 3, v16 :: v_dual_bitop2_b32 v54, 7, v17 bitop3:0x40
	s_mov_b32 s27, exec_lo
	v_cmpx_gt_u32_e32 8, v16
; %bb.17334:                            ;   in Loop: Header=BB6_16878 Depth=2
	s_delay_alu instid0(VALU_DEP_2) | instskip(NEXT) | instid1(VALU_DEP_1)
	v_clz_i32_u32_e32 v15, v54
	v_min_u32_e32 v15, 32, v15
	s_delay_alu instid0(VALU_DEP_1) | instskip(NEXT) | instid1(VALU_DEP_1)
	v_subrev_nc_u32_e32 v16, 28, v15
	v_lshlrev_b64_e32 v[16:17], v16, v[54:55]
	s_delay_alu instid0(VALU_DEP_1)
	v_dual_sub_nc_u32 v15, 29, v15 :: v_dual_bitop2_b32 v54, 7, v16 bitop3:0x40
; %bb.17335:                            ;   in Loop: Header=BB6_16878 Depth=2
	s_or_b32 exec_lo, exec_lo, s27
	v_lshlrev_b32_e32 v14, 24, v14
	s_delay_alu instid0(VALU_DEP_2) | instskip(NEXT) | instid1(VALU_DEP_3)
	v_lshlrev_b32_e32 v16, 20, v54
	v_lshl_add_u32 v15, v15, 23, 0x3c000000
	s_delay_alu instid0(VALU_DEP_3) | instskip(NEXT) | instid1(VALU_DEP_1)
	v_and_b32_e32 v14, 0x80000000, v14
	v_or3_b32 v15, v16, v14, v15
.LBB6_17336:                            ;   in Loop: Header=BB6_16878 Depth=2
	s_or_b32 exec_lo, exec_lo, s26
.LBB6_17337:                            ;   in Loop: Header=BB6_16878 Depth=2
	s_delay_alu instid0(SALU_CYCLE_1)
	s_or_b32 exec_lo, exec_lo, s11
.LBB6_17338:                            ;   in Loop: Header=BB6_16878 Depth=2
	s_delay_alu instid0(SALU_CYCLE_1) | instskip(NEXT) | instid1(VALU_DEP_1)
	s_or_b32 exec_lo, exec_lo, s10
	v_mul_f32_e32 v14, s25, v15
                                        ; implicit-def: $vgpr29
	s_mov_b32 s10, exec_lo
	s_delay_alu instid0(VALU_DEP_1) | instskip(SKIP_1) | instid1(VALU_DEP_2)
	v_and_b32_e32 v54, 0x7f800000, v14
	v_lshrrev_b32_e32 v15, 24, v14
	v_cmpx_ne_u64_e32 0x7f800000, v[54:55]
	s_xor_b32 s11, exec_lo, s10
	s_cbranch_execz .LBB6_17356
; %bb.17339:                            ;   in Loop: Header=BB6_16878 Depth=2
	v_and_b32_e32 v54, 0x7fffffff, v14
	v_and_b32_e32 v30, 0x80, v15
                                        ; implicit-def: $vgpr29
	s_mov_b32 s10, exec_lo
	s_delay_alu instid0(VALU_DEP_2)
	v_cmpx_gt_u64_e32 0x43e00001, v[54:55]
	s_xor_b32 s26, exec_lo, s10
	s_cbranch_execz .LBB6_17353
; %bb.17340:                            ;   in Loop: Header=BB6_16878 Depth=2
	v_mov_b32_e32 v29, 0
	s_mov_b32 s27, exec_lo
	v_cmpx_ne_u32_e32 0, v14
	s_cbranch_execz .LBB6_17352
; %bb.17341:                            ;   in Loop: Header=BB6_16878 Depth=2
	v_bfe_u32 v29, v14, 23, 8
	v_and_b32_e32 v16, 0x7fffff, v14
	s_delay_alu instid0(VALU_DEP_2) | instskip(NEXT) | instid1(VALU_DEP_2)
	v_cmp_gt_u32_e32 vcc_lo, 0x7a, v29
	v_or_b32_e32 v17, 0x800000, v16
	v_sub_nc_u32_e32 v15, 0x79, v29
	s_delay_alu instid0(VALU_DEP_1) | instskip(SKIP_1) | instid1(VALU_DEP_2)
	v_cndmask_b32_e32 v15, 0, v15, vcc_lo
	v_cmp_eq_u32_e32 vcc_lo, 0, v29
	v_cndmask_b32_e64 v31, v15, 0x78, vcc_lo
	s_delay_alu instid0(VALU_DEP_1) | instskip(SKIP_1) | instid1(VALU_DEP_2)
	v_dual_cndmask_b32 v54, v17, v16, vcc_lo :: v_dual_add_nc_u32 v14, 20, v31
	v_add_nc_u32_e32 v34, 19, v31
	v_lshlrev_b64_e64 v[14:15], v14, -1
	s_delay_alu instid0(VALU_DEP_2) | instskip(NEXT) | instid1(VALU_DEP_2)
	v_lshlrev_b64_e64 v[16:17], v34, 1
	v_bfi_b32 v35, v15, 0, 0
	s_delay_alu instid0(VALU_DEP_3) | instskip(SKIP_1) | instid1(VALU_DEP_2)
	v_bfi_b32 v34, v14, 0, v54
	v_lshrrev_b64 v[14:15], v31, v[54:55]
	v_cmp_eq_u64_e64 s10, v[34:35], v[16:17]
	s_delay_alu instid0(VALU_DEP_2)
	v_mov_b64_e32 v[16:17], v[14:15]
	s_and_saveexec_b32 s28, s10
; %bb.17342:                            ;   in Loop: Header=BB6_16878 Depth=2
	v_bfe_u32 v54, v14, 20, 1
	s_delay_alu instid0(VALU_DEP_1) | instskip(NEXT) | instid1(VALU_DEP_1)
	v_add_nc_u64_e32 v[16:17], v[14:15], v[54:55]
	v_add_nc_u64_e32 v[16:17], -1, v[16:17]
; %bb.17343:                            ;   in Loop: Header=BB6_16878 Depth=2
	s_or_b32 exec_lo, exec_lo, s28
	v_add_nc_u32_e32 v15, 0xffffff81, v29
	v_lshrrev_b32_e32 v17, 23, v14
	s_mov_b32 s10, exec_lo
	s_delay_alu instid0(VALU_DEP_2) | instskip(NEXT) | instid1(VALU_DEP_1)
	v_cndmask_b32_e64 v15, v15, 0xffffff82, vcc_lo
	v_add3_u32 v17, v31, v15, v17
	v_and_b32_e32 v15, 0xfffff, v16
                                        ; implicit-def: $vgpr16
	s_delay_alu instid0(VALU_DEP_1) | instskip(NEXT) | instid1(VALU_DEP_1)
	v_dual_add_nc_u32 v29, 6, v17 :: v_dual_add_nc_u32 v54, v15, v14
                                        ; implicit-def: $vgpr14_vgpr15
	v_cmpx_ne_u32_e32 0, v29
	s_xor_b32 s10, exec_lo, s10
; %bb.17344:                            ;   in Loop: Header=BB6_16878 Depth=2
	s_delay_alu instid0(VALU_DEP_2) | instskip(SKIP_1) | instid1(VALU_DEP_1)
	v_cmp_lt_u64_e32 vcc_lo, 0xffffff, v[54:55]
	v_add_nc_u32_e32 v14, 7, v17
	v_cndmask_b32_e32 v16, v29, v14, vcc_lo
	v_cndmask_b32_e64 v14, 0, 1, vcc_lo
	s_delay_alu instid0(VALU_DEP_1)
	v_lshrrev_b64 v[14:15], v14, v[54:55]
; %bb.17345:                            ;   in Loop: Header=BB6_16878 Depth=2
	s_and_not1_saveexec_b32 s10, s10
; %bb.17346:                            ;   in Loop: Header=BB6_16878 Depth=2
	v_mov_b64_e32 v[14:15], v[54:55]
	v_bfe_u32 v16, v54, 23, 1
; %bb.17347:                            ;   in Loop: Header=BB6_16878 Depth=2
	s_or_b32 exec_lo, exec_lo, s10
	s_delay_alu instid0(VALU_DEP_2) | instskip(NEXT) | instid1(VALU_DEP_2)
	v_lshrrev_b64 v[14:15], 20, v[14:15]
	v_cmp_gt_i32_e32 vcc_lo, 16, v16
	v_cmp_ne_u32_e64 s10, 0, v16
                                        ; implicit-def: $vgpr29
	s_delay_alu instid0(VALU_DEP_3) | instskip(NEXT) | instid1(VALU_DEP_1)
	v_dual_cndmask_b32 v15, 0, v15 :: v_dual_cndmask_b32 v14, 7, v14
	v_cmp_ne_u64_e32 vcc_lo, 0, v[14:15]
	s_or_b32 s10, s10, vcc_lo
	s_delay_alu instid0(SALU_CYCLE_1) | instskip(NEXT) | instid1(SALU_CYCLE_1)
	s_and_saveexec_b32 s28, s10
	s_xor_b32 s10, exec_lo, s28
; %bb.17348:                            ;   in Loop: Header=BB6_16878 Depth=2
	v_min_i32_e32 v15, 15, v16
	s_delay_alu instid0(VALU_DEP_1) | instskip(NEXT) | instid1(VALU_DEP_1)
	v_lshl_or_b32 v15, v15, 3, v30
                                        ; implicit-def: $vgpr30
	v_and_or_b32 v29, v14, 7, v15
; %bb.17349:                            ;   in Loop: Header=BB6_16878 Depth=2
	s_and_not1_saveexec_b32 s10, s10
; %bb.17350:                            ;   in Loop: Header=BB6_16878 Depth=2
	v_mov_b32_e32 v29, v30
; %bb.17351:                            ;   in Loop: Header=BB6_16878 Depth=2
	s_or_b32 exec_lo, exec_lo, s10
.LBB6_17352:                            ;   in Loop: Header=BB6_16878 Depth=2
	s_delay_alu instid0(SALU_CYCLE_1)
	s_or_b32 exec_lo, exec_lo, s27
                                        ; implicit-def: $vgpr30
.LBB6_17353:                            ;   in Loop: Header=BB6_16878 Depth=2
	s_and_not1_saveexec_b32 s10, s26
; %bb.17354:                            ;   in Loop: Header=BB6_16878 Depth=2
	v_or_b32_e32 v29, 0x7e, v30
; %bb.17355:                            ;   in Loop: Header=BB6_16878 Depth=2
	s_or_b32 exec_lo, exec_lo, s10
                                        ; implicit-def: $vgpr15
.LBB6_17356:                            ;   in Loop: Header=BB6_16878 Depth=2
	s_and_not1_saveexec_b32 s10, s11
; %bb.17357:                            ;   in Loop: Header=BB6_16878 Depth=2
	v_or_b32_e32 v29, 0x7f, v15
; %bb.17358:                            ;   in Loop: Header=BB6_16878 Depth=2
	s_or_b32 exec_lo, exec_lo, s10
	flat_load_u8 v14, v[12:13] offset:544 th:TH_LOAD_NT
	v_mov_b32_e32 v15, 0
	s_mov_b32 s10, exec_lo
	s_wait_loadcnt_dscnt 0x0
	s_wait_xcnt 0x0
	v_cmpx_ne_u16_e32 0, v14
	s_cbranch_execz .LBB6_17366
; %bb.17359:                            ;   in Loop: Header=BB6_16878 Depth=2
	v_bfrev_b32_e32 v15, 1
	s_mov_b32 s11, exec_lo
	v_cmpx_ne_u16_e32 0x80, v14
	s_cbranch_execz .LBB6_17365
; %bb.17360:                            ;   in Loop: Header=BB6_16878 Depth=2
	v_and_b32_e32 v17, 0xffff, v14
	v_mov_b32_e32 v15, 0x7f800001
	s_mov_b32 s26, exec_lo
	s_delay_alu instid0(VALU_DEP_2) | instskip(NEXT) | instid1(VALU_DEP_1)
	v_and_b32_e32 v16, 0x7f, v17
	v_cmpx_ne_u32_e32 0x7f, v16
	s_cbranch_execz .LBB6_17364
; %bb.17361:                            ;   in Loop: Header=BB6_16878 Depth=2
	v_dual_lshrrev_b32 v15, 3, v16 :: v_dual_bitop2_b32 v54, 7, v17 bitop3:0x40
	s_mov_b32 s27, exec_lo
	v_cmpx_gt_u32_e32 8, v16
; %bb.17362:                            ;   in Loop: Header=BB6_16878 Depth=2
	s_delay_alu instid0(VALU_DEP_2) | instskip(NEXT) | instid1(VALU_DEP_1)
	v_clz_i32_u32_e32 v15, v54
	v_min_u32_e32 v15, 32, v15
	s_delay_alu instid0(VALU_DEP_1) | instskip(NEXT) | instid1(VALU_DEP_1)
	v_subrev_nc_u32_e32 v16, 28, v15
	v_lshlrev_b64_e32 v[16:17], v16, v[54:55]
	s_delay_alu instid0(VALU_DEP_1)
	v_dual_sub_nc_u32 v15, 29, v15 :: v_dual_bitop2_b32 v54, 7, v16 bitop3:0x40
; %bb.17363:                            ;   in Loop: Header=BB6_16878 Depth=2
	s_or_b32 exec_lo, exec_lo, s27
	v_lshlrev_b32_e32 v14, 24, v14
	s_delay_alu instid0(VALU_DEP_2) | instskip(NEXT) | instid1(VALU_DEP_3)
	v_lshlrev_b32_e32 v16, 20, v54
	v_lshl_add_u32 v15, v15, 23, 0x3c000000
	s_delay_alu instid0(VALU_DEP_3) | instskip(NEXT) | instid1(VALU_DEP_1)
	v_and_b32_e32 v14, 0x80000000, v14
	v_or3_b32 v15, v16, v14, v15
.LBB6_17364:                            ;   in Loop: Header=BB6_16878 Depth=2
	s_or_b32 exec_lo, exec_lo, s26
.LBB6_17365:                            ;   in Loop: Header=BB6_16878 Depth=2
	s_delay_alu instid0(SALU_CYCLE_1)
	s_or_b32 exec_lo, exec_lo, s11
.LBB6_17366:                            ;   in Loop: Header=BB6_16878 Depth=2
	s_delay_alu instid0(SALU_CYCLE_1) | instskip(NEXT) | instid1(VALU_DEP_1)
	s_or_b32 exec_lo, exec_lo, s10
	v_mul_f32_e32 v14, s25, v15
                                        ; implicit-def: $vgpr30
	s_mov_b32 s10, exec_lo
	s_delay_alu instid0(VALU_DEP_1) | instskip(SKIP_1) | instid1(VALU_DEP_2)
	v_and_b32_e32 v54, 0x7f800000, v14
	v_lshrrev_b32_e32 v15, 24, v14
	v_cmpx_ne_u64_e32 0x7f800000, v[54:55]
	s_xor_b32 s11, exec_lo, s10
	s_cbranch_execz .LBB6_17384
; %bb.17367:                            ;   in Loop: Header=BB6_16878 Depth=2
	v_and_b32_e32 v54, 0x7fffffff, v14
	v_and_b32_e32 v31, 0x80, v15
                                        ; implicit-def: $vgpr30
	s_mov_b32 s10, exec_lo
	s_delay_alu instid0(VALU_DEP_2)
	v_cmpx_gt_u64_e32 0x43e00001, v[54:55]
	s_xor_b32 s26, exec_lo, s10
	s_cbranch_execz .LBB6_17381
; %bb.17368:                            ;   in Loop: Header=BB6_16878 Depth=2
	v_mov_b32_e32 v30, 0
	s_mov_b32 s27, exec_lo
	v_cmpx_ne_u32_e32 0, v14
	s_cbranch_execz .LBB6_17380
; %bb.17369:                            ;   in Loop: Header=BB6_16878 Depth=2
	v_bfe_u32 v30, v14, 23, 8
	v_and_b32_e32 v16, 0x7fffff, v14
	s_delay_alu instid0(VALU_DEP_2) | instskip(NEXT) | instid1(VALU_DEP_2)
	v_cmp_gt_u32_e32 vcc_lo, 0x7a, v30
	v_or_b32_e32 v17, 0x800000, v16
	v_sub_nc_u32_e32 v15, 0x79, v30
	s_delay_alu instid0(VALU_DEP_1) | instskip(SKIP_1) | instid1(VALU_DEP_2)
	v_cndmask_b32_e32 v15, 0, v15, vcc_lo
	v_cmp_eq_u32_e32 vcc_lo, 0, v30
	v_cndmask_b32_e64 v34, v15, 0x78, vcc_lo
	s_delay_alu instid0(VALU_DEP_1) | instskip(SKIP_1) | instid1(VALU_DEP_2)
	v_dual_cndmask_b32 v54, v17, v16, vcc_lo :: v_dual_add_nc_u32 v14, 20, v34
	v_add_nc_u32_e32 v35, 19, v34
	v_lshlrev_b64_e64 v[14:15], v14, -1
	s_delay_alu instid0(VALU_DEP_2) | instskip(NEXT) | instid1(VALU_DEP_2)
	v_lshlrev_b64_e64 v[16:17], v35, 1
	v_bfi_b32 v37, v15, 0, 0
	s_delay_alu instid0(VALU_DEP_3) | instskip(SKIP_1) | instid1(VALU_DEP_2)
	v_bfi_b32 v36, v14, 0, v54
	v_lshrrev_b64 v[14:15], v34, v[54:55]
	v_cmp_eq_u64_e64 s10, v[36:37], v[16:17]
	s_delay_alu instid0(VALU_DEP_2)
	v_mov_b64_e32 v[16:17], v[14:15]
	s_and_saveexec_b32 s28, s10
; %bb.17370:                            ;   in Loop: Header=BB6_16878 Depth=2
	v_bfe_u32 v54, v14, 20, 1
	s_delay_alu instid0(VALU_DEP_1) | instskip(NEXT) | instid1(VALU_DEP_1)
	v_add_nc_u64_e32 v[16:17], v[14:15], v[54:55]
	v_add_nc_u64_e32 v[16:17], -1, v[16:17]
; %bb.17371:                            ;   in Loop: Header=BB6_16878 Depth=2
	s_or_b32 exec_lo, exec_lo, s28
	v_add_nc_u32_e32 v15, 0xffffff81, v30
	v_lshrrev_b32_e32 v17, 23, v14
	s_mov_b32 s10, exec_lo
	s_delay_alu instid0(VALU_DEP_2) | instskip(NEXT) | instid1(VALU_DEP_1)
	v_cndmask_b32_e64 v15, v15, 0xffffff82, vcc_lo
	v_add3_u32 v17, v34, v15, v17
	v_and_b32_e32 v15, 0xfffff, v16
                                        ; implicit-def: $vgpr16
	s_delay_alu instid0(VALU_DEP_1) | instskip(NEXT) | instid1(VALU_DEP_1)
	v_dual_add_nc_u32 v30, 6, v17 :: v_dual_add_nc_u32 v54, v15, v14
                                        ; implicit-def: $vgpr14_vgpr15
	v_cmpx_ne_u32_e32 0, v30
	s_xor_b32 s10, exec_lo, s10
; %bb.17372:                            ;   in Loop: Header=BB6_16878 Depth=2
	s_delay_alu instid0(VALU_DEP_2) | instskip(SKIP_1) | instid1(VALU_DEP_1)
	v_cmp_lt_u64_e32 vcc_lo, 0xffffff, v[54:55]
	v_add_nc_u32_e32 v14, 7, v17
	v_cndmask_b32_e32 v16, v30, v14, vcc_lo
	v_cndmask_b32_e64 v14, 0, 1, vcc_lo
	s_delay_alu instid0(VALU_DEP_1)
	v_lshrrev_b64 v[14:15], v14, v[54:55]
; %bb.17373:                            ;   in Loop: Header=BB6_16878 Depth=2
	s_and_not1_saveexec_b32 s10, s10
; %bb.17374:                            ;   in Loop: Header=BB6_16878 Depth=2
	v_mov_b64_e32 v[14:15], v[54:55]
	v_bfe_u32 v16, v54, 23, 1
; %bb.17375:                            ;   in Loop: Header=BB6_16878 Depth=2
	s_or_b32 exec_lo, exec_lo, s10
	s_delay_alu instid0(VALU_DEP_2) | instskip(NEXT) | instid1(VALU_DEP_2)
	v_lshrrev_b64 v[14:15], 20, v[14:15]
	v_cmp_gt_i32_e32 vcc_lo, 16, v16
	v_cmp_ne_u32_e64 s10, 0, v16
                                        ; implicit-def: $vgpr30
	s_delay_alu instid0(VALU_DEP_3) | instskip(NEXT) | instid1(VALU_DEP_1)
	v_dual_cndmask_b32 v15, 0, v15 :: v_dual_cndmask_b32 v14, 7, v14
	v_cmp_ne_u64_e32 vcc_lo, 0, v[14:15]
	s_or_b32 s10, s10, vcc_lo
	s_delay_alu instid0(SALU_CYCLE_1) | instskip(NEXT) | instid1(SALU_CYCLE_1)
	s_and_saveexec_b32 s28, s10
	s_xor_b32 s10, exec_lo, s28
; %bb.17376:                            ;   in Loop: Header=BB6_16878 Depth=2
	v_min_i32_e32 v15, 15, v16
	s_delay_alu instid0(VALU_DEP_1) | instskip(NEXT) | instid1(VALU_DEP_1)
	v_lshl_or_b32 v15, v15, 3, v31
                                        ; implicit-def: $vgpr31
	v_and_or_b32 v30, v14, 7, v15
; %bb.17377:                            ;   in Loop: Header=BB6_16878 Depth=2
	s_and_not1_saveexec_b32 s10, s10
; %bb.17378:                            ;   in Loop: Header=BB6_16878 Depth=2
	v_mov_b32_e32 v30, v31
; %bb.17379:                            ;   in Loop: Header=BB6_16878 Depth=2
	s_or_b32 exec_lo, exec_lo, s10
.LBB6_17380:                            ;   in Loop: Header=BB6_16878 Depth=2
	s_delay_alu instid0(SALU_CYCLE_1)
	s_or_b32 exec_lo, exec_lo, s27
                                        ; implicit-def: $vgpr31
.LBB6_17381:                            ;   in Loop: Header=BB6_16878 Depth=2
	s_and_not1_saveexec_b32 s10, s26
; %bb.17382:                            ;   in Loop: Header=BB6_16878 Depth=2
	v_or_b32_e32 v30, 0x7e, v31
; %bb.17383:                            ;   in Loop: Header=BB6_16878 Depth=2
	s_or_b32 exec_lo, exec_lo, s10
                                        ; implicit-def: $vgpr15
.LBB6_17384:                            ;   in Loop: Header=BB6_16878 Depth=2
	s_and_not1_saveexec_b32 s10, s11
; %bb.17385:                            ;   in Loop: Header=BB6_16878 Depth=2
	v_or_b32_e32 v30, 0x7f, v15
; %bb.17386:                            ;   in Loop: Header=BB6_16878 Depth=2
	s_or_b32 exec_lo, exec_lo, s10
	flat_load_u8 v14, v[12:13] offset:576 th:TH_LOAD_NT
	v_mov_b32_e32 v15, 0
	s_mov_b32 s10, exec_lo
	s_wait_loadcnt_dscnt 0x0
	s_wait_xcnt 0x0
	v_cmpx_ne_u16_e32 0, v14
	s_cbranch_execz .LBB6_17394
; %bb.17387:                            ;   in Loop: Header=BB6_16878 Depth=2
	v_bfrev_b32_e32 v15, 1
	s_mov_b32 s11, exec_lo
	v_cmpx_ne_u16_e32 0x80, v14
	s_cbranch_execz .LBB6_17393
; %bb.17388:                            ;   in Loop: Header=BB6_16878 Depth=2
	v_and_b32_e32 v17, 0xffff, v14
	v_mov_b32_e32 v15, 0x7f800001
	s_mov_b32 s26, exec_lo
	s_delay_alu instid0(VALU_DEP_2) | instskip(NEXT) | instid1(VALU_DEP_1)
	v_and_b32_e32 v16, 0x7f, v17
	v_cmpx_ne_u32_e32 0x7f, v16
	s_cbranch_execz .LBB6_17392
; %bb.17389:                            ;   in Loop: Header=BB6_16878 Depth=2
	v_dual_lshrrev_b32 v15, 3, v16 :: v_dual_bitop2_b32 v54, 7, v17 bitop3:0x40
	s_mov_b32 s27, exec_lo
	v_cmpx_gt_u32_e32 8, v16
; %bb.17390:                            ;   in Loop: Header=BB6_16878 Depth=2
	s_delay_alu instid0(VALU_DEP_2) | instskip(NEXT) | instid1(VALU_DEP_1)
	v_clz_i32_u32_e32 v15, v54
	v_min_u32_e32 v15, 32, v15
	s_delay_alu instid0(VALU_DEP_1) | instskip(NEXT) | instid1(VALU_DEP_1)
	v_subrev_nc_u32_e32 v16, 28, v15
	v_lshlrev_b64_e32 v[16:17], v16, v[54:55]
	s_delay_alu instid0(VALU_DEP_1)
	v_dual_sub_nc_u32 v15, 29, v15 :: v_dual_bitop2_b32 v54, 7, v16 bitop3:0x40
; %bb.17391:                            ;   in Loop: Header=BB6_16878 Depth=2
	s_or_b32 exec_lo, exec_lo, s27
	v_lshlrev_b32_e32 v14, 24, v14
	s_delay_alu instid0(VALU_DEP_2) | instskip(NEXT) | instid1(VALU_DEP_3)
	v_lshlrev_b32_e32 v16, 20, v54
	v_lshl_add_u32 v15, v15, 23, 0x3c000000
	s_delay_alu instid0(VALU_DEP_3) | instskip(NEXT) | instid1(VALU_DEP_1)
	v_and_b32_e32 v14, 0x80000000, v14
	v_or3_b32 v15, v16, v14, v15
.LBB6_17392:                            ;   in Loop: Header=BB6_16878 Depth=2
	s_or_b32 exec_lo, exec_lo, s26
.LBB6_17393:                            ;   in Loop: Header=BB6_16878 Depth=2
	s_delay_alu instid0(SALU_CYCLE_1)
	s_or_b32 exec_lo, exec_lo, s11
.LBB6_17394:                            ;   in Loop: Header=BB6_16878 Depth=2
	s_delay_alu instid0(SALU_CYCLE_1) | instskip(NEXT) | instid1(VALU_DEP_1)
	s_or_b32 exec_lo, exec_lo, s10
	v_mul_f32_e32 v14, s25, v15
                                        ; implicit-def: $vgpr31
	s_mov_b32 s10, exec_lo
	s_delay_alu instid0(VALU_DEP_1) | instskip(SKIP_1) | instid1(VALU_DEP_2)
	v_and_b32_e32 v54, 0x7f800000, v14
	v_lshrrev_b32_e32 v15, 24, v14
	v_cmpx_ne_u64_e32 0x7f800000, v[54:55]
	s_xor_b32 s11, exec_lo, s10
	s_cbranch_execz .LBB6_17412
; %bb.17395:                            ;   in Loop: Header=BB6_16878 Depth=2
	v_and_b32_e32 v54, 0x7fffffff, v14
	v_and_b32_e32 v34, 0x80, v15
                                        ; implicit-def: $vgpr31
	s_mov_b32 s10, exec_lo
	s_delay_alu instid0(VALU_DEP_2)
	v_cmpx_gt_u64_e32 0x43e00001, v[54:55]
	s_xor_b32 s26, exec_lo, s10
	s_cbranch_execz .LBB6_17409
; %bb.17396:                            ;   in Loop: Header=BB6_16878 Depth=2
	v_mov_b32_e32 v31, 0
	s_mov_b32 s27, exec_lo
	v_cmpx_ne_u32_e32 0, v14
	s_cbranch_execz .LBB6_17408
; %bb.17397:                            ;   in Loop: Header=BB6_16878 Depth=2
	v_bfe_u32 v31, v14, 23, 8
	v_and_b32_e32 v16, 0x7fffff, v14
	s_delay_alu instid0(VALU_DEP_2) | instskip(NEXT) | instid1(VALU_DEP_2)
	v_cmp_gt_u32_e32 vcc_lo, 0x7a, v31
	v_or_b32_e32 v17, 0x800000, v16
	v_sub_nc_u32_e32 v15, 0x79, v31
	s_delay_alu instid0(VALU_DEP_1) | instskip(SKIP_1) | instid1(VALU_DEP_2)
	v_cndmask_b32_e32 v15, 0, v15, vcc_lo
	v_cmp_eq_u32_e32 vcc_lo, 0, v31
	v_cndmask_b32_e64 v35, v15, 0x78, vcc_lo
	s_delay_alu instid0(VALU_DEP_1) | instskip(SKIP_1) | instid1(VALU_DEP_2)
	v_dual_cndmask_b32 v54, v17, v16, vcc_lo :: v_dual_add_nc_u32 v14, 20, v35
	v_add_nc_u32_e32 v36, 19, v35
	v_lshlrev_b64_e64 v[14:15], v14, -1
	s_delay_alu instid0(VALU_DEP_2) | instskip(NEXT) | instid1(VALU_DEP_2)
	v_lshlrev_b64_e64 v[16:17], v36, 1
	v_bfi_b32 v37, v15, 0, 0
	s_delay_alu instid0(VALU_DEP_3) | instskip(SKIP_1) | instid1(VALU_DEP_2)
	v_bfi_b32 v36, v14, 0, v54
	v_lshrrev_b64 v[14:15], v35, v[54:55]
	v_cmp_eq_u64_e64 s10, v[36:37], v[16:17]
	s_delay_alu instid0(VALU_DEP_2)
	v_mov_b64_e32 v[16:17], v[14:15]
	s_and_saveexec_b32 s28, s10
; %bb.17398:                            ;   in Loop: Header=BB6_16878 Depth=2
	v_bfe_u32 v54, v14, 20, 1
	s_delay_alu instid0(VALU_DEP_1) | instskip(NEXT) | instid1(VALU_DEP_1)
	v_add_nc_u64_e32 v[16:17], v[14:15], v[54:55]
	v_add_nc_u64_e32 v[16:17], -1, v[16:17]
; %bb.17399:                            ;   in Loop: Header=BB6_16878 Depth=2
	s_or_b32 exec_lo, exec_lo, s28
	v_add_nc_u32_e32 v15, 0xffffff81, v31
	v_lshrrev_b32_e32 v17, 23, v14
	s_mov_b32 s10, exec_lo
	s_delay_alu instid0(VALU_DEP_2) | instskip(NEXT) | instid1(VALU_DEP_1)
	v_cndmask_b32_e64 v15, v15, 0xffffff82, vcc_lo
	v_add3_u32 v17, v35, v15, v17
	v_and_b32_e32 v15, 0xfffff, v16
                                        ; implicit-def: $vgpr16
	s_delay_alu instid0(VALU_DEP_1) | instskip(NEXT) | instid1(VALU_DEP_1)
	v_dual_add_nc_u32 v31, 6, v17 :: v_dual_add_nc_u32 v54, v15, v14
                                        ; implicit-def: $vgpr14_vgpr15
	v_cmpx_ne_u32_e32 0, v31
	s_xor_b32 s10, exec_lo, s10
; %bb.17400:                            ;   in Loop: Header=BB6_16878 Depth=2
	s_delay_alu instid0(VALU_DEP_2) | instskip(SKIP_1) | instid1(VALU_DEP_1)
	v_cmp_lt_u64_e32 vcc_lo, 0xffffff, v[54:55]
	v_add_nc_u32_e32 v14, 7, v17
	v_cndmask_b32_e32 v16, v31, v14, vcc_lo
	v_cndmask_b32_e64 v14, 0, 1, vcc_lo
	s_delay_alu instid0(VALU_DEP_1)
	v_lshrrev_b64 v[14:15], v14, v[54:55]
; %bb.17401:                            ;   in Loop: Header=BB6_16878 Depth=2
	s_and_not1_saveexec_b32 s10, s10
; %bb.17402:                            ;   in Loop: Header=BB6_16878 Depth=2
	v_mov_b64_e32 v[14:15], v[54:55]
	v_bfe_u32 v16, v54, 23, 1
; %bb.17403:                            ;   in Loop: Header=BB6_16878 Depth=2
	s_or_b32 exec_lo, exec_lo, s10
	s_delay_alu instid0(VALU_DEP_2) | instskip(NEXT) | instid1(VALU_DEP_2)
	v_lshrrev_b64 v[14:15], 20, v[14:15]
	v_cmp_gt_i32_e32 vcc_lo, 16, v16
	v_cmp_ne_u32_e64 s10, 0, v16
                                        ; implicit-def: $vgpr31
	s_delay_alu instid0(VALU_DEP_3) | instskip(NEXT) | instid1(VALU_DEP_1)
	v_dual_cndmask_b32 v15, 0, v15 :: v_dual_cndmask_b32 v14, 7, v14
	v_cmp_ne_u64_e32 vcc_lo, 0, v[14:15]
	s_or_b32 s10, s10, vcc_lo
	s_delay_alu instid0(SALU_CYCLE_1) | instskip(NEXT) | instid1(SALU_CYCLE_1)
	s_and_saveexec_b32 s28, s10
	s_xor_b32 s10, exec_lo, s28
; %bb.17404:                            ;   in Loop: Header=BB6_16878 Depth=2
	v_min_i32_e32 v15, 15, v16
	s_delay_alu instid0(VALU_DEP_1) | instskip(NEXT) | instid1(VALU_DEP_1)
	v_lshl_or_b32 v15, v15, 3, v34
                                        ; implicit-def: $vgpr34
	v_and_or_b32 v31, v14, 7, v15
; %bb.17405:                            ;   in Loop: Header=BB6_16878 Depth=2
	s_and_not1_saveexec_b32 s10, s10
; %bb.17406:                            ;   in Loop: Header=BB6_16878 Depth=2
	v_mov_b32_e32 v31, v34
; %bb.17407:                            ;   in Loop: Header=BB6_16878 Depth=2
	s_or_b32 exec_lo, exec_lo, s10
.LBB6_17408:                            ;   in Loop: Header=BB6_16878 Depth=2
	s_delay_alu instid0(SALU_CYCLE_1)
	s_or_b32 exec_lo, exec_lo, s27
                                        ; implicit-def: $vgpr34
.LBB6_17409:                            ;   in Loop: Header=BB6_16878 Depth=2
	s_and_not1_saveexec_b32 s10, s26
; %bb.17410:                            ;   in Loop: Header=BB6_16878 Depth=2
	v_or_b32_e32 v31, 0x7e, v34
; %bb.17411:                            ;   in Loop: Header=BB6_16878 Depth=2
	s_or_b32 exec_lo, exec_lo, s10
                                        ; implicit-def: $vgpr15
.LBB6_17412:                            ;   in Loop: Header=BB6_16878 Depth=2
	s_and_not1_saveexec_b32 s10, s11
; %bb.17413:                            ;   in Loop: Header=BB6_16878 Depth=2
	v_or_b32_e32 v31, 0x7f, v15
; %bb.17414:                            ;   in Loop: Header=BB6_16878 Depth=2
	s_or_b32 exec_lo, exec_lo, s10
	flat_load_u8 v14, v[12:13] offset:608 th:TH_LOAD_NT
	v_mov_b32_e32 v15, 0
	s_mov_b32 s10, exec_lo
	s_wait_loadcnt_dscnt 0x0
	s_wait_xcnt 0x0
	v_cmpx_ne_u16_e32 0, v14
	s_cbranch_execz .LBB6_17422
; %bb.17415:                            ;   in Loop: Header=BB6_16878 Depth=2
	v_bfrev_b32_e32 v15, 1
	s_mov_b32 s11, exec_lo
	v_cmpx_ne_u16_e32 0x80, v14
	s_cbranch_execz .LBB6_17421
; %bb.17416:                            ;   in Loop: Header=BB6_16878 Depth=2
	v_and_b32_e32 v17, 0xffff, v14
	v_mov_b32_e32 v15, 0x7f800001
	s_mov_b32 s26, exec_lo
	s_delay_alu instid0(VALU_DEP_2) | instskip(NEXT) | instid1(VALU_DEP_1)
	v_and_b32_e32 v16, 0x7f, v17
	v_cmpx_ne_u32_e32 0x7f, v16
	s_cbranch_execz .LBB6_17420
; %bb.17417:                            ;   in Loop: Header=BB6_16878 Depth=2
	v_dual_lshrrev_b32 v15, 3, v16 :: v_dual_bitop2_b32 v54, 7, v17 bitop3:0x40
	s_mov_b32 s27, exec_lo
	v_cmpx_gt_u32_e32 8, v16
; %bb.17418:                            ;   in Loop: Header=BB6_16878 Depth=2
	s_delay_alu instid0(VALU_DEP_2) | instskip(NEXT) | instid1(VALU_DEP_1)
	v_clz_i32_u32_e32 v15, v54
	v_min_u32_e32 v15, 32, v15
	s_delay_alu instid0(VALU_DEP_1) | instskip(NEXT) | instid1(VALU_DEP_1)
	v_subrev_nc_u32_e32 v16, 28, v15
	v_lshlrev_b64_e32 v[16:17], v16, v[54:55]
	s_delay_alu instid0(VALU_DEP_1)
	v_dual_sub_nc_u32 v15, 29, v15 :: v_dual_bitop2_b32 v54, 7, v16 bitop3:0x40
; %bb.17419:                            ;   in Loop: Header=BB6_16878 Depth=2
	s_or_b32 exec_lo, exec_lo, s27
	v_lshlrev_b32_e32 v14, 24, v14
	s_delay_alu instid0(VALU_DEP_2) | instskip(NEXT) | instid1(VALU_DEP_3)
	v_lshlrev_b32_e32 v16, 20, v54
	v_lshl_add_u32 v15, v15, 23, 0x3c000000
	s_delay_alu instid0(VALU_DEP_3) | instskip(NEXT) | instid1(VALU_DEP_1)
	v_and_b32_e32 v14, 0x80000000, v14
	v_or3_b32 v15, v16, v14, v15
.LBB6_17420:                            ;   in Loop: Header=BB6_16878 Depth=2
	s_or_b32 exec_lo, exec_lo, s26
.LBB6_17421:                            ;   in Loop: Header=BB6_16878 Depth=2
	s_delay_alu instid0(SALU_CYCLE_1)
	s_or_b32 exec_lo, exec_lo, s11
.LBB6_17422:                            ;   in Loop: Header=BB6_16878 Depth=2
	s_delay_alu instid0(SALU_CYCLE_1) | instskip(NEXT) | instid1(VALU_DEP_1)
	s_or_b32 exec_lo, exec_lo, s10
	v_mul_f32_e32 v14, s25, v15
                                        ; implicit-def: $vgpr34
	s_mov_b32 s10, exec_lo
	s_delay_alu instid0(VALU_DEP_1) | instskip(SKIP_1) | instid1(VALU_DEP_2)
	v_and_b32_e32 v54, 0x7f800000, v14
	v_lshrrev_b32_e32 v15, 24, v14
	v_cmpx_ne_u64_e32 0x7f800000, v[54:55]
	s_xor_b32 s11, exec_lo, s10
	s_cbranch_execz .LBB6_17440
; %bb.17423:                            ;   in Loop: Header=BB6_16878 Depth=2
	v_and_b32_e32 v54, 0x7fffffff, v14
	v_and_b32_e32 v35, 0x80, v15
                                        ; implicit-def: $vgpr34
	s_mov_b32 s10, exec_lo
	s_delay_alu instid0(VALU_DEP_2)
	v_cmpx_gt_u64_e32 0x43e00001, v[54:55]
	s_xor_b32 s26, exec_lo, s10
	s_cbranch_execz .LBB6_17437
; %bb.17424:                            ;   in Loop: Header=BB6_16878 Depth=2
	v_mov_b32_e32 v34, 0
	s_mov_b32 s27, exec_lo
	v_cmpx_ne_u32_e32 0, v14
	s_cbranch_execz .LBB6_17436
; %bb.17425:                            ;   in Loop: Header=BB6_16878 Depth=2
	v_bfe_u32 v34, v14, 23, 8
	v_and_b32_e32 v16, 0x7fffff, v14
	s_delay_alu instid0(VALU_DEP_2) | instskip(NEXT) | instid1(VALU_DEP_2)
	v_cmp_gt_u32_e32 vcc_lo, 0x7a, v34
	v_or_b32_e32 v17, 0x800000, v16
	v_sub_nc_u32_e32 v15, 0x79, v34
	s_delay_alu instid0(VALU_DEP_1) | instskip(SKIP_1) | instid1(VALU_DEP_2)
	v_cndmask_b32_e32 v15, 0, v15, vcc_lo
	v_cmp_eq_u32_e32 vcc_lo, 0, v34
	v_cndmask_b32_e64 v36, v15, 0x78, vcc_lo
	v_cndmask_b32_e32 v54, v17, v16, vcc_lo
	s_delay_alu instid0(VALU_DEP_2) | instskip(NEXT) | instid1(VALU_DEP_1)
	v_dual_add_nc_u32 v14, 20, v36 :: v_dual_add_nc_u32 v37, 19, v36
	v_lshlrev_b64_e64 v[14:15], v14, -1
	s_delay_alu instid0(VALU_DEP_2) | instskip(NEXT) | instid1(VALU_DEP_2)
	v_lshlrev_b64_e64 v[16:17], v37, 1
	v_bfi_b32 v39, v15, 0, 0
	s_delay_alu instid0(VALU_DEP_3) | instskip(SKIP_1) | instid1(VALU_DEP_2)
	v_bfi_b32 v38, v14, 0, v54
	v_lshrrev_b64 v[14:15], v36, v[54:55]
	v_cmp_eq_u64_e64 s10, v[38:39], v[16:17]
	s_delay_alu instid0(VALU_DEP_2)
	v_mov_b64_e32 v[16:17], v[14:15]
	s_and_saveexec_b32 s28, s10
; %bb.17426:                            ;   in Loop: Header=BB6_16878 Depth=2
	v_bfe_u32 v54, v14, 20, 1
	s_delay_alu instid0(VALU_DEP_1) | instskip(NEXT) | instid1(VALU_DEP_1)
	v_add_nc_u64_e32 v[16:17], v[14:15], v[54:55]
	v_add_nc_u64_e32 v[16:17], -1, v[16:17]
; %bb.17427:                            ;   in Loop: Header=BB6_16878 Depth=2
	s_or_b32 exec_lo, exec_lo, s28
	v_add_nc_u32_e32 v15, 0xffffff81, v34
	v_lshrrev_b32_e32 v17, 23, v14
	s_mov_b32 s10, exec_lo
	s_delay_alu instid0(VALU_DEP_2) | instskip(NEXT) | instid1(VALU_DEP_1)
	v_cndmask_b32_e64 v15, v15, 0xffffff82, vcc_lo
	v_add3_u32 v17, v36, v15, v17
	v_and_b32_e32 v15, 0xfffff, v16
                                        ; implicit-def: $vgpr16
	s_delay_alu instid0(VALU_DEP_1) | instskip(NEXT) | instid1(VALU_DEP_1)
	v_dual_add_nc_u32 v34, 6, v17 :: v_dual_add_nc_u32 v54, v15, v14
                                        ; implicit-def: $vgpr14_vgpr15
	v_cmpx_ne_u32_e32 0, v34
	s_xor_b32 s10, exec_lo, s10
; %bb.17428:                            ;   in Loop: Header=BB6_16878 Depth=2
	s_delay_alu instid0(VALU_DEP_2) | instskip(SKIP_1) | instid1(VALU_DEP_1)
	v_cmp_lt_u64_e32 vcc_lo, 0xffffff, v[54:55]
	v_add_nc_u32_e32 v14, 7, v17
	v_cndmask_b32_e32 v16, v34, v14, vcc_lo
	v_cndmask_b32_e64 v14, 0, 1, vcc_lo
	s_delay_alu instid0(VALU_DEP_1)
	v_lshrrev_b64 v[14:15], v14, v[54:55]
; %bb.17429:                            ;   in Loop: Header=BB6_16878 Depth=2
	s_and_not1_saveexec_b32 s10, s10
; %bb.17430:                            ;   in Loop: Header=BB6_16878 Depth=2
	v_mov_b64_e32 v[14:15], v[54:55]
	v_bfe_u32 v16, v54, 23, 1
; %bb.17431:                            ;   in Loop: Header=BB6_16878 Depth=2
	s_or_b32 exec_lo, exec_lo, s10
	s_delay_alu instid0(VALU_DEP_2) | instskip(NEXT) | instid1(VALU_DEP_2)
	v_lshrrev_b64 v[14:15], 20, v[14:15]
	v_cmp_gt_i32_e32 vcc_lo, 16, v16
	v_cmp_ne_u32_e64 s10, 0, v16
                                        ; implicit-def: $vgpr34
	s_delay_alu instid0(VALU_DEP_3) | instskip(NEXT) | instid1(VALU_DEP_1)
	v_dual_cndmask_b32 v15, 0, v15 :: v_dual_cndmask_b32 v14, 7, v14
	v_cmp_ne_u64_e32 vcc_lo, 0, v[14:15]
	s_or_b32 s10, s10, vcc_lo
	s_delay_alu instid0(SALU_CYCLE_1) | instskip(NEXT) | instid1(SALU_CYCLE_1)
	s_and_saveexec_b32 s28, s10
	s_xor_b32 s10, exec_lo, s28
; %bb.17432:                            ;   in Loop: Header=BB6_16878 Depth=2
	v_min_i32_e32 v15, 15, v16
	s_delay_alu instid0(VALU_DEP_1) | instskip(NEXT) | instid1(VALU_DEP_1)
	v_lshl_or_b32 v15, v15, 3, v35
                                        ; implicit-def: $vgpr35
	v_and_or_b32 v34, v14, 7, v15
; %bb.17433:                            ;   in Loop: Header=BB6_16878 Depth=2
	s_and_not1_saveexec_b32 s10, s10
; %bb.17434:                            ;   in Loop: Header=BB6_16878 Depth=2
	v_mov_b32_e32 v34, v35
; %bb.17435:                            ;   in Loop: Header=BB6_16878 Depth=2
	s_or_b32 exec_lo, exec_lo, s10
.LBB6_17436:                            ;   in Loop: Header=BB6_16878 Depth=2
	s_delay_alu instid0(SALU_CYCLE_1)
	s_or_b32 exec_lo, exec_lo, s27
                                        ; implicit-def: $vgpr35
.LBB6_17437:                            ;   in Loop: Header=BB6_16878 Depth=2
	s_and_not1_saveexec_b32 s10, s26
; %bb.17438:                            ;   in Loop: Header=BB6_16878 Depth=2
	v_or_b32_e32 v34, 0x7e, v35
; %bb.17439:                            ;   in Loop: Header=BB6_16878 Depth=2
	s_or_b32 exec_lo, exec_lo, s10
                                        ; implicit-def: $vgpr15
.LBB6_17440:                            ;   in Loop: Header=BB6_16878 Depth=2
	s_and_not1_saveexec_b32 s10, s11
; %bb.17441:                            ;   in Loop: Header=BB6_16878 Depth=2
	v_or_b32_e32 v34, 0x7f, v15
; %bb.17442:                            ;   in Loop: Header=BB6_16878 Depth=2
	s_or_b32 exec_lo, exec_lo, s10
	flat_load_u8 v14, v[12:13] offset:640 th:TH_LOAD_NT
	v_mov_b32_e32 v15, 0
	s_mov_b32 s10, exec_lo
	s_wait_loadcnt_dscnt 0x0
	s_wait_xcnt 0x0
	v_cmpx_ne_u16_e32 0, v14
	s_cbranch_execz .LBB6_17450
; %bb.17443:                            ;   in Loop: Header=BB6_16878 Depth=2
	v_bfrev_b32_e32 v15, 1
	s_mov_b32 s11, exec_lo
	v_cmpx_ne_u16_e32 0x80, v14
	s_cbranch_execz .LBB6_17449
; %bb.17444:                            ;   in Loop: Header=BB6_16878 Depth=2
	v_and_b32_e32 v17, 0xffff, v14
	v_mov_b32_e32 v15, 0x7f800001
	s_mov_b32 s26, exec_lo
	s_delay_alu instid0(VALU_DEP_2) | instskip(NEXT) | instid1(VALU_DEP_1)
	v_and_b32_e32 v16, 0x7f, v17
	v_cmpx_ne_u32_e32 0x7f, v16
	s_cbranch_execz .LBB6_17448
; %bb.17445:                            ;   in Loop: Header=BB6_16878 Depth=2
	v_dual_lshrrev_b32 v15, 3, v16 :: v_dual_bitop2_b32 v54, 7, v17 bitop3:0x40
	s_mov_b32 s27, exec_lo
	v_cmpx_gt_u32_e32 8, v16
; %bb.17446:                            ;   in Loop: Header=BB6_16878 Depth=2
	s_delay_alu instid0(VALU_DEP_2) | instskip(NEXT) | instid1(VALU_DEP_1)
	v_clz_i32_u32_e32 v15, v54
	v_min_u32_e32 v15, 32, v15
	s_delay_alu instid0(VALU_DEP_1) | instskip(NEXT) | instid1(VALU_DEP_1)
	v_subrev_nc_u32_e32 v16, 28, v15
	v_lshlrev_b64_e32 v[16:17], v16, v[54:55]
	s_delay_alu instid0(VALU_DEP_1)
	v_dual_sub_nc_u32 v15, 29, v15 :: v_dual_bitop2_b32 v54, 7, v16 bitop3:0x40
; %bb.17447:                            ;   in Loop: Header=BB6_16878 Depth=2
	s_or_b32 exec_lo, exec_lo, s27
	v_lshlrev_b32_e32 v14, 24, v14
	s_delay_alu instid0(VALU_DEP_2) | instskip(NEXT) | instid1(VALU_DEP_3)
	v_lshlrev_b32_e32 v16, 20, v54
	v_lshl_add_u32 v15, v15, 23, 0x3c000000
	s_delay_alu instid0(VALU_DEP_3) | instskip(NEXT) | instid1(VALU_DEP_1)
	v_and_b32_e32 v14, 0x80000000, v14
	v_or3_b32 v15, v16, v14, v15
.LBB6_17448:                            ;   in Loop: Header=BB6_16878 Depth=2
	s_or_b32 exec_lo, exec_lo, s26
.LBB6_17449:                            ;   in Loop: Header=BB6_16878 Depth=2
	s_delay_alu instid0(SALU_CYCLE_1)
	s_or_b32 exec_lo, exec_lo, s11
.LBB6_17450:                            ;   in Loop: Header=BB6_16878 Depth=2
	s_delay_alu instid0(SALU_CYCLE_1) | instskip(NEXT) | instid1(VALU_DEP_1)
	s_or_b32 exec_lo, exec_lo, s10
	v_mul_f32_e32 v14, s25, v15
                                        ; implicit-def: $vgpr35
	s_mov_b32 s10, exec_lo
	s_delay_alu instid0(VALU_DEP_1) | instskip(SKIP_1) | instid1(VALU_DEP_2)
	v_and_b32_e32 v54, 0x7f800000, v14
	v_lshrrev_b32_e32 v15, 24, v14
	v_cmpx_ne_u64_e32 0x7f800000, v[54:55]
	s_xor_b32 s11, exec_lo, s10
	s_cbranch_execz .LBB6_17468
; %bb.17451:                            ;   in Loop: Header=BB6_16878 Depth=2
	v_and_b32_e32 v54, 0x7fffffff, v14
	v_and_b32_e32 v36, 0x80, v15
                                        ; implicit-def: $vgpr35
	s_mov_b32 s10, exec_lo
	s_delay_alu instid0(VALU_DEP_2)
	v_cmpx_gt_u64_e32 0x43e00001, v[54:55]
	s_xor_b32 s26, exec_lo, s10
	s_cbranch_execz .LBB6_17465
; %bb.17452:                            ;   in Loop: Header=BB6_16878 Depth=2
	v_mov_b32_e32 v35, 0
	s_mov_b32 s27, exec_lo
	v_cmpx_ne_u32_e32 0, v14
	s_cbranch_execz .LBB6_17464
; %bb.17453:                            ;   in Loop: Header=BB6_16878 Depth=2
	v_bfe_u32 v35, v14, 23, 8
	v_and_b32_e32 v16, 0x7fffff, v14
	s_delay_alu instid0(VALU_DEP_2) | instskip(NEXT) | instid1(VALU_DEP_2)
	v_cmp_gt_u32_e32 vcc_lo, 0x7a, v35
	v_or_b32_e32 v17, 0x800000, v16
	v_sub_nc_u32_e32 v15, 0x79, v35
	s_delay_alu instid0(VALU_DEP_1) | instskip(SKIP_1) | instid1(VALU_DEP_2)
	v_cndmask_b32_e32 v15, 0, v15, vcc_lo
	v_cmp_eq_u32_e32 vcc_lo, 0, v35
	v_cndmask_b32_e64 v37, v15, 0x78, vcc_lo
	s_delay_alu instid0(VALU_DEP_1) | instskip(SKIP_1) | instid1(VALU_DEP_2)
	v_dual_cndmask_b32 v54, v17, v16, vcc_lo :: v_dual_add_nc_u32 v14, 20, v37
	v_add_nc_u32_e32 v38, 19, v37
	v_lshlrev_b64_e64 v[14:15], v14, -1
	s_delay_alu instid0(VALU_DEP_2) | instskip(NEXT) | instid1(VALU_DEP_2)
	v_lshlrev_b64_e64 v[16:17], v38, 1
	v_bfi_b32 v39, v15, 0, 0
	s_delay_alu instid0(VALU_DEP_3) | instskip(SKIP_1) | instid1(VALU_DEP_2)
	v_bfi_b32 v38, v14, 0, v54
	v_lshrrev_b64 v[14:15], v37, v[54:55]
	v_cmp_eq_u64_e64 s10, v[38:39], v[16:17]
	s_delay_alu instid0(VALU_DEP_2)
	v_mov_b64_e32 v[16:17], v[14:15]
	s_and_saveexec_b32 s28, s10
; %bb.17454:                            ;   in Loop: Header=BB6_16878 Depth=2
	v_bfe_u32 v54, v14, 20, 1
	s_delay_alu instid0(VALU_DEP_1) | instskip(NEXT) | instid1(VALU_DEP_1)
	v_add_nc_u64_e32 v[16:17], v[14:15], v[54:55]
	v_add_nc_u64_e32 v[16:17], -1, v[16:17]
; %bb.17455:                            ;   in Loop: Header=BB6_16878 Depth=2
	s_or_b32 exec_lo, exec_lo, s28
	v_add_nc_u32_e32 v15, 0xffffff81, v35
	v_lshrrev_b32_e32 v17, 23, v14
	s_mov_b32 s10, exec_lo
	s_delay_alu instid0(VALU_DEP_2) | instskip(NEXT) | instid1(VALU_DEP_1)
	v_cndmask_b32_e64 v15, v15, 0xffffff82, vcc_lo
	v_add3_u32 v17, v37, v15, v17
	v_and_b32_e32 v15, 0xfffff, v16
                                        ; implicit-def: $vgpr16
	s_delay_alu instid0(VALU_DEP_1) | instskip(NEXT) | instid1(VALU_DEP_1)
	v_dual_add_nc_u32 v35, 6, v17 :: v_dual_add_nc_u32 v54, v15, v14
                                        ; implicit-def: $vgpr14_vgpr15
	v_cmpx_ne_u32_e32 0, v35
	s_xor_b32 s10, exec_lo, s10
; %bb.17456:                            ;   in Loop: Header=BB6_16878 Depth=2
	s_delay_alu instid0(VALU_DEP_2) | instskip(SKIP_1) | instid1(VALU_DEP_1)
	v_cmp_lt_u64_e32 vcc_lo, 0xffffff, v[54:55]
	v_add_nc_u32_e32 v14, 7, v17
	v_cndmask_b32_e32 v16, v35, v14, vcc_lo
	v_cndmask_b32_e64 v14, 0, 1, vcc_lo
	s_delay_alu instid0(VALU_DEP_1)
	v_lshrrev_b64 v[14:15], v14, v[54:55]
; %bb.17457:                            ;   in Loop: Header=BB6_16878 Depth=2
	s_and_not1_saveexec_b32 s10, s10
; %bb.17458:                            ;   in Loop: Header=BB6_16878 Depth=2
	v_mov_b64_e32 v[14:15], v[54:55]
	v_bfe_u32 v16, v54, 23, 1
; %bb.17459:                            ;   in Loop: Header=BB6_16878 Depth=2
	s_or_b32 exec_lo, exec_lo, s10
	s_delay_alu instid0(VALU_DEP_2) | instskip(NEXT) | instid1(VALU_DEP_2)
	v_lshrrev_b64 v[14:15], 20, v[14:15]
	v_cmp_gt_i32_e32 vcc_lo, 16, v16
	v_cmp_ne_u32_e64 s10, 0, v16
                                        ; implicit-def: $vgpr35
	s_delay_alu instid0(VALU_DEP_3) | instskip(NEXT) | instid1(VALU_DEP_1)
	v_dual_cndmask_b32 v15, 0, v15 :: v_dual_cndmask_b32 v14, 7, v14
	v_cmp_ne_u64_e32 vcc_lo, 0, v[14:15]
	s_or_b32 s10, s10, vcc_lo
	s_delay_alu instid0(SALU_CYCLE_1) | instskip(NEXT) | instid1(SALU_CYCLE_1)
	s_and_saveexec_b32 s28, s10
	s_xor_b32 s10, exec_lo, s28
; %bb.17460:                            ;   in Loop: Header=BB6_16878 Depth=2
	v_min_i32_e32 v15, 15, v16
	s_delay_alu instid0(VALU_DEP_1) | instskip(NEXT) | instid1(VALU_DEP_1)
	v_lshl_or_b32 v15, v15, 3, v36
                                        ; implicit-def: $vgpr36
	v_and_or_b32 v35, v14, 7, v15
; %bb.17461:                            ;   in Loop: Header=BB6_16878 Depth=2
	s_and_not1_saveexec_b32 s10, s10
; %bb.17462:                            ;   in Loop: Header=BB6_16878 Depth=2
	v_mov_b32_e32 v35, v36
; %bb.17463:                            ;   in Loop: Header=BB6_16878 Depth=2
	s_or_b32 exec_lo, exec_lo, s10
.LBB6_17464:                            ;   in Loop: Header=BB6_16878 Depth=2
	s_delay_alu instid0(SALU_CYCLE_1)
	s_or_b32 exec_lo, exec_lo, s27
                                        ; implicit-def: $vgpr36
.LBB6_17465:                            ;   in Loop: Header=BB6_16878 Depth=2
	s_and_not1_saveexec_b32 s10, s26
; %bb.17466:                            ;   in Loop: Header=BB6_16878 Depth=2
	v_or_b32_e32 v35, 0x7e, v36
; %bb.17467:                            ;   in Loop: Header=BB6_16878 Depth=2
	s_or_b32 exec_lo, exec_lo, s10
                                        ; implicit-def: $vgpr15
.LBB6_17468:                            ;   in Loop: Header=BB6_16878 Depth=2
	s_and_not1_saveexec_b32 s10, s11
; %bb.17469:                            ;   in Loop: Header=BB6_16878 Depth=2
	v_or_b32_e32 v35, 0x7f, v15
; %bb.17470:                            ;   in Loop: Header=BB6_16878 Depth=2
	s_or_b32 exec_lo, exec_lo, s10
	flat_load_u8 v14, v[12:13] offset:672 th:TH_LOAD_NT
	v_mov_b32_e32 v15, 0
	s_mov_b32 s10, exec_lo
	s_wait_loadcnt_dscnt 0x0
	s_wait_xcnt 0x0
	v_cmpx_ne_u16_e32 0, v14
	s_cbranch_execz .LBB6_17478
; %bb.17471:                            ;   in Loop: Header=BB6_16878 Depth=2
	v_bfrev_b32_e32 v15, 1
	s_mov_b32 s11, exec_lo
	v_cmpx_ne_u16_e32 0x80, v14
	s_cbranch_execz .LBB6_17477
; %bb.17472:                            ;   in Loop: Header=BB6_16878 Depth=2
	v_and_b32_e32 v17, 0xffff, v14
	v_mov_b32_e32 v15, 0x7f800001
	s_mov_b32 s26, exec_lo
	s_delay_alu instid0(VALU_DEP_2) | instskip(NEXT) | instid1(VALU_DEP_1)
	v_and_b32_e32 v16, 0x7f, v17
	v_cmpx_ne_u32_e32 0x7f, v16
	s_cbranch_execz .LBB6_17476
; %bb.17473:                            ;   in Loop: Header=BB6_16878 Depth=2
	v_dual_lshrrev_b32 v15, 3, v16 :: v_dual_bitop2_b32 v54, 7, v17 bitop3:0x40
	s_mov_b32 s27, exec_lo
	v_cmpx_gt_u32_e32 8, v16
; %bb.17474:                            ;   in Loop: Header=BB6_16878 Depth=2
	s_delay_alu instid0(VALU_DEP_2) | instskip(NEXT) | instid1(VALU_DEP_1)
	v_clz_i32_u32_e32 v15, v54
	v_min_u32_e32 v15, 32, v15
	s_delay_alu instid0(VALU_DEP_1) | instskip(NEXT) | instid1(VALU_DEP_1)
	v_subrev_nc_u32_e32 v16, 28, v15
	v_lshlrev_b64_e32 v[16:17], v16, v[54:55]
	s_delay_alu instid0(VALU_DEP_1)
	v_dual_sub_nc_u32 v15, 29, v15 :: v_dual_bitop2_b32 v54, 7, v16 bitop3:0x40
; %bb.17475:                            ;   in Loop: Header=BB6_16878 Depth=2
	s_or_b32 exec_lo, exec_lo, s27
	v_lshlrev_b32_e32 v14, 24, v14
	s_delay_alu instid0(VALU_DEP_2) | instskip(NEXT) | instid1(VALU_DEP_3)
	v_lshlrev_b32_e32 v16, 20, v54
	v_lshl_add_u32 v15, v15, 23, 0x3c000000
	s_delay_alu instid0(VALU_DEP_3) | instskip(NEXT) | instid1(VALU_DEP_1)
	v_and_b32_e32 v14, 0x80000000, v14
	v_or3_b32 v15, v16, v14, v15
.LBB6_17476:                            ;   in Loop: Header=BB6_16878 Depth=2
	s_or_b32 exec_lo, exec_lo, s26
.LBB6_17477:                            ;   in Loop: Header=BB6_16878 Depth=2
	s_delay_alu instid0(SALU_CYCLE_1)
	s_or_b32 exec_lo, exec_lo, s11
.LBB6_17478:                            ;   in Loop: Header=BB6_16878 Depth=2
	s_delay_alu instid0(SALU_CYCLE_1) | instskip(NEXT) | instid1(VALU_DEP_1)
	s_or_b32 exec_lo, exec_lo, s10
	v_mul_f32_e32 v14, s25, v15
                                        ; implicit-def: $vgpr36
	s_mov_b32 s10, exec_lo
	s_delay_alu instid0(VALU_DEP_1) | instskip(SKIP_1) | instid1(VALU_DEP_2)
	v_and_b32_e32 v54, 0x7f800000, v14
	v_lshrrev_b32_e32 v15, 24, v14
	v_cmpx_ne_u64_e32 0x7f800000, v[54:55]
	s_xor_b32 s11, exec_lo, s10
	s_cbranch_execz .LBB6_17496
; %bb.17479:                            ;   in Loop: Header=BB6_16878 Depth=2
	v_and_b32_e32 v54, 0x7fffffff, v14
	v_and_b32_e32 v37, 0x80, v15
                                        ; implicit-def: $vgpr36
	s_mov_b32 s10, exec_lo
	s_delay_alu instid0(VALU_DEP_2)
	v_cmpx_gt_u64_e32 0x43e00001, v[54:55]
	s_xor_b32 s26, exec_lo, s10
	s_cbranch_execz .LBB6_17493
; %bb.17480:                            ;   in Loop: Header=BB6_16878 Depth=2
	v_mov_b32_e32 v36, 0
	s_mov_b32 s27, exec_lo
	v_cmpx_ne_u32_e32 0, v14
	s_cbranch_execz .LBB6_17492
; %bb.17481:                            ;   in Loop: Header=BB6_16878 Depth=2
	v_bfe_u32 v36, v14, 23, 8
	v_and_b32_e32 v16, 0x7fffff, v14
	s_delay_alu instid0(VALU_DEP_2) | instskip(SKIP_1) | instid1(VALU_DEP_3)
	v_sub_nc_u32_e32 v15, 0x79, v36
	v_cmp_gt_u32_e32 vcc_lo, 0x7a, v36
	v_or_b32_e32 v17, 0x800000, v16
	s_delay_alu instid0(VALU_DEP_3) | instskip(SKIP_1) | instid1(VALU_DEP_2)
	v_cndmask_b32_e32 v15, 0, v15, vcc_lo
	v_cmp_eq_u32_e32 vcc_lo, 0, v36
	v_cndmask_b32_e64 v38, v15, 0x78, vcc_lo
	s_delay_alu instid0(VALU_DEP_1) | instskip(SKIP_1) | instid1(VALU_DEP_2)
	v_dual_cndmask_b32 v54, v17, v16 :: v_dual_add_nc_u32 v39, 19, v38
	v_add_nc_u32_e32 v14, 20, v38
	v_lshlrev_b64_e64 v[16:17], v39, 1
	s_delay_alu instid0(VALU_DEP_2) | instskip(NEXT) | instid1(VALU_DEP_1)
	v_lshlrev_b64_e64 v[14:15], v14, -1
	v_bfi_b32 v51, v15, 0, 0
	s_delay_alu instid0(VALU_DEP_2) | instskip(SKIP_1) | instid1(VALU_DEP_2)
	v_bfi_b32 v50, v14, 0, v54
	v_lshrrev_b64 v[14:15], v38, v[54:55]
	v_cmp_eq_u64_e64 s10, v[50:51], v[16:17]
	s_delay_alu instid0(VALU_DEP_2)
	v_mov_b64_e32 v[16:17], v[14:15]
	s_and_saveexec_b32 s28, s10
; %bb.17482:                            ;   in Loop: Header=BB6_16878 Depth=2
	v_bfe_u32 v54, v14, 20, 1
	s_delay_alu instid0(VALU_DEP_1) | instskip(NEXT) | instid1(VALU_DEP_1)
	v_add_nc_u64_e32 v[16:17], v[14:15], v[54:55]
	v_add_nc_u64_e32 v[16:17], -1, v[16:17]
; %bb.17483:                            ;   in Loop: Header=BB6_16878 Depth=2
	s_or_b32 exec_lo, exec_lo, s28
	v_add_nc_u32_e32 v15, 0xffffff81, v36
	v_lshrrev_b32_e32 v17, 23, v14
	s_mov_b32 s10, exec_lo
	s_delay_alu instid0(VALU_DEP_2) | instskip(NEXT) | instid1(VALU_DEP_1)
	v_cndmask_b32_e64 v15, v15, 0xffffff82, vcc_lo
	v_add3_u32 v17, v38, v15, v17
	v_and_b32_e32 v15, 0xfffff, v16
                                        ; implicit-def: $vgpr16
	s_delay_alu instid0(VALU_DEP_1) | instskip(NEXT) | instid1(VALU_DEP_1)
	v_dual_add_nc_u32 v36, 6, v17 :: v_dual_add_nc_u32 v54, v15, v14
                                        ; implicit-def: $vgpr14_vgpr15
	v_cmpx_ne_u32_e32 0, v36
	s_xor_b32 s10, exec_lo, s10
; %bb.17484:                            ;   in Loop: Header=BB6_16878 Depth=2
	s_delay_alu instid0(VALU_DEP_2) | instskip(SKIP_1) | instid1(VALU_DEP_1)
	v_cmp_lt_u64_e32 vcc_lo, 0xffffff, v[54:55]
	v_add_nc_u32_e32 v14, 7, v17
	v_cndmask_b32_e32 v16, v36, v14, vcc_lo
	v_cndmask_b32_e64 v14, 0, 1, vcc_lo
	s_delay_alu instid0(VALU_DEP_1)
	v_lshrrev_b64 v[14:15], v14, v[54:55]
; %bb.17485:                            ;   in Loop: Header=BB6_16878 Depth=2
	s_and_not1_saveexec_b32 s10, s10
; %bb.17486:                            ;   in Loop: Header=BB6_16878 Depth=2
	v_mov_b64_e32 v[14:15], v[54:55]
	v_bfe_u32 v16, v54, 23, 1
; %bb.17487:                            ;   in Loop: Header=BB6_16878 Depth=2
	s_or_b32 exec_lo, exec_lo, s10
	s_delay_alu instid0(VALU_DEP_2) | instskip(NEXT) | instid1(VALU_DEP_2)
	v_lshrrev_b64 v[14:15], 20, v[14:15]
	v_cmp_gt_i32_e32 vcc_lo, 16, v16
	v_cmp_ne_u32_e64 s10, 0, v16
                                        ; implicit-def: $vgpr36
	s_delay_alu instid0(VALU_DEP_3) | instskip(NEXT) | instid1(VALU_DEP_1)
	v_dual_cndmask_b32 v15, 0, v15 :: v_dual_cndmask_b32 v14, 7, v14
	v_cmp_ne_u64_e32 vcc_lo, 0, v[14:15]
	s_or_b32 s10, s10, vcc_lo
	s_delay_alu instid0(SALU_CYCLE_1) | instskip(NEXT) | instid1(SALU_CYCLE_1)
	s_and_saveexec_b32 s28, s10
	s_xor_b32 s10, exec_lo, s28
; %bb.17488:                            ;   in Loop: Header=BB6_16878 Depth=2
	v_min_i32_e32 v15, 15, v16
	s_delay_alu instid0(VALU_DEP_1) | instskip(NEXT) | instid1(VALU_DEP_1)
	v_lshl_or_b32 v15, v15, 3, v37
                                        ; implicit-def: $vgpr37
	v_and_or_b32 v36, v14, 7, v15
; %bb.17489:                            ;   in Loop: Header=BB6_16878 Depth=2
	s_and_not1_saveexec_b32 s10, s10
; %bb.17490:                            ;   in Loop: Header=BB6_16878 Depth=2
	v_mov_b32_e32 v36, v37
; %bb.17491:                            ;   in Loop: Header=BB6_16878 Depth=2
	s_or_b32 exec_lo, exec_lo, s10
.LBB6_17492:                            ;   in Loop: Header=BB6_16878 Depth=2
	s_delay_alu instid0(SALU_CYCLE_1)
	s_or_b32 exec_lo, exec_lo, s27
                                        ; implicit-def: $vgpr37
.LBB6_17493:                            ;   in Loop: Header=BB6_16878 Depth=2
	s_and_not1_saveexec_b32 s10, s26
; %bb.17494:                            ;   in Loop: Header=BB6_16878 Depth=2
	v_or_b32_e32 v36, 0x7e, v37
; %bb.17495:                            ;   in Loop: Header=BB6_16878 Depth=2
	s_or_b32 exec_lo, exec_lo, s10
                                        ; implicit-def: $vgpr15
.LBB6_17496:                            ;   in Loop: Header=BB6_16878 Depth=2
	s_and_not1_saveexec_b32 s10, s11
; %bb.17497:                            ;   in Loop: Header=BB6_16878 Depth=2
	v_or_b32_e32 v36, 0x7f, v15
; %bb.17498:                            ;   in Loop: Header=BB6_16878 Depth=2
	s_or_b32 exec_lo, exec_lo, s10
	flat_load_u8 v14, v[12:13] offset:704 th:TH_LOAD_NT
	v_mov_b32_e32 v15, 0
	s_mov_b32 s10, exec_lo
	s_wait_loadcnt_dscnt 0x0
	s_wait_xcnt 0x0
	v_cmpx_ne_u16_e32 0, v14
	s_cbranch_execz .LBB6_17506
; %bb.17499:                            ;   in Loop: Header=BB6_16878 Depth=2
	v_bfrev_b32_e32 v15, 1
	s_mov_b32 s11, exec_lo
	v_cmpx_ne_u16_e32 0x80, v14
	s_cbranch_execz .LBB6_17505
; %bb.17500:                            ;   in Loop: Header=BB6_16878 Depth=2
	v_and_b32_e32 v17, 0xffff, v14
	v_mov_b32_e32 v15, 0x7f800001
	s_mov_b32 s26, exec_lo
	s_delay_alu instid0(VALU_DEP_2) | instskip(NEXT) | instid1(VALU_DEP_1)
	v_and_b32_e32 v16, 0x7f, v17
	v_cmpx_ne_u32_e32 0x7f, v16
	s_cbranch_execz .LBB6_17504
; %bb.17501:                            ;   in Loop: Header=BB6_16878 Depth=2
	v_dual_lshrrev_b32 v15, 3, v16 :: v_dual_bitop2_b32 v54, 7, v17 bitop3:0x40
	s_mov_b32 s27, exec_lo
	v_cmpx_gt_u32_e32 8, v16
; %bb.17502:                            ;   in Loop: Header=BB6_16878 Depth=2
	s_delay_alu instid0(VALU_DEP_2) | instskip(NEXT) | instid1(VALU_DEP_1)
	v_clz_i32_u32_e32 v15, v54
	v_min_u32_e32 v15, 32, v15
	s_delay_alu instid0(VALU_DEP_1) | instskip(NEXT) | instid1(VALU_DEP_1)
	v_subrev_nc_u32_e32 v16, 28, v15
	v_lshlrev_b64_e32 v[16:17], v16, v[54:55]
	s_delay_alu instid0(VALU_DEP_1)
	v_dual_sub_nc_u32 v15, 29, v15 :: v_dual_bitop2_b32 v54, 7, v16 bitop3:0x40
; %bb.17503:                            ;   in Loop: Header=BB6_16878 Depth=2
	s_or_b32 exec_lo, exec_lo, s27
	v_lshlrev_b32_e32 v14, 24, v14
	s_delay_alu instid0(VALU_DEP_2) | instskip(NEXT) | instid1(VALU_DEP_3)
	v_lshlrev_b32_e32 v16, 20, v54
	v_lshl_add_u32 v15, v15, 23, 0x3c000000
	s_delay_alu instid0(VALU_DEP_3) | instskip(NEXT) | instid1(VALU_DEP_1)
	v_and_b32_e32 v14, 0x80000000, v14
	v_or3_b32 v15, v16, v14, v15
.LBB6_17504:                            ;   in Loop: Header=BB6_16878 Depth=2
	s_or_b32 exec_lo, exec_lo, s26
.LBB6_17505:                            ;   in Loop: Header=BB6_16878 Depth=2
	s_delay_alu instid0(SALU_CYCLE_1)
	s_or_b32 exec_lo, exec_lo, s11
.LBB6_17506:                            ;   in Loop: Header=BB6_16878 Depth=2
	s_delay_alu instid0(SALU_CYCLE_1) | instskip(NEXT) | instid1(VALU_DEP_1)
	s_or_b32 exec_lo, exec_lo, s10
	v_mul_f32_e32 v14, s25, v15
                                        ; implicit-def: $vgpr37
	s_mov_b32 s10, exec_lo
	s_delay_alu instid0(VALU_DEP_1) | instskip(SKIP_1) | instid1(VALU_DEP_2)
	v_and_b32_e32 v54, 0x7f800000, v14
	v_lshrrev_b32_e32 v15, 24, v14
	v_cmpx_ne_u64_e32 0x7f800000, v[54:55]
	s_xor_b32 s11, exec_lo, s10
	s_cbranch_execz .LBB6_17524
; %bb.17507:                            ;   in Loop: Header=BB6_16878 Depth=2
	v_and_b32_e32 v54, 0x7fffffff, v14
	v_and_b32_e32 v38, 0x80, v15
                                        ; implicit-def: $vgpr37
	s_mov_b32 s10, exec_lo
	s_delay_alu instid0(VALU_DEP_2)
	v_cmpx_gt_u64_e32 0x43e00001, v[54:55]
	s_xor_b32 s26, exec_lo, s10
	s_cbranch_execz .LBB6_17521
; %bb.17508:                            ;   in Loop: Header=BB6_16878 Depth=2
	v_mov_b32_e32 v37, 0
	s_mov_b32 s27, exec_lo
	v_cmpx_ne_u32_e32 0, v14
	s_cbranch_execz .LBB6_17520
; %bb.17509:                            ;   in Loop: Header=BB6_16878 Depth=2
	v_bfe_u32 v37, v14, 23, 8
	v_and_b32_e32 v16, 0x7fffff, v14
	s_delay_alu instid0(VALU_DEP_2) | instskip(NEXT) | instid1(VALU_DEP_2)
	v_cmp_gt_u32_e32 vcc_lo, 0x7a, v37
	v_or_b32_e32 v17, 0x800000, v16
	v_sub_nc_u32_e32 v15, 0x79, v37
	s_delay_alu instid0(VALU_DEP_1) | instskip(SKIP_1) | instid1(VALU_DEP_2)
	v_cndmask_b32_e32 v15, 0, v15, vcc_lo
	v_cmp_eq_u32_e32 vcc_lo, 0, v37
	v_cndmask_b32_e64 v39, v15, 0x78, vcc_lo
	s_delay_alu instid0(VALU_DEP_1) | instskip(SKIP_1) | instid1(VALU_DEP_2)
	v_dual_cndmask_b32 v54, v17, v16, vcc_lo :: v_dual_add_nc_u32 v14, 20, v39
	v_add_nc_u32_e32 v50, 19, v39
	v_lshlrev_b64_e64 v[14:15], v14, -1
	s_delay_alu instid0(VALU_DEP_2) | instskip(NEXT) | instid1(VALU_DEP_2)
	v_lshlrev_b64_e64 v[16:17], v50, 1
	v_bfi_b32 v51, v15, 0, 0
	s_delay_alu instid0(VALU_DEP_3) | instskip(SKIP_1) | instid1(VALU_DEP_2)
	v_bfi_b32 v50, v14, 0, v54
	v_lshrrev_b64 v[14:15], v39, v[54:55]
	v_cmp_eq_u64_e64 s10, v[50:51], v[16:17]
	s_delay_alu instid0(VALU_DEP_2)
	v_mov_b64_e32 v[16:17], v[14:15]
	s_and_saveexec_b32 s28, s10
; %bb.17510:                            ;   in Loop: Header=BB6_16878 Depth=2
	v_bfe_u32 v54, v14, 20, 1
	s_delay_alu instid0(VALU_DEP_1) | instskip(NEXT) | instid1(VALU_DEP_1)
	v_add_nc_u64_e32 v[16:17], v[14:15], v[54:55]
	v_add_nc_u64_e32 v[16:17], -1, v[16:17]
; %bb.17511:                            ;   in Loop: Header=BB6_16878 Depth=2
	s_or_b32 exec_lo, exec_lo, s28
	v_add_nc_u32_e32 v15, 0xffffff81, v37
	v_lshrrev_b32_e32 v17, 23, v14
	s_mov_b32 s10, exec_lo
	s_delay_alu instid0(VALU_DEP_2) | instskip(NEXT) | instid1(VALU_DEP_1)
	v_cndmask_b32_e64 v15, v15, 0xffffff82, vcc_lo
	v_add3_u32 v17, v39, v15, v17
	v_and_b32_e32 v15, 0xfffff, v16
                                        ; implicit-def: $vgpr16
	s_delay_alu instid0(VALU_DEP_1) | instskip(NEXT) | instid1(VALU_DEP_1)
	v_dual_add_nc_u32 v37, 6, v17 :: v_dual_add_nc_u32 v54, v15, v14
                                        ; implicit-def: $vgpr14_vgpr15
	v_cmpx_ne_u32_e32 0, v37
	s_xor_b32 s10, exec_lo, s10
; %bb.17512:                            ;   in Loop: Header=BB6_16878 Depth=2
	s_delay_alu instid0(VALU_DEP_2) | instskip(SKIP_1) | instid1(VALU_DEP_1)
	v_cmp_lt_u64_e32 vcc_lo, 0xffffff, v[54:55]
	v_add_nc_u32_e32 v14, 7, v17
	v_cndmask_b32_e32 v16, v37, v14, vcc_lo
	v_cndmask_b32_e64 v14, 0, 1, vcc_lo
	s_delay_alu instid0(VALU_DEP_1)
	v_lshrrev_b64 v[14:15], v14, v[54:55]
; %bb.17513:                            ;   in Loop: Header=BB6_16878 Depth=2
	s_and_not1_saveexec_b32 s10, s10
; %bb.17514:                            ;   in Loop: Header=BB6_16878 Depth=2
	v_mov_b64_e32 v[14:15], v[54:55]
	v_bfe_u32 v16, v54, 23, 1
; %bb.17515:                            ;   in Loop: Header=BB6_16878 Depth=2
	s_or_b32 exec_lo, exec_lo, s10
	s_delay_alu instid0(VALU_DEP_2) | instskip(NEXT) | instid1(VALU_DEP_2)
	v_lshrrev_b64 v[14:15], 20, v[14:15]
	v_cmp_gt_i32_e32 vcc_lo, 16, v16
	v_cmp_ne_u32_e64 s10, 0, v16
                                        ; implicit-def: $vgpr37
	s_delay_alu instid0(VALU_DEP_3) | instskip(NEXT) | instid1(VALU_DEP_1)
	v_dual_cndmask_b32 v15, 0, v15 :: v_dual_cndmask_b32 v14, 7, v14
	v_cmp_ne_u64_e32 vcc_lo, 0, v[14:15]
	s_or_b32 s10, s10, vcc_lo
	s_delay_alu instid0(SALU_CYCLE_1) | instskip(NEXT) | instid1(SALU_CYCLE_1)
	s_and_saveexec_b32 s28, s10
	s_xor_b32 s10, exec_lo, s28
; %bb.17516:                            ;   in Loop: Header=BB6_16878 Depth=2
	v_min_i32_e32 v15, 15, v16
	s_delay_alu instid0(VALU_DEP_1) | instskip(NEXT) | instid1(VALU_DEP_1)
	v_lshl_or_b32 v15, v15, 3, v38
                                        ; implicit-def: $vgpr38
	v_and_or_b32 v37, v14, 7, v15
; %bb.17517:                            ;   in Loop: Header=BB6_16878 Depth=2
	s_and_not1_saveexec_b32 s10, s10
; %bb.17518:                            ;   in Loop: Header=BB6_16878 Depth=2
	v_mov_b32_e32 v37, v38
; %bb.17519:                            ;   in Loop: Header=BB6_16878 Depth=2
	s_or_b32 exec_lo, exec_lo, s10
.LBB6_17520:                            ;   in Loop: Header=BB6_16878 Depth=2
	s_delay_alu instid0(SALU_CYCLE_1)
	s_or_b32 exec_lo, exec_lo, s27
                                        ; implicit-def: $vgpr38
.LBB6_17521:                            ;   in Loop: Header=BB6_16878 Depth=2
	s_and_not1_saveexec_b32 s10, s26
; %bb.17522:                            ;   in Loop: Header=BB6_16878 Depth=2
	v_or_b32_e32 v37, 0x7e, v38
; %bb.17523:                            ;   in Loop: Header=BB6_16878 Depth=2
	s_or_b32 exec_lo, exec_lo, s10
                                        ; implicit-def: $vgpr15
.LBB6_17524:                            ;   in Loop: Header=BB6_16878 Depth=2
	s_and_not1_saveexec_b32 s10, s11
; %bb.17525:                            ;   in Loop: Header=BB6_16878 Depth=2
	v_or_b32_e32 v37, 0x7f, v15
; %bb.17526:                            ;   in Loop: Header=BB6_16878 Depth=2
	s_or_b32 exec_lo, exec_lo, s10
	flat_load_u8 v14, v[12:13] offset:736 th:TH_LOAD_NT
	v_mov_b32_e32 v15, 0
	s_mov_b32 s10, exec_lo
	s_wait_loadcnt_dscnt 0x0
	s_wait_xcnt 0x0
	v_cmpx_ne_u16_e32 0, v14
	s_cbranch_execz .LBB6_17534
; %bb.17527:                            ;   in Loop: Header=BB6_16878 Depth=2
	v_bfrev_b32_e32 v15, 1
	s_mov_b32 s11, exec_lo
	v_cmpx_ne_u16_e32 0x80, v14
	s_cbranch_execz .LBB6_17533
; %bb.17528:                            ;   in Loop: Header=BB6_16878 Depth=2
	v_and_b32_e32 v17, 0xffff, v14
	v_mov_b32_e32 v15, 0x7f800001
	s_mov_b32 s26, exec_lo
	s_delay_alu instid0(VALU_DEP_2) | instskip(NEXT) | instid1(VALU_DEP_1)
	v_and_b32_e32 v16, 0x7f, v17
	v_cmpx_ne_u32_e32 0x7f, v16
	s_cbranch_execz .LBB6_17532
; %bb.17529:                            ;   in Loop: Header=BB6_16878 Depth=2
	v_dual_lshrrev_b32 v15, 3, v16 :: v_dual_bitop2_b32 v54, 7, v17 bitop3:0x40
	s_mov_b32 s27, exec_lo
	v_cmpx_gt_u32_e32 8, v16
; %bb.17530:                            ;   in Loop: Header=BB6_16878 Depth=2
	s_delay_alu instid0(VALU_DEP_2) | instskip(NEXT) | instid1(VALU_DEP_1)
	v_clz_i32_u32_e32 v15, v54
	v_min_u32_e32 v15, 32, v15
	s_delay_alu instid0(VALU_DEP_1) | instskip(NEXT) | instid1(VALU_DEP_1)
	v_subrev_nc_u32_e32 v16, 28, v15
	v_lshlrev_b64_e32 v[16:17], v16, v[54:55]
	s_delay_alu instid0(VALU_DEP_1)
	v_dual_sub_nc_u32 v15, 29, v15 :: v_dual_bitop2_b32 v54, 7, v16 bitop3:0x40
; %bb.17531:                            ;   in Loop: Header=BB6_16878 Depth=2
	s_or_b32 exec_lo, exec_lo, s27
	v_lshlrev_b32_e32 v14, 24, v14
	s_delay_alu instid0(VALU_DEP_2) | instskip(NEXT) | instid1(VALU_DEP_3)
	v_lshlrev_b32_e32 v16, 20, v54
	v_lshl_add_u32 v15, v15, 23, 0x3c000000
	s_delay_alu instid0(VALU_DEP_3) | instskip(NEXT) | instid1(VALU_DEP_1)
	v_and_b32_e32 v14, 0x80000000, v14
	v_or3_b32 v15, v16, v14, v15
.LBB6_17532:                            ;   in Loop: Header=BB6_16878 Depth=2
	s_or_b32 exec_lo, exec_lo, s26
.LBB6_17533:                            ;   in Loop: Header=BB6_16878 Depth=2
	s_delay_alu instid0(SALU_CYCLE_1)
	s_or_b32 exec_lo, exec_lo, s11
.LBB6_17534:                            ;   in Loop: Header=BB6_16878 Depth=2
	s_delay_alu instid0(SALU_CYCLE_1) | instskip(NEXT) | instid1(VALU_DEP_1)
	s_or_b32 exec_lo, exec_lo, s10
	v_mul_f32_e32 v14, s25, v15
                                        ; implicit-def: $vgpr38
	s_mov_b32 s10, exec_lo
	s_delay_alu instid0(VALU_DEP_1) | instskip(SKIP_1) | instid1(VALU_DEP_2)
	v_and_b32_e32 v54, 0x7f800000, v14
	v_lshrrev_b32_e32 v15, 24, v14
	v_cmpx_ne_u64_e32 0x7f800000, v[54:55]
	s_xor_b32 s11, exec_lo, s10
	s_cbranch_execz .LBB6_17552
; %bb.17535:                            ;   in Loop: Header=BB6_16878 Depth=2
	v_and_b32_e32 v54, 0x7fffffff, v14
	v_and_b32_e32 v39, 0x80, v15
                                        ; implicit-def: $vgpr38
	s_mov_b32 s10, exec_lo
	s_delay_alu instid0(VALU_DEP_2)
	v_cmpx_gt_u64_e32 0x43e00001, v[54:55]
	s_xor_b32 s26, exec_lo, s10
	s_cbranch_execz .LBB6_17549
; %bb.17536:                            ;   in Loop: Header=BB6_16878 Depth=2
	v_mov_b32_e32 v38, 0
	s_mov_b32 s27, exec_lo
	v_cmpx_ne_u32_e32 0, v14
	s_cbranch_execz .LBB6_17548
; %bb.17537:                            ;   in Loop: Header=BB6_16878 Depth=2
	v_bfe_u32 v38, v14, 23, 8
	v_and_b32_e32 v16, 0x7fffff, v14
	s_delay_alu instid0(VALU_DEP_2) | instskip(NEXT) | instid1(VALU_DEP_2)
	v_cmp_gt_u32_e32 vcc_lo, 0x7a, v38
	v_or_b32_e32 v17, 0x800000, v16
	v_sub_nc_u32_e32 v15, 0x79, v38
	s_delay_alu instid0(VALU_DEP_1) | instskip(SKIP_1) | instid1(VALU_DEP_2)
	v_cndmask_b32_e32 v15, 0, v15, vcc_lo
	v_cmp_eq_u32_e32 vcc_lo, 0, v38
	v_cndmask_b32_e64 v50, v15, 0x78, vcc_lo
	s_delay_alu instid0(VALU_DEP_1) | instskip(SKIP_1) | instid1(VALU_DEP_2)
	v_dual_cndmask_b32 v54, v17, v16, vcc_lo :: v_dual_add_nc_u32 v14, 20, v50
	v_add_nc_u32_e32 v51, 19, v50
	v_lshlrev_b64_e64 v[14:15], v14, -1
	s_delay_alu instid0(VALU_DEP_2) | instskip(NEXT) | instid1(VALU_DEP_2)
	v_lshlrev_b64_e64 v[16:17], v51, 1
	v_bfi_b32 v53, v15, 0, 0
	s_delay_alu instid0(VALU_DEP_3) | instskip(SKIP_1) | instid1(VALU_DEP_2)
	v_bfi_b32 v52, v14, 0, v54
	v_lshrrev_b64 v[14:15], v50, v[54:55]
	v_cmp_eq_u64_e64 s10, v[52:53], v[16:17]
	s_delay_alu instid0(VALU_DEP_2)
	v_mov_b64_e32 v[16:17], v[14:15]
	s_and_saveexec_b32 s28, s10
; %bb.17538:                            ;   in Loop: Header=BB6_16878 Depth=2
	v_bfe_u32 v54, v14, 20, 1
	s_delay_alu instid0(VALU_DEP_1) | instskip(NEXT) | instid1(VALU_DEP_1)
	v_add_nc_u64_e32 v[16:17], v[14:15], v[54:55]
	v_add_nc_u64_e32 v[16:17], -1, v[16:17]
; %bb.17539:                            ;   in Loop: Header=BB6_16878 Depth=2
	s_or_b32 exec_lo, exec_lo, s28
	v_add_nc_u32_e32 v15, 0xffffff81, v38
	v_lshrrev_b32_e32 v17, 23, v14
	s_mov_b32 s10, exec_lo
	s_delay_alu instid0(VALU_DEP_2) | instskip(NEXT) | instid1(VALU_DEP_1)
	v_cndmask_b32_e64 v15, v15, 0xffffff82, vcc_lo
	v_add3_u32 v17, v50, v15, v17
	v_and_b32_e32 v15, 0xfffff, v16
                                        ; implicit-def: $vgpr16
	s_delay_alu instid0(VALU_DEP_1) | instskip(NEXT) | instid1(VALU_DEP_1)
	v_dual_add_nc_u32 v38, 6, v17 :: v_dual_add_nc_u32 v54, v15, v14
                                        ; implicit-def: $vgpr14_vgpr15
	v_cmpx_ne_u32_e32 0, v38
	s_xor_b32 s10, exec_lo, s10
; %bb.17540:                            ;   in Loop: Header=BB6_16878 Depth=2
	s_delay_alu instid0(VALU_DEP_2) | instskip(SKIP_1) | instid1(VALU_DEP_1)
	v_cmp_lt_u64_e32 vcc_lo, 0xffffff, v[54:55]
	v_add_nc_u32_e32 v14, 7, v17
	v_cndmask_b32_e32 v16, v38, v14, vcc_lo
	v_cndmask_b32_e64 v14, 0, 1, vcc_lo
	s_delay_alu instid0(VALU_DEP_1)
	v_lshrrev_b64 v[14:15], v14, v[54:55]
; %bb.17541:                            ;   in Loop: Header=BB6_16878 Depth=2
	s_and_not1_saveexec_b32 s10, s10
; %bb.17542:                            ;   in Loop: Header=BB6_16878 Depth=2
	v_mov_b64_e32 v[14:15], v[54:55]
	v_bfe_u32 v16, v54, 23, 1
; %bb.17543:                            ;   in Loop: Header=BB6_16878 Depth=2
	s_or_b32 exec_lo, exec_lo, s10
	s_delay_alu instid0(VALU_DEP_2) | instskip(NEXT) | instid1(VALU_DEP_2)
	v_lshrrev_b64 v[14:15], 20, v[14:15]
	v_cmp_gt_i32_e32 vcc_lo, 16, v16
	v_cmp_ne_u32_e64 s10, 0, v16
                                        ; implicit-def: $vgpr38
	s_delay_alu instid0(VALU_DEP_3) | instskip(NEXT) | instid1(VALU_DEP_1)
	v_dual_cndmask_b32 v15, 0, v15 :: v_dual_cndmask_b32 v14, 7, v14
	v_cmp_ne_u64_e32 vcc_lo, 0, v[14:15]
	s_or_b32 s10, s10, vcc_lo
	s_delay_alu instid0(SALU_CYCLE_1) | instskip(NEXT) | instid1(SALU_CYCLE_1)
	s_and_saveexec_b32 s28, s10
	s_xor_b32 s10, exec_lo, s28
; %bb.17544:                            ;   in Loop: Header=BB6_16878 Depth=2
	v_min_i32_e32 v15, 15, v16
	s_delay_alu instid0(VALU_DEP_1) | instskip(NEXT) | instid1(VALU_DEP_1)
	v_lshl_or_b32 v15, v15, 3, v39
                                        ; implicit-def: $vgpr39
	v_and_or_b32 v38, v14, 7, v15
; %bb.17545:                            ;   in Loop: Header=BB6_16878 Depth=2
	s_and_not1_saveexec_b32 s10, s10
; %bb.17546:                            ;   in Loop: Header=BB6_16878 Depth=2
	v_mov_b32_e32 v38, v39
; %bb.17547:                            ;   in Loop: Header=BB6_16878 Depth=2
	s_or_b32 exec_lo, exec_lo, s10
.LBB6_17548:                            ;   in Loop: Header=BB6_16878 Depth=2
	s_delay_alu instid0(SALU_CYCLE_1)
	s_or_b32 exec_lo, exec_lo, s27
                                        ; implicit-def: $vgpr39
.LBB6_17549:                            ;   in Loop: Header=BB6_16878 Depth=2
	s_and_not1_saveexec_b32 s10, s26
; %bb.17550:                            ;   in Loop: Header=BB6_16878 Depth=2
	v_or_b32_e32 v38, 0x7e, v39
; %bb.17551:                            ;   in Loop: Header=BB6_16878 Depth=2
	s_or_b32 exec_lo, exec_lo, s10
                                        ; implicit-def: $vgpr15
.LBB6_17552:                            ;   in Loop: Header=BB6_16878 Depth=2
	s_and_not1_saveexec_b32 s10, s11
; %bb.17553:                            ;   in Loop: Header=BB6_16878 Depth=2
	v_or_b32_e32 v38, 0x7f, v15
; %bb.17554:                            ;   in Loop: Header=BB6_16878 Depth=2
	s_or_b32 exec_lo, exec_lo, s10
	flat_load_u8 v14, v[12:13] offset:768 th:TH_LOAD_NT
	v_mov_b32_e32 v15, 0
	s_mov_b32 s10, exec_lo
	s_wait_loadcnt_dscnt 0x0
	s_wait_xcnt 0x0
	v_cmpx_ne_u16_e32 0, v14
	s_cbranch_execz .LBB6_17562
; %bb.17555:                            ;   in Loop: Header=BB6_16878 Depth=2
	v_bfrev_b32_e32 v15, 1
	s_mov_b32 s11, exec_lo
	v_cmpx_ne_u16_e32 0x80, v14
	s_cbranch_execz .LBB6_17561
; %bb.17556:                            ;   in Loop: Header=BB6_16878 Depth=2
	v_and_b32_e32 v17, 0xffff, v14
	v_mov_b32_e32 v15, 0x7f800001
	s_mov_b32 s26, exec_lo
	s_delay_alu instid0(VALU_DEP_2) | instskip(NEXT) | instid1(VALU_DEP_1)
	v_and_b32_e32 v16, 0x7f, v17
	v_cmpx_ne_u32_e32 0x7f, v16
	s_cbranch_execz .LBB6_17560
; %bb.17557:                            ;   in Loop: Header=BB6_16878 Depth=2
	v_dual_lshrrev_b32 v15, 3, v16 :: v_dual_bitop2_b32 v54, 7, v17 bitop3:0x40
	s_mov_b32 s27, exec_lo
	v_cmpx_gt_u32_e32 8, v16
; %bb.17558:                            ;   in Loop: Header=BB6_16878 Depth=2
	s_delay_alu instid0(VALU_DEP_2) | instskip(NEXT) | instid1(VALU_DEP_1)
	v_clz_i32_u32_e32 v15, v54
	v_min_u32_e32 v15, 32, v15
	s_delay_alu instid0(VALU_DEP_1) | instskip(NEXT) | instid1(VALU_DEP_1)
	v_subrev_nc_u32_e32 v16, 28, v15
	v_lshlrev_b64_e32 v[16:17], v16, v[54:55]
	s_delay_alu instid0(VALU_DEP_1)
	v_dual_sub_nc_u32 v15, 29, v15 :: v_dual_bitop2_b32 v54, 7, v16 bitop3:0x40
; %bb.17559:                            ;   in Loop: Header=BB6_16878 Depth=2
	s_or_b32 exec_lo, exec_lo, s27
	v_lshlrev_b32_e32 v14, 24, v14
	s_delay_alu instid0(VALU_DEP_2) | instskip(NEXT) | instid1(VALU_DEP_3)
	v_lshlrev_b32_e32 v16, 20, v54
	v_lshl_add_u32 v15, v15, 23, 0x3c000000
	s_delay_alu instid0(VALU_DEP_3) | instskip(NEXT) | instid1(VALU_DEP_1)
	v_and_b32_e32 v14, 0x80000000, v14
	v_or3_b32 v15, v16, v14, v15
.LBB6_17560:                            ;   in Loop: Header=BB6_16878 Depth=2
	s_or_b32 exec_lo, exec_lo, s26
.LBB6_17561:                            ;   in Loop: Header=BB6_16878 Depth=2
	s_delay_alu instid0(SALU_CYCLE_1)
	s_or_b32 exec_lo, exec_lo, s11
.LBB6_17562:                            ;   in Loop: Header=BB6_16878 Depth=2
	s_delay_alu instid0(SALU_CYCLE_1) | instskip(NEXT) | instid1(VALU_DEP_1)
	s_or_b32 exec_lo, exec_lo, s10
	v_mul_f32_e32 v14, s25, v15
                                        ; implicit-def: $vgpr39
	s_mov_b32 s10, exec_lo
	s_delay_alu instid0(VALU_DEP_1) | instskip(SKIP_1) | instid1(VALU_DEP_2)
	v_and_b32_e32 v54, 0x7f800000, v14
	v_lshrrev_b32_e32 v15, 24, v14
	v_cmpx_ne_u64_e32 0x7f800000, v[54:55]
	s_xor_b32 s11, exec_lo, s10
	s_cbranch_execz .LBB6_17580
; %bb.17563:                            ;   in Loop: Header=BB6_16878 Depth=2
	v_and_b32_e32 v54, 0x7fffffff, v14
	v_and_b32_e32 v50, 0x80, v15
                                        ; implicit-def: $vgpr39
	s_mov_b32 s10, exec_lo
	s_delay_alu instid0(VALU_DEP_2)
	v_cmpx_gt_u64_e32 0x43e00001, v[54:55]
	s_xor_b32 s26, exec_lo, s10
	s_cbranch_execz .LBB6_17577
; %bb.17564:                            ;   in Loop: Header=BB6_16878 Depth=2
	v_mov_b32_e32 v39, 0
	s_mov_b32 s27, exec_lo
	v_cmpx_ne_u32_e32 0, v14
	s_cbranch_execz .LBB6_17576
; %bb.17565:                            ;   in Loop: Header=BB6_16878 Depth=2
	v_bfe_u32 v39, v14, 23, 8
	v_and_b32_e32 v16, 0x7fffff, v14
	s_delay_alu instid0(VALU_DEP_2) | instskip(NEXT) | instid1(VALU_DEP_2)
	v_cmp_gt_u32_e32 vcc_lo, 0x7a, v39
	v_or_b32_e32 v17, 0x800000, v16
	v_sub_nc_u32_e32 v15, 0x79, v39
	s_delay_alu instid0(VALU_DEP_1) | instskip(SKIP_1) | instid1(VALU_DEP_2)
	v_cndmask_b32_e32 v15, 0, v15, vcc_lo
	v_cmp_eq_u32_e32 vcc_lo, 0, v39
	v_cndmask_b32_e64 v51, v15, 0x78, vcc_lo
	s_delay_alu instid0(VALU_DEP_1) | instskip(SKIP_1) | instid1(VALU_DEP_2)
	v_dual_cndmask_b32 v54, v17, v16, vcc_lo :: v_dual_add_nc_u32 v14, 20, v51
	v_add_nc_u32_e32 v52, 19, v51
	v_lshlrev_b64_e64 v[14:15], v14, -1
	s_delay_alu instid0(VALU_DEP_2) | instskip(NEXT) | instid1(VALU_DEP_2)
	v_lshlrev_b64_e64 v[16:17], v52, 1
	v_bfi_b32 v53, v15, 0, 0
	s_delay_alu instid0(VALU_DEP_3) | instskip(SKIP_1) | instid1(VALU_DEP_2)
	v_bfi_b32 v52, v14, 0, v54
	v_lshrrev_b64 v[14:15], v51, v[54:55]
	v_cmp_eq_u64_e64 s10, v[52:53], v[16:17]
	s_delay_alu instid0(VALU_DEP_2)
	v_mov_b64_e32 v[16:17], v[14:15]
	s_and_saveexec_b32 s28, s10
; %bb.17566:                            ;   in Loop: Header=BB6_16878 Depth=2
	v_bfe_u32 v54, v14, 20, 1
	s_delay_alu instid0(VALU_DEP_1) | instskip(NEXT) | instid1(VALU_DEP_1)
	v_add_nc_u64_e32 v[16:17], v[14:15], v[54:55]
	v_add_nc_u64_e32 v[16:17], -1, v[16:17]
; %bb.17567:                            ;   in Loop: Header=BB6_16878 Depth=2
	s_or_b32 exec_lo, exec_lo, s28
	v_add_nc_u32_e32 v15, 0xffffff81, v39
	v_lshrrev_b32_e32 v17, 23, v14
	s_mov_b32 s10, exec_lo
	s_delay_alu instid0(VALU_DEP_2) | instskip(NEXT) | instid1(VALU_DEP_1)
	v_cndmask_b32_e64 v15, v15, 0xffffff82, vcc_lo
	v_add3_u32 v17, v51, v15, v17
	v_and_b32_e32 v15, 0xfffff, v16
                                        ; implicit-def: $vgpr16
	s_delay_alu instid0(VALU_DEP_1) | instskip(NEXT) | instid1(VALU_DEP_1)
	v_dual_add_nc_u32 v39, 6, v17 :: v_dual_add_nc_u32 v54, v15, v14
                                        ; implicit-def: $vgpr14_vgpr15
	v_cmpx_ne_u32_e32 0, v39
	s_xor_b32 s10, exec_lo, s10
; %bb.17568:                            ;   in Loop: Header=BB6_16878 Depth=2
	s_delay_alu instid0(VALU_DEP_2) | instskip(SKIP_1) | instid1(VALU_DEP_1)
	v_cmp_lt_u64_e32 vcc_lo, 0xffffff, v[54:55]
	v_add_nc_u32_e32 v14, 7, v17
	v_cndmask_b32_e32 v16, v39, v14, vcc_lo
	v_cndmask_b32_e64 v14, 0, 1, vcc_lo
	s_delay_alu instid0(VALU_DEP_1)
	v_lshrrev_b64 v[14:15], v14, v[54:55]
; %bb.17569:                            ;   in Loop: Header=BB6_16878 Depth=2
	s_and_not1_saveexec_b32 s10, s10
; %bb.17570:                            ;   in Loop: Header=BB6_16878 Depth=2
	v_mov_b64_e32 v[14:15], v[54:55]
	v_bfe_u32 v16, v54, 23, 1
; %bb.17571:                            ;   in Loop: Header=BB6_16878 Depth=2
	s_or_b32 exec_lo, exec_lo, s10
	s_delay_alu instid0(VALU_DEP_2) | instskip(NEXT) | instid1(VALU_DEP_2)
	v_lshrrev_b64 v[14:15], 20, v[14:15]
	v_cmp_gt_i32_e32 vcc_lo, 16, v16
	v_cmp_ne_u32_e64 s10, 0, v16
                                        ; implicit-def: $vgpr39
	s_delay_alu instid0(VALU_DEP_3) | instskip(NEXT) | instid1(VALU_DEP_1)
	v_dual_cndmask_b32 v15, 0, v15 :: v_dual_cndmask_b32 v14, 7, v14
	v_cmp_ne_u64_e32 vcc_lo, 0, v[14:15]
	s_or_b32 s10, s10, vcc_lo
	s_delay_alu instid0(SALU_CYCLE_1) | instskip(NEXT) | instid1(SALU_CYCLE_1)
	s_and_saveexec_b32 s28, s10
	s_xor_b32 s10, exec_lo, s28
; %bb.17572:                            ;   in Loop: Header=BB6_16878 Depth=2
	v_min_i32_e32 v15, 15, v16
	s_delay_alu instid0(VALU_DEP_1) | instskip(NEXT) | instid1(VALU_DEP_1)
	v_lshl_or_b32 v15, v15, 3, v50
                                        ; implicit-def: $vgpr50
	v_and_or_b32 v39, v14, 7, v15
; %bb.17573:                            ;   in Loop: Header=BB6_16878 Depth=2
	s_and_not1_saveexec_b32 s10, s10
; %bb.17574:                            ;   in Loop: Header=BB6_16878 Depth=2
	v_mov_b32_e32 v39, v50
; %bb.17575:                            ;   in Loop: Header=BB6_16878 Depth=2
	s_or_b32 exec_lo, exec_lo, s10
.LBB6_17576:                            ;   in Loop: Header=BB6_16878 Depth=2
	s_delay_alu instid0(SALU_CYCLE_1)
	s_or_b32 exec_lo, exec_lo, s27
                                        ; implicit-def: $vgpr50
.LBB6_17577:                            ;   in Loop: Header=BB6_16878 Depth=2
	s_and_not1_saveexec_b32 s10, s26
; %bb.17578:                            ;   in Loop: Header=BB6_16878 Depth=2
	v_or_b32_e32 v39, 0x7e, v50
; %bb.17579:                            ;   in Loop: Header=BB6_16878 Depth=2
	s_or_b32 exec_lo, exec_lo, s10
                                        ; implicit-def: $vgpr15
.LBB6_17580:                            ;   in Loop: Header=BB6_16878 Depth=2
	s_and_not1_saveexec_b32 s10, s11
; %bb.17581:                            ;   in Loop: Header=BB6_16878 Depth=2
	v_or_b32_e32 v39, 0x7f, v15
; %bb.17582:                            ;   in Loop: Header=BB6_16878 Depth=2
	s_or_b32 exec_lo, exec_lo, s10
	flat_load_u8 v14, v[12:13] offset:800 th:TH_LOAD_NT
	v_mov_b32_e32 v15, 0
	s_mov_b32 s10, exec_lo
	s_wait_loadcnt_dscnt 0x0
	s_wait_xcnt 0x0
	v_cmpx_ne_u16_e32 0, v14
	s_cbranch_execz .LBB6_17590
; %bb.17583:                            ;   in Loop: Header=BB6_16878 Depth=2
	v_bfrev_b32_e32 v15, 1
	s_mov_b32 s11, exec_lo
	v_cmpx_ne_u16_e32 0x80, v14
	s_cbranch_execz .LBB6_17589
; %bb.17584:                            ;   in Loop: Header=BB6_16878 Depth=2
	v_and_b32_e32 v17, 0xffff, v14
	v_mov_b32_e32 v15, 0x7f800001
	s_mov_b32 s26, exec_lo
	s_delay_alu instid0(VALU_DEP_2) | instskip(NEXT) | instid1(VALU_DEP_1)
	v_and_b32_e32 v16, 0x7f, v17
	v_cmpx_ne_u32_e32 0x7f, v16
	s_cbranch_execz .LBB6_17588
; %bb.17585:                            ;   in Loop: Header=BB6_16878 Depth=2
	v_dual_lshrrev_b32 v15, 3, v16 :: v_dual_bitop2_b32 v54, 7, v17 bitop3:0x40
	s_mov_b32 s27, exec_lo
	v_cmpx_gt_u32_e32 8, v16
; %bb.17586:                            ;   in Loop: Header=BB6_16878 Depth=2
	s_delay_alu instid0(VALU_DEP_2) | instskip(NEXT) | instid1(VALU_DEP_1)
	v_clz_i32_u32_e32 v15, v54
	v_min_u32_e32 v15, 32, v15
	s_delay_alu instid0(VALU_DEP_1) | instskip(NEXT) | instid1(VALU_DEP_1)
	v_subrev_nc_u32_e32 v16, 28, v15
	v_lshlrev_b64_e32 v[16:17], v16, v[54:55]
	s_delay_alu instid0(VALU_DEP_1)
	v_dual_sub_nc_u32 v15, 29, v15 :: v_dual_bitop2_b32 v54, 7, v16 bitop3:0x40
; %bb.17587:                            ;   in Loop: Header=BB6_16878 Depth=2
	s_or_b32 exec_lo, exec_lo, s27
	v_lshlrev_b32_e32 v14, 24, v14
	s_delay_alu instid0(VALU_DEP_2) | instskip(NEXT) | instid1(VALU_DEP_3)
	v_lshlrev_b32_e32 v16, 20, v54
	v_lshl_add_u32 v15, v15, 23, 0x3c000000
	s_delay_alu instid0(VALU_DEP_3) | instskip(NEXT) | instid1(VALU_DEP_1)
	v_and_b32_e32 v14, 0x80000000, v14
	v_or3_b32 v15, v16, v14, v15
.LBB6_17588:                            ;   in Loop: Header=BB6_16878 Depth=2
	s_or_b32 exec_lo, exec_lo, s26
.LBB6_17589:                            ;   in Loop: Header=BB6_16878 Depth=2
	s_delay_alu instid0(SALU_CYCLE_1)
	s_or_b32 exec_lo, exec_lo, s11
.LBB6_17590:                            ;   in Loop: Header=BB6_16878 Depth=2
	s_delay_alu instid0(SALU_CYCLE_1) | instskip(NEXT) | instid1(VALU_DEP_1)
	s_or_b32 exec_lo, exec_lo, s10
	v_mul_f32_e32 v14, s25, v15
                                        ; implicit-def: $vgpr50
	s_mov_b32 s10, exec_lo
	s_delay_alu instid0(VALU_DEP_1) | instskip(SKIP_1) | instid1(VALU_DEP_2)
	v_and_b32_e32 v54, 0x7f800000, v14
	v_lshrrev_b32_e32 v15, 24, v14
	v_cmpx_ne_u64_e32 0x7f800000, v[54:55]
	s_xor_b32 s11, exec_lo, s10
	s_cbranch_execz .LBB6_17608
; %bb.17591:                            ;   in Loop: Header=BB6_16878 Depth=2
	v_and_b32_e32 v54, 0x7fffffff, v14
	v_and_b32_e32 v51, 0x80, v15
                                        ; implicit-def: $vgpr50
	s_mov_b32 s10, exec_lo
	s_delay_alu instid0(VALU_DEP_2)
	v_cmpx_gt_u64_e32 0x43e00001, v[54:55]
	s_xor_b32 s26, exec_lo, s10
	s_cbranch_execz .LBB6_17605
; %bb.17592:                            ;   in Loop: Header=BB6_16878 Depth=2
	v_mov_b32_e32 v50, 0
	s_mov_b32 s27, exec_lo
	v_cmpx_ne_u32_e32 0, v14
	s_cbranch_execz .LBB6_17604
; %bb.17593:                            ;   in Loop: Header=BB6_16878 Depth=2
	v_bfe_u32 v50, v14, 23, 8
	v_and_b32_e32 v16, 0x7fffff, v14
	s_delay_alu instid0(VALU_DEP_2) | instskip(NEXT) | instid1(VALU_DEP_2)
	v_cmp_gt_u32_e32 vcc_lo, 0x7a, v50
	v_or_b32_e32 v17, 0x800000, v16
	v_sub_nc_u32_e32 v15, 0x79, v50
	s_delay_alu instid0(VALU_DEP_1) | instskip(SKIP_1) | instid1(VALU_DEP_2)
	v_cndmask_b32_e32 v15, 0, v15, vcc_lo
	v_cmp_eq_u32_e32 vcc_lo, 0, v50
	v_cndmask_b32_e64 v52, v15, 0x78, vcc_lo
	v_cndmask_b32_e32 v54, v17, v16, vcc_lo
	s_delay_alu instid0(VALU_DEP_2) | instskip(NEXT) | instid1(VALU_DEP_1)
	v_dual_add_nc_u32 v14, 20, v52 :: v_dual_add_nc_u32 v53, 19, v52
	v_lshlrev_b64_e64 v[14:15], v14, -1
	s_delay_alu instid0(VALU_DEP_2) | instskip(NEXT) | instid1(VALU_DEP_2)
	v_lshlrev_b64_e64 v[16:17], v53, 1
	v_bfi_b32 v65, v15, 0, 0
	s_delay_alu instid0(VALU_DEP_3) | instskip(SKIP_1) | instid1(VALU_DEP_2)
	v_bfi_b32 v64, v14, 0, v54
	v_lshrrev_b64 v[14:15], v52, v[54:55]
	v_cmp_eq_u64_e64 s10, v[64:65], v[16:17]
	s_delay_alu instid0(VALU_DEP_2)
	v_mov_b64_e32 v[16:17], v[14:15]
	s_and_saveexec_b32 s28, s10
; %bb.17594:                            ;   in Loop: Header=BB6_16878 Depth=2
	v_bfe_u32 v54, v14, 20, 1
	s_delay_alu instid0(VALU_DEP_1) | instskip(NEXT) | instid1(VALU_DEP_1)
	v_add_nc_u64_e32 v[16:17], v[14:15], v[54:55]
	v_add_nc_u64_e32 v[16:17], -1, v[16:17]
; %bb.17595:                            ;   in Loop: Header=BB6_16878 Depth=2
	s_or_b32 exec_lo, exec_lo, s28
	v_add_nc_u32_e32 v15, 0xffffff81, v50
	v_lshrrev_b32_e32 v17, 23, v14
	s_mov_b32 s10, exec_lo
	s_delay_alu instid0(VALU_DEP_2) | instskip(NEXT) | instid1(VALU_DEP_1)
	v_cndmask_b32_e64 v15, v15, 0xffffff82, vcc_lo
	v_add3_u32 v17, v52, v15, v17
	v_and_b32_e32 v15, 0xfffff, v16
                                        ; implicit-def: $vgpr16
	s_delay_alu instid0(VALU_DEP_1) | instskip(NEXT) | instid1(VALU_DEP_1)
	v_dual_add_nc_u32 v50, 6, v17 :: v_dual_add_nc_u32 v54, v15, v14
                                        ; implicit-def: $vgpr14_vgpr15
	v_cmpx_ne_u32_e32 0, v50
	s_xor_b32 s10, exec_lo, s10
; %bb.17596:                            ;   in Loop: Header=BB6_16878 Depth=2
	s_delay_alu instid0(VALU_DEP_2) | instskip(SKIP_1) | instid1(VALU_DEP_1)
	v_cmp_lt_u64_e32 vcc_lo, 0xffffff, v[54:55]
	v_add_nc_u32_e32 v14, 7, v17
	v_cndmask_b32_e32 v16, v50, v14, vcc_lo
	v_cndmask_b32_e64 v14, 0, 1, vcc_lo
	s_delay_alu instid0(VALU_DEP_1)
	v_lshrrev_b64 v[14:15], v14, v[54:55]
; %bb.17597:                            ;   in Loop: Header=BB6_16878 Depth=2
	s_and_not1_saveexec_b32 s10, s10
; %bb.17598:                            ;   in Loop: Header=BB6_16878 Depth=2
	v_mov_b64_e32 v[14:15], v[54:55]
	v_bfe_u32 v16, v54, 23, 1
; %bb.17599:                            ;   in Loop: Header=BB6_16878 Depth=2
	s_or_b32 exec_lo, exec_lo, s10
	s_delay_alu instid0(VALU_DEP_2) | instskip(NEXT) | instid1(VALU_DEP_2)
	v_lshrrev_b64 v[14:15], 20, v[14:15]
	v_cmp_gt_i32_e32 vcc_lo, 16, v16
	v_cmp_ne_u32_e64 s10, 0, v16
                                        ; implicit-def: $vgpr50
	s_delay_alu instid0(VALU_DEP_3) | instskip(NEXT) | instid1(VALU_DEP_1)
	v_dual_cndmask_b32 v15, 0, v15 :: v_dual_cndmask_b32 v14, 7, v14
	v_cmp_ne_u64_e32 vcc_lo, 0, v[14:15]
	s_or_b32 s10, s10, vcc_lo
	s_delay_alu instid0(SALU_CYCLE_1) | instskip(NEXT) | instid1(SALU_CYCLE_1)
	s_and_saveexec_b32 s28, s10
	s_xor_b32 s10, exec_lo, s28
; %bb.17600:                            ;   in Loop: Header=BB6_16878 Depth=2
	v_min_i32_e32 v15, 15, v16
	s_delay_alu instid0(VALU_DEP_1) | instskip(NEXT) | instid1(VALU_DEP_1)
	v_lshl_or_b32 v15, v15, 3, v51
                                        ; implicit-def: $vgpr51
	v_and_or_b32 v50, v14, 7, v15
; %bb.17601:                            ;   in Loop: Header=BB6_16878 Depth=2
	s_and_not1_saveexec_b32 s10, s10
; %bb.17602:                            ;   in Loop: Header=BB6_16878 Depth=2
	v_mov_b32_e32 v50, v51
; %bb.17603:                            ;   in Loop: Header=BB6_16878 Depth=2
	s_or_b32 exec_lo, exec_lo, s10
.LBB6_17604:                            ;   in Loop: Header=BB6_16878 Depth=2
	s_delay_alu instid0(SALU_CYCLE_1)
	s_or_b32 exec_lo, exec_lo, s27
                                        ; implicit-def: $vgpr51
.LBB6_17605:                            ;   in Loop: Header=BB6_16878 Depth=2
	s_and_not1_saveexec_b32 s10, s26
; %bb.17606:                            ;   in Loop: Header=BB6_16878 Depth=2
	v_or_b32_e32 v50, 0x7e, v51
; %bb.17607:                            ;   in Loop: Header=BB6_16878 Depth=2
	s_or_b32 exec_lo, exec_lo, s10
                                        ; implicit-def: $vgpr15
.LBB6_17608:                            ;   in Loop: Header=BB6_16878 Depth=2
	s_and_not1_saveexec_b32 s10, s11
; %bb.17609:                            ;   in Loop: Header=BB6_16878 Depth=2
	v_or_b32_e32 v50, 0x7f, v15
; %bb.17610:                            ;   in Loop: Header=BB6_16878 Depth=2
	s_or_b32 exec_lo, exec_lo, s10
	flat_load_u8 v14, v[12:13] offset:832 th:TH_LOAD_NT
	v_mov_b32_e32 v15, 0
	s_mov_b32 s10, exec_lo
	s_wait_loadcnt_dscnt 0x0
	s_wait_xcnt 0x0
	v_cmpx_ne_u16_e32 0, v14
	s_cbranch_execz .LBB6_17618
; %bb.17611:                            ;   in Loop: Header=BB6_16878 Depth=2
	v_bfrev_b32_e32 v15, 1
	s_mov_b32 s11, exec_lo
	v_cmpx_ne_u16_e32 0x80, v14
	s_cbranch_execz .LBB6_17617
; %bb.17612:                            ;   in Loop: Header=BB6_16878 Depth=2
	v_and_b32_e32 v17, 0xffff, v14
	v_mov_b32_e32 v15, 0x7f800001
	s_mov_b32 s26, exec_lo
	s_delay_alu instid0(VALU_DEP_2) | instskip(NEXT) | instid1(VALU_DEP_1)
	v_and_b32_e32 v16, 0x7f, v17
	v_cmpx_ne_u32_e32 0x7f, v16
	s_cbranch_execz .LBB6_17616
; %bb.17613:                            ;   in Loop: Header=BB6_16878 Depth=2
	v_dual_lshrrev_b32 v15, 3, v16 :: v_dual_bitop2_b32 v54, 7, v17 bitop3:0x40
	s_mov_b32 s27, exec_lo
	v_cmpx_gt_u32_e32 8, v16
; %bb.17614:                            ;   in Loop: Header=BB6_16878 Depth=2
	s_delay_alu instid0(VALU_DEP_2) | instskip(NEXT) | instid1(VALU_DEP_1)
	v_clz_i32_u32_e32 v15, v54
	v_min_u32_e32 v15, 32, v15
	s_delay_alu instid0(VALU_DEP_1) | instskip(NEXT) | instid1(VALU_DEP_1)
	v_subrev_nc_u32_e32 v16, 28, v15
	v_lshlrev_b64_e32 v[16:17], v16, v[54:55]
	s_delay_alu instid0(VALU_DEP_1)
	v_dual_sub_nc_u32 v15, 29, v15 :: v_dual_bitop2_b32 v54, 7, v16 bitop3:0x40
; %bb.17615:                            ;   in Loop: Header=BB6_16878 Depth=2
	s_or_b32 exec_lo, exec_lo, s27
	v_lshlrev_b32_e32 v14, 24, v14
	s_delay_alu instid0(VALU_DEP_2) | instskip(NEXT) | instid1(VALU_DEP_3)
	v_lshlrev_b32_e32 v16, 20, v54
	v_lshl_add_u32 v15, v15, 23, 0x3c000000
	s_delay_alu instid0(VALU_DEP_3) | instskip(NEXT) | instid1(VALU_DEP_1)
	v_and_b32_e32 v14, 0x80000000, v14
	v_or3_b32 v15, v16, v14, v15
.LBB6_17616:                            ;   in Loop: Header=BB6_16878 Depth=2
	s_or_b32 exec_lo, exec_lo, s26
.LBB6_17617:                            ;   in Loop: Header=BB6_16878 Depth=2
	s_delay_alu instid0(SALU_CYCLE_1)
	s_or_b32 exec_lo, exec_lo, s11
.LBB6_17618:                            ;   in Loop: Header=BB6_16878 Depth=2
	s_delay_alu instid0(SALU_CYCLE_1) | instskip(NEXT) | instid1(VALU_DEP_1)
	s_or_b32 exec_lo, exec_lo, s10
	v_mul_f32_e32 v14, s25, v15
                                        ; implicit-def: $vgpr51
	s_mov_b32 s10, exec_lo
	s_delay_alu instid0(VALU_DEP_1) | instskip(SKIP_1) | instid1(VALU_DEP_2)
	v_and_b32_e32 v54, 0x7f800000, v14
	v_lshrrev_b32_e32 v15, 24, v14
	v_cmpx_ne_u64_e32 0x7f800000, v[54:55]
	s_xor_b32 s11, exec_lo, s10
	s_cbranch_execz .LBB6_17636
; %bb.17619:                            ;   in Loop: Header=BB6_16878 Depth=2
	v_and_b32_e32 v54, 0x7fffffff, v14
	v_and_b32_e32 v52, 0x80, v15
                                        ; implicit-def: $vgpr51
	s_mov_b32 s10, exec_lo
	s_delay_alu instid0(VALU_DEP_2)
	v_cmpx_gt_u64_e32 0x43e00001, v[54:55]
	s_xor_b32 s26, exec_lo, s10
	s_cbranch_execz .LBB6_17633
; %bb.17620:                            ;   in Loop: Header=BB6_16878 Depth=2
	v_mov_b32_e32 v51, 0
	s_mov_b32 s27, exec_lo
	v_cmpx_ne_u32_e32 0, v14
	s_cbranch_execz .LBB6_17632
; %bb.17621:                            ;   in Loop: Header=BB6_16878 Depth=2
	v_bfe_u32 v51, v14, 23, 8
	v_and_b32_e32 v16, 0x7fffff, v14
	s_delay_alu instid0(VALU_DEP_2) | instskip(NEXT) | instid1(VALU_DEP_2)
	v_cmp_gt_u32_e32 vcc_lo, 0x7a, v51
	v_or_b32_e32 v17, 0x800000, v16
	v_sub_nc_u32_e32 v15, 0x79, v51
	s_delay_alu instid0(VALU_DEP_1) | instskip(SKIP_1) | instid1(VALU_DEP_2)
	v_cndmask_b32_e32 v15, 0, v15, vcc_lo
	v_cmp_eq_u32_e32 vcc_lo, 0, v51
	v_cndmask_b32_e64 v53, v15, 0x78, vcc_lo
	s_delay_alu instid0(VALU_DEP_1) | instskip(SKIP_1) | instid1(VALU_DEP_2)
	v_dual_cndmask_b32 v54, v17, v16, vcc_lo :: v_dual_add_nc_u32 v14, 20, v53
	v_add_nc_u32_e32 v64, 19, v53
	v_lshlrev_b64_e64 v[14:15], v14, -1
	s_delay_alu instid0(VALU_DEP_2) | instskip(NEXT) | instid1(VALU_DEP_2)
	v_lshlrev_b64_e64 v[16:17], v64, 1
	v_bfi_b32 v65, v15, 0, 0
	s_delay_alu instid0(VALU_DEP_3) | instskip(SKIP_1) | instid1(VALU_DEP_2)
	v_bfi_b32 v64, v14, 0, v54
	v_lshrrev_b64 v[14:15], v53, v[54:55]
	v_cmp_eq_u64_e64 s10, v[64:65], v[16:17]
	s_delay_alu instid0(VALU_DEP_2)
	v_mov_b64_e32 v[16:17], v[14:15]
	s_and_saveexec_b32 s28, s10
; %bb.17622:                            ;   in Loop: Header=BB6_16878 Depth=2
	v_bfe_u32 v54, v14, 20, 1
	s_delay_alu instid0(VALU_DEP_1) | instskip(NEXT) | instid1(VALU_DEP_1)
	v_add_nc_u64_e32 v[16:17], v[14:15], v[54:55]
	v_add_nc_u64_e32 v[16:17], -1, v[16:17]
; %bb.17623:                            ;   in Loop: Header=BB6_16878 Depth=2
	s_or_b32 exec_lo, exec_lo, s28
	v_add_nc_u32_e32 v15, 0xffffff81, v51
	v_lshrrev_b32_e32 v17, 23, v14
	s_mov_b32 s10, exec_lo
	s_delay_alu instid0(VALU_DEP_2) | instskip(NEXT) | instid1(VALU_DEP_1)
	v_cndmask_b32_e64 v15, v15, 0xffffff82, vcc_lo
	v_add3_u32 v17, v53, v15, v17
	v_and_b32_e32 v15, 0xfffff, v16
                                        ; implicit-def: $vgpr16
	s_delay_alu instid0(VALU_DEP_1) | instskip(NEXT) | instid1(VALU_DEP_1)
	v_dual_add_nc_u32 v51, 6, v17 :: v_dual_add_nc_u32 v54, v15, v14
                                        ; implicit-def: $vgpr14_vgpr15
	v_cmpx_ne_u32_e32 0, v51
	s_xor_b32 s10, exec_lo, s10
; %bb.17624:                            ;   in Loop: Header=BB6_16878 Depth=2
	s_delay_alu instid0(VALU_DEP_2) | instskip(SKIP_1) | instid1(VALU_DEP_1)
	v_cmp_lt_u64_e32 vcc_lo, 0xffffff, v[54:55]
	v_add_nc_u32_e32 v14, 7, v17
	v_cndmask_b32_e32 v16, v51, v14, vcc_lo
	v_cndmask_b32_e64 v14, 0, 1, vcc_lo
	s_delay_alu instid0(VALU_DEP_1)
	v_lshrrev_b64 v[14:15], v14, v[54:55]
; %bb.17625:                            ;   in Loop: Header=BB6_16878 Depth=2
	s_and_not1_saveexec_b32 s10, s10
; %bb.17626:                            ;   in Loop: Header=BB6_16878 Depth=2
	v_mov_b64_e32 v[14:15], v[54:55]
	v_bfe_u32 v16, v54, 23, 1
; %bb.17627:                            ;   in Loop: Header=BB6_16878 Depth=2
	s_or_b32 exec_lo, exec_lo, s10
	s_delay_alu instid0(VALU_DEP_2) | instskip(NEXT) | instid1(VALU_DEP_2)
	v_lshrrev_b64 v[14:15], 20, v[14:15]
	v_cmp_gt_i32_e32 vcc_lo, 16, v16
	v_cmp_ne_u32_e64 s10, 0, v16
                                        ; implicit-def: $vgpr51
	s_delay_alu instid0(VALU_DEP_3) | instskip(NEXT) | instid1(VALU_DEP_1)
	v_dual_cndmask_b32 v15, 0, v15 :: v_dual_cndmask_b32 v14, 7, v14
	v_cmp_ne_u64_e32 vcc_lo, 0, v[14:15]
	s_or_b32 s10, s10, vcc_lo
	s_delay_alu instid0(SALU_CYCLE_1) | instskip(NEXT) | instid1(SALU_CYCLE_1)
	s_and_saveexec_b32 s28, s10
	s_xor_b32 s10, exec_lo, s28
; %bb.17628:                            ;   in Loop: Header=BB6_16878 Depth=2
	v_min_i32_e32 v15, 15, v16
	s_delay_alu instid0(VALU_DEP_1) | instskip(NEXT) | instid1(VALU_DEP_1)
	v_lshl_or_b32 v15, v15, 3, v52
                                        ; implicit-def: $vgpr52
	v_and_or_b32 v51, v14, 7, v15
; %bb.17629:                            ;   in Loop: Header=BB6_16878 Depth=2
	s_and_not1_saveexec_b32 s10, s10
; %bb.17630:                            ;   in Loop: Header=BB6_16878 Depth=2
	v_mov_b32_e32 v51, v52
; %bb.17631:                            ;   in Loop: Header=BB6_16878 Depth=2
	s_or_b32 exec_lo, exec_lo, s10
.LBB6_17632:                            ;   in Loop: Header=BB6_16878 Depth=2
	s_delay_alu instid0(SALU_CYCLE_1)
	s_or_b32 exec_lo, exec_lo, s27
                                        ; implicit-def: $vgpr52
.LBB6_17633:                            ;   in Loop: Header=BB6_16878 Depth=2
	s_and_not1_saveexec_b32 s10, s26
; %bb.17634:                            ;   in Loop: Header=BB6_16878 Depth=2
	v_or_b32_e32 v51, 0x7e, v52
; %bb.17635:                            ;   in Loop: Header=BB6_16878 Depth=2
	s_or_b32 exec_lo, exec_lo, s10
                                        ; implicit-def: $vgpr15
.LBB6_17636:                            ;   in Loop: Header=BB6_16878 Depth=2
	s_and_not1_saveexec_b32 s10, s11
; %bb.17637:                            ;   in Loop: Header=BB6_16878 Depth=2
	v_or_b32_e32 v51, 0x7f, v15
; %bb.17638:                            ;   in Loop: Header=BB6_16878 Depth=2
	s_or_b32 exec_lo, exec_lo, s10
	flat_load_u8 v14, v[12:13] offset:864 th:TH_LOAD_NT
	v_mov_b32_e32 v15, 0
	s_mov_b32 s10, exec_lo
	s_wait_loadcnt_dscnt 0x0
	s_wait_xcnt 0x0
	v_cmpx_ne_u16_e32 0, v14
	s_cbranch_execz .LBB6_17646
; %bb.17639:                            ;   in Loop: Header=BB6_16878 Depth=2
	v_bfrev_b32_e32 v15, 1
	s_mov_b32 s11, exec_lo
	v_cmpx_ne_u16_e32 0x80, v14
	s_cbranch_execz .LBB6_17645
; %bb.17640:                            ;   in Loop: Header=BB6_16878 Depth=2
	v_and_b32_e32 v17, 0xffff, v14
	v_mov_b32_e32 v15, 0x7f800001
	s_mov_b32 s26, exec_lo
	s_delay_alu instid0(VALU_DEP_2) | instskip(NEXT) | instid1(VALU_DEP_1)
	v_and_b32_e32 v16, 0x7f, v17
	v_cmpx_ne_u32_e32 0x7f, v16
	s_cbranch_execz .LBB6_17644
; %bb.17641:                            ;   in Loop: Header=BB6_16878 Depth=2
	v_dual_lshrrev_b32 v15, 3, v16 :: v_dual_bitop2_b32 v54, 7, v17 bitop3:0x40
	s_mov_b32 s27, exec_lo
	v_cmpx_gt_u32_e32 8, v16
; %bb.17642:                            ;   in Loop: Header=BB6_16878 Depth=2
	s_delay_alu instid0(VALU_DEP_2) | instskip(NEXT) | instid1(VALU_DEP_1)
	v_clz_i32_u32_e32 v15, v54
	v_min_u32_e32 v15, 32, v15
	s_delay_alu instid0(VALU_DEP_1) | instskip(NEXT) | instid1(VALU_DEP_1)
	v_subrev_nc_u32_e32 v16, 28, v15
	v_lshlrev_b64_e32 v[16:17], v16, v[54:55]
	s_delay_alu instid0(VALU_DEP_1)
	v_dual_sub_nc_u32 v15, 29, v15 :: v_dual_bitop2_b32 v54, 7, v16 bitop3:0x40
; %bb.17643:                            ;   in Loop: Header=BB6_16878 Depth=2
	s_or_b32 exec_lo, exec_lo, s27
	v_lshlrev_b32_e32 v14, 24, v14
	s_delay_alu instid0(VALU_DEP_2) | instskip(NEXT) | instid1(VALU_DEP_3)
	v_lshlrev_b32_e32 v16, 20, v54
	v_lshl_add_u32 v15, v15, 23, 0x3c000000
	s_delay_alu instid0(VALU_DEP_3) | instskip(NEXT) | instid1(VALU_DEP_1)
	v_and_b32_e32 v14, 0x80000000, v14
	v_or3_b32 v15, v16, v14, v15
.LBB6_17644:                            ;   in Loop: Header=BB6_16878 Depth=2
	s_or_b32 exec_lo, exec_lo, s26
.LBB6_17645:                            ;   in Loop: Header=BB6_16878 Depth=2
	s_delay_alu instid0(SALU_CYCLE_1)
	s_or_b32 exec_lo, exec_lo, s11
.LBB6_17646:                            ;   in Loop: Header=BB6_16878 Depth=2
	s_delay_alu instid0(SALU_CYCLE_1) | instskip(NEXT) | instid1(VALU_DEP_1)
	s_or_b32 exec_lo, exec_lo, s10
	v_mul_f32_e32 v14, s25, v15
                                        ; implicit-def: $vgpr52
	s_mov_b32 s10, exec_lo
	s_delay_alu instid0(VALU_DEP_1) | instskip(SKIP_1) | instid1(VALU_DEP_2)
	v_and_b32_e32 v54, 0x7f800000, v14
	v_lshrrev_b32_e32 v15, 24, v14
	v_cmpx_ne_u64_e32 0x7f800000, v[54:55]
	s_xor_b32 s11, exec_lo, s10
	s_cbranch_execz .LBB6_17664
; %bb.17647:                            ;   in Loop: Header=BB6_16878 Depth=2
	v_and_b32_e32 v54, 0x7fffffff, v14
	v_and_b32_e32 v53, 0x80, v15
                                        ; implicit-def: $vgpr52
	s_mov_b32 s10, exec_lo
	s_delay_alu instid0(VALU_DEP_2)
	v_cmpx_gt_u64_e32 0x43e00001, v[54:55]
	s_xor_b32 s26, exec_lo, s10
	s_cbranch_execz .LBB6_17661
; %bb.17648:                            ;   in Loop: Header=BB6_16878 Depth=2
	v_mov_b32_e32 v52, 0
	s_mov_b32 s27, exec_lo
	v_cmpx_ne_u32_e32 0, v14
	s_cbranch_execz .LBB6_17660
; %bb.17649:                            ;   in Loop: Header=BB6_16878 Depth=2
	v_bfe_u32 v52, v14, 23, 8
	v_and_b32_e32 v16, 0x7fffff, v14
	s_delay_alu instid0(VALU_DEP_2) | instskip(SKIP_1) | instid1(VALU_DEP_3)
	v_sub_nc_u32_e32 v15, 0x79, v52
	v_cmp_gt_u32_e32 vcc_lo, 0x7a, v52
	v_or_b32_e32 v17, 0x800000, v16
	s_delay_alu instid0(VALU_DEP_3) | instskip(SKIP_1) | instid1(VALU_DEP_2)
	v_cndmask_b32_e32 v15, 0, v15, vcc_lo
	v_cmp_eq_u32_e32 vcc_lo, 0, v52
	v_cndmask_b32_e64 v64, v15, 0x78, vcc_lo
	s_delay_alu instid0(VALU_DEP_4) | instskip(NEXT) | instid1(VALU_DEP_2)
	v_cndmask_b32_e32 v54, v17, v16, vcc_lo
	v_dual_add_nc_u32 v14, 20, v64 :: v_dual_add_nc_u32 v65, 19, v64
	s_delay_alu instid0(VALU_DEP_1) | instskip(NEXT) | instid1(VALU_DEP_2)
	v_lshlrev_b64_e64 v[14:15], v14, -1
	v_lshlrev_b64_e64 v[16:17], v65, 1
	s_delay_alu instid0(VALU_DEP_2) | instskip(NEXT) | instid1(VALU_DEP_3)
	v_bfi_b32 v67, v15, 0, 0
	v_bfi_b32 v66, v14, 0, v54
	v_lshrrev_b64 v[14:15], v64, v[54:55]
	s_delay_alu instid0(VALU_DEP_2) | instskip(NEXT) | instid1(VALU_DEP_2)
	v_cmp_eq_u64_e64 s10, v[66:67], v[16:17]
	v_mov_b64_e32 v[16:17], v[14:15]
	s_and_saveexec_b32 s28, s10
; %bb.17650:                            ;   in Loop: Header=BB6_16878 Depth=2
	v_bfe_u32 v54, v14, 20, 1
	s_delay_alu instid0(VALU_DEP_1) | instskip(NEXT) | instid1(VALU_DEP_1)
	v_add_nc_u64_e32 v[16:17], v[14:15], v[54:55]
	v_add_nc_u64_e32 v[16:17], -1, v[16:17]
; %bb.17651:                            ;   in Loop: Header=BB6_16878 Depth=2
	s_or_b32 exec_lo, exec_lo, s28
	v_add_nc_u32_e32 v15, 0xffffff81, v52
	v_lshrrev_b32_e32 v17, 23, v14
	s_mov_b32 s10, exec_lo
	s_delay_alu instid0(VALU_DEP_2) | instskip(NEXT) | instid1(VALU_DEP_1)
	v_cndmask_b32_e64 v15, v15, 0xffffff82, vcc_lo
	v_add3_u32 v17, v64, v15, v17
	v_and_b32_e32 v15, 0xfffff, v16
                                        ; implicit-def: $vgpr16
	s_delay_alu instid0(VALU_DEP_1) | instskip(NEXT) | instid1(VALU_DEP_1)
	v_dual_add_nc_u32 v52, 6, v17 :: v_dual_add_nc_u32 v54, v15, v14
                                        ; implicit-def: $vgpr14_vgpr15
	v_cmpx_ne_u32_e32 0, v52
	s_xor_b32 s10, exec_lo, s10
; %bb.17652:                            ;   in Loop: Header=BB6_16878 Depth=2
	s_delay_alu instid0(VALU_DEP_2) | instskip(SKIP_1) | instid1(VALU_DEP_1)
	v_cmp_lt_u64_e32 vcc_lo, 0xffffff, v[54:55]
	v_add_nc_u32_e32 v14, 7, v17
	v_cndmask_b32_e32 v16, v52, v14, vcc_lo
	v_cndmask_b32_e64 v14, 0, 1, vcc_lo
	s_delay_alu instid0(VALU_DEP_1)
	v_lshrrev_b64 v[14:15], v14, v[54:55]
; %bb.17653:                            ;   in Loop: Header=BB6_16878 Depth=2
	s_and_not1_saveexec_b32 s10, s10
; %bb.17654:                            ;   in Loop: Header=BB6_16878 Depth=2
	v_mov_b64_e32 v[14:15], v[54:55]
	v_bfe_u32 v16, v54, 23, 1
; %bb.17655:                            ;   in Loop: Header=BB6_16878 Depth=2
	s_or_b32 exec_lo, exec_lo, s10
	s_delay_alu instid0(VALU_DEP_2) | instskip(NEXT) | instid1(VALU_DEP_2)
	v_lshrrev_b64 v[14:15], 20, v[14:15]
	v_cmp_gt_i32_e32 vcc_lo, 16, v16
	v_cmp_ne_u32_e64 s10, 0, v16
                                        ; implicit-def: $vgpr52
	s_delay_alu instid0(VALU_DEP_3) | instskip(NEXT) | instid1(VALU_DEP_1)
	v_dual_cndmask_b32 v15, 0, v15 :: v_dual_cndmask_b32 v14, 7, v14
	v_cmp_ne_u64_e32 vcc_lo, 0, v[14:15]
	s_or_b32 s10, s10, vcc_lo
	s_delay_alu instid0(SALU_CYCLE_1) | instskip(NEXT) | instid1(SALU_CYCLE_1)
	s_and_saveexec_b32 s28, s10
	s_xor_b32 s10, exec_lo, s28
; %bb.17656:                            ;   in Loop: Header=BB6_16878 Depth=2
	v_min_i32_e32 v15, 15, v16
	s_delay_alu instid0(VALU_DEP_1) | instskip(NEXT) | instid1(VALU_DEP_1)
	v_lshl_or_b32 v15, v15, 3, v53
                                        ; implicit-def: $vgpr53
	v_and_or_b32 v52, v14, 7, v15
; %bb.17657:                            ;   in Loop: Header=BB6_16878 Depth=2
	s_and_not1_saveexec_b32 s10, s10
; %bb.17658:                            ;   in Loop: Header=BB6_16878 Depth=2
	v_mov_b32_e32 v52, v53
; %bb.17659:                            ;   in Loop: Header=BB6_16878 Depth=2
	s_or_b32 exec_lo, exec_lo, s10
.LBB6_17660:                            ;   in Loop: Header=BB6_16878 Depth=2
	s_delay_alu instid0(SALU_CYCLE_1)
	s_or_b32 exec_lo, exec_lo, s27
                                        ; implicit-def: $vgpr53
.LBB6_17661:                            ;   in Loop: Header=BB6_16878 Depth=2
	s_and_not1_saveexec_b32 s10, s26
; %bb.17662:                            ;   in Loop: Header=BB6_16878 Depth=2
	v_or_b32_e32 v52, 0x7e, v53
; %bb.17663:                            ;   in Loop: Header=BB6_16878 Depth=2
	s_or_b32 exec_lo, exec_lo, s10
                                        ; implicit-def: $vgpr15
.LBB6_17664:                            ;   in Loop: Header=BB6_16878 Depth=2
	s_and_not1_saveexec_b32 s10, s11
; %bb.17665:                            ;   in Loop: Header=BB6_16878 Depth=2
	v_or_b32_e32 v52, 0x7f, v15
; %bb.17666:                            ;   in Loop: Header=BB6_16878 Depth=2
	s_or_b32 exec_lo, exec_lo, s10
	flat_load_u8 v14, v[12:13] offset:896 th:TH_LOAD_NT
	v_mov_b32_e32 v15, 0
	s_mov_b32 s10, exec_lo
	s_wait_loadcnt_dscnt 0x0
	s_wait_xcnt 0x0
	v_cmpx_ne_u16_e32 0, v14
	s_cbranch_execz .LBB6_17674
; %bb.17667:                            ;   in Loop: Header=BB6_16878 Depth=2
	v_bfrev_b32_e32 v15, 1
	s_mov_b32 s11, exec_lo
	v_cmpx_ne_u16_e32 0x80, v14
	s_cbranch_execz .LBB6_17673
; %bb.17668:                            ;   in Loop: Header=BB6_16878 Depth=2
	v_and_b32_e32 v17, 0xffff, v14
	v_mov_b32_e32 v15, 0x7f800001
	s_mov_b32 s26, exec_lo
	s_delay_alu instid0(VALU_DEP_2) | instskip(NEXT) | instid1(VALU_DEP_1)
	v_and_b32_e32 v16, 0x7f, v17
	v_cmpx_ne_u32_e32 0x7f, v16
	s_cbranch_execz .LBB6_17672
; %bb.17669:                            ;   in Loop: Header=BB6_16878 Depth=2
	v_dual_lshrrev_b32 v15, 3, v16 :: v_dual_bitop2_b32 v54, 7, v17 bitop3:0x40
	s_mov_b32 s27, exec_lo
	v_cmpx_gt_u32_e32 8, v16
; %bb.17670:                            ;   in Loop: Header=BB6_16878 Depth=2
	s_delay_alu instid0(VALU_DEP_2) | instskip(NEXT) | instid1(VALU_DEP_1)
	v_clz_i32_u32_e32 v15, v54
	v_min_u32_e32 v15, 32, v15
	s_delay_alu instid0(VALU_DEP_1) | instskip(NEXT) | instid1(VALU_DEP_1)
	v_subrev_nc_u32_e32 v16, 28, v15
	v_lshlrev_b64_e32 v[16:17], v16, v[54:55]
	s_delay_alu instid0(VALU_DEP_1)
	v_dual_sub_nc_u32 v15, 29, v15 :: v_dual_bitop2_b32 v54, 7, v16 bitop3:0x40
; %bb.17671:                            ;   in Loop: Header=BB6_16878 Depth=2
	s_or_b32 exec_lo, exec_lo, s27
	v_lshlrev_b32_e32 v14, 24, v14
	s_delay_alu instid0(VALU_DEP_2) | instskip(NEXT) | instid1(VALU_DEP_3)
	v_lshlrev_b32_e32 v16, 20, v54
	v_lshl_add_u32 v15, v15, 23, 0x3c000000
	s_delay_alu instid0(VALU_DEP_3) | instskip(NEXT) | instid1(VALU_DEP_1)
	v_and_b32_e32 v14, 0x80000000, v14
	v_or3_b32 v15, v16, v14, v15
.LBB6_17672:                            ;   in Loop: Header=BB6_16878 Depth=2
	s_or_b32 exec_lo, exec_lo, s26
.LBB6_17673:                            ;   in Loop: Header=BB6_16878 Depth=2
	s_delay_alu instid0(SALU_CYCLE_1)
	s_or_b32 exec_lo, exec_lo, s11
.LBB6_17674:                            ;   in Loop: Header=BB6_16878 Depth=2
	s_delay_alu instid0(SALU_CYCLE_1) | instskip(NEXT) | instid1(VALU_DEP_1)
	s_or_b32 exec_lo, exec_lo, s10
	v_mul_f32_e32 v14, s25, v15
                                        ; implicit-def: $vgpr53
	s_mov_b32 s10, exec_lo
	s_delay_alu instid0(VALU_DEP_1) | instskip(SKIP_1) | instid1(VALU_DEP_2)
	v_and_b32_e32 v54, 0x7f800000, v14
	v_lshrrev_b32_e32 v15, 24, v14
	v_cmpx_ne_u64_e32 0x7f800000, v[54:55]
	s_xor_b32 s11, exec_lo, s10
	s_cbranch_execz .LBB6_17692
; %bb.17675:                            ;   in Loop: Header=BB6_16878 Depth=2
	v_and_b32_e32 v54, 0x7fffffff, v14
	v_and_b32_e32 v64, 0x80, v15
                                        ; implicit-def: $vgpr53
	s_mov_b32 s10, exec_lo
	s_delay_alu instid0(VALU_DEP_2)
	v_cmpx_gt_u64_e32 0x43e00001, v[54:55]
	s_xor_b32 s26, exec_lo, s10
	s_cbranch_execz .LBB6_17689
; %bb.17676:                            ;   in Loop: Header=BB6_16878 Depth=2
	v_mov_b32_e32 v53, 0
	s_mov_b32 s27, exec_lo
	v_cmpx_ne_u32_e32 0, v14
	s_cbranch_execz .LBB6_17688
; %bb.17677:                            ;   in Loop: Header=BB6_16878 Depth=2
	v_bfe_u32 v53, v14, 23, 8
	v_and_b32_e32 v16, 0x7fffff, v14
	s_delay_alu instid0(VALU_DEP_2) | instskip(NEXT) | instid1(VALU_DEP_2)
	v_cmp_gt_u32_e32 vcc_lo, 0x7a, v53
	v_or_b32_e32 v17, 0x800000, v16
	v_sub_nc_u32_e32 v15, 0x79, v53
	s_delay_alu instid0(VALU_DEP_1) | instskip(SKIP_1) | instid1(VALU_DEP_2)
	v_cndmask_b32_e32 v15, 0, v15, vcc_lo
	v_cmp_eq_u32_e32 vcc_lo, 0, v53
	v_cndmask_b32_e64 v65, v15, 0x78, vcc_lo
	s_delay_alu instid0(VALU_DEP_1) | instskip(SKIP_1) | instid1(VALU_DEP_2)
	v_dual_cndmask_b32 v54, v17, v16, vcc_lo :: v_dual_add_nc_u32 v14, 20, v65
	v_add_nc_u32_e32 v66, 19, v65
	v_lshlrev_b64_e64 v[14:15], v14, -1
	s_delay_alu instid0(VALU_DEP_2) | instskip(NEXT) | instid1(VALU_DEP_2)
	v_lshlrev_b64_e64 v[16:17], v66, 1
	v_bfi_b32 v67, v15, 0, 0
	s_delay_alu instid0(VALU_DEP_3) | instskip(SKIP_1) | instid1(VALU_DEP_2)
	v_bfi_b32 v66, v14, 0, v54
	v_lshrrev_b64 v[14:15], v65, v[54:55]
	v_cmp_eq_u64_e64 s10, v[66:67], v[16:17]
	s_delay_alu instid0(VALU_DEP_2)
	v_mov_b64_e32 v[16:17], v[14:15]
	s_and_saveexec_b32 s28, s10
; %bb.17678:                            ;   in Loop: Header=BB6_16878 Depth=2
	v_bfe_u32 v54, v14, 20, 1
	s_delay_alu instid0(VALU_DEP_1) | instskip(NEXT) | instid1(VALU_DEP_1)
	v_add_nc_u64_e32 v[16:17], v[14:15], v[54:55]
	v_add_nc_u64_e32 v[16:17], -1, v[16:17]
; %bb.17679:                            ;   in Loop: Header=BB6_16878 Depth=2
	s_or_b32 exec_lo, exec_lo, s28
	v_add_nc_u32_e32 v15, 0xffffff81, v53
	v_lshrrev_b32_e32 v17, 23, v14
	s_mov_b32 s10, exec_lo
	s_delay_alu instid0(VALU_DEP_2) | instskip(NEXT) | instid1(VALU_DEP_1)
	v_cndmask_b32_e64 v15, v15, 0xffffff82, vcc_lo
	v_add3_u32 v17, v65, v15, v17
	v_and_b32_e32 v15, 0xfffff, v16
                                        ; implicit-def: $vgpr16
	s_delay_alu instid0(VALU_DEP_1) | instskip(NEXT) | instid1(VALU_DEP_1)
	v_dual_add_nc_u32 v53, 6, v17 :: v_dual_add_nc_u32 v54, v15, v14
                                        ; implicit-def: $vgpr14_vgpr15
	v_cmpx_ne_u32_e32 0, v53
	s_xor_b32 s10, exec_lo, s10
; %bb.17680:                            ;   in Loop: Header=BB6_16878 Depth=2
	s_delay_alu instid0(VALU_DEP_2) | instskip(SKIP_1) | instid1(VALU_DEP_1)
	v_cmp_lt_u64_e32 vcc_lo, 0xffffff, v[54:55]
	v_add_nc_u32_e32 v14, 7, v17
	v_cndmask_b32_e32 v16, v53, v14, vcc_lo
	v_cndmask_b32_e64 v14, 0, 1, vcc_lo
	s_delay_alu instid0(VALU_DEP_1)
	v_lshrrev_b64 v[14:15], v14, v[54:55]
; %bb.17681:                            ;   in Loop: Header=BB6_16878 Depth=2
	s_and_not1_saveexec_b32 s10, s10
; %bb.17682:                            ;   in Loop: Header=BB6_16878 Depth=2
	v_mov_b64_e32 v[14:15], v[54:55]
	v_bfe_u32 v16, v54, 23, 1
; %bb.17683:                            ;   in Loop: Header=BB6_16878 Depth=2
	s_or_b32 exec_lo, exec_lo, s10
	s_delay_alu instid0(VALU_DEP_2) | instskip(NEXT) | instid1(VALU_DEP_2)
	v_lshrrev_b64 v[14:15], 20, v[14:15]
	v_cmp_gt_i32_e32 vcc_lo, 16, v16
	v_cmp_ne_u32_e64 s10, 0, v16
                                        ; implicit-def: $vgpr53
	s_delay_alu instid0(VALU_DEP_3) | instskip(NEXT) | instid1(VALU_DEP_1)
	v_dual_cndmask_b32 v15, 0, v15 :: v_dual_cndmask_b32 v14, 7, v14
	v_cmp_ne_u64_e32 vcc_lo, 0, v[14:15]
	s_or_b32 s10, s10, vcc_lo
	s_delay_alu instid0(SALU_CYCLE_1) | instskip(NEXT) | instid1(SALU_CYCLE_1)
	s_and_saveexec_b32 s28, s10
	s_xor_b32 s10, exec_lo, s28
; %bb.17684:                            ;   in Loop: Header=BB6_16878 Depth=2
	v_min_i32_e32 v15, 15, v16
	s_delay_alu instid0(VALU_DEP_1) | instskip(NEXT) | instid1(VALU_DEP_1)
	v_lshl_or_b32 v15, v15, 3, v64
                                        ; implicit-def: $vgpr64
	v_and_or_b32 v53, v14, 7, v15
; %bb.17685:                            ;   in Loop: Header=BB6_16878 Depth=2
	s_and_not1_saveexec_b32 s10, s10
; %bb.17686:                            ;   in Loop: Header=BB6_16878 Depth=2
	v_mov_b32_e32 v53, v64
; %bb.17687:                            ;   in Loop: Header=BB6_16878 Depth=2
	s_or_b32 exec_lo, exec_lo, s10
.LBB6_17688:                            ;   in Loop: Header=BB6_16878 Depth=2
	s_delay_alu instid0(SALU_CYCLE_1)
	s_or_b32 exec_lo, exec_lo, s27
                                        ; implicit-def: $vgpr64
.LBB6_17689:                            ;   in Loop: Header=BB6_16878 Depth=2
	s_and_not1_saveexec_b32 s10, s26
; %bb.17690:                            ;   in Loop: Header=BB6_16878 Depth=2
	v_or_b32_e32 v53, 0x7e, v64
; %bb.17691:                            ;   in Loop: Header=BB6_16878 Depth=2
	s_or_b32 exec_lo, exec_lo, s10
                                        ; implicit-def: $vgpr15
.LBB6_17692:                            ;   in Loop: Header=BB6_16878 Depth=2
	s_and_not1_saveexec_b32 s10, s11
; %bb.17693:                            ;   in Loop: Header=BB6_16878 Depth=2
	v_or_b32_e32 v53, 0x7f, v15
; %bb.17694:                            ;   in Loop: Header=BB6_16878 Depth=2
	s_or_b32 exec_lo, exec_lo, s10
	flat_load_u8 v14, v[12:13] offset:928 th:TH_LOAD_NT
	v_mov_b32_e32 v15, 0
	s_mov_b32 s10, exec_lo
	s_wait_loadcnt_dscnt 0x0
	s_wait_xcnt 0x0
	v_cmpx_ne_u16_e32 0, v14
	s_cbranch_execz .LBB6_17702
; %bb.17695:                            ;   in Loop: Header=BB6_16878 Depth=2
	v_bfrev_b32_e32 v15, 1
	s_mov_b32 s11, exec_lo
	v_cmpx_ne_u16_e32 0x80, v14
	s_cbranch_execz .LBB6_17701
; %bb.17696:                            ;   in Loop: Header=BB6_16878 Depth=2
	v_and_b32_e32 v17, 0xffff, v14
	v_mov_b32_e32 v15, 0x7f800001
	s_mov_b32 s26, exec_lo
	s_delay_alu instid0(VALU_DEP_2) | instskip(NEXT) | instid1(VALU_DEP_1)
	v_and_b32_e32 v16, 0x7f, v17
	v_cmpx_ne_u32_e32 0x7f, v16
	s_cbranch_execz .LBB6_17700
; %bb.17697:                            ;   in Loop: Header=BB6_16878 Depth=2
	v_dual_lshrrev_b32 v15, 3, v16 :: v_dual_bitop2_b32 v54, 7, v17 bitop3:0x40
	s_mov_b32 s27, exec_lo
	v_cmpx_gt_u32_e32 8, v16
; %bb.17698:                            ;   in Loop: Header=BB6_16878 Depth=2
	s_delay_alu instid0(VALU_DEP_2) | instskip(NEXT) | instid1(VALU_DEP_1)
	v_clz_i32_u32_e32 v15, v54
	v_min_u32_e32 v15, 32, v15
	s_delay_alu instid0(VALU_DEP_1) | instskip(NEXT) | instid1(VALU_DEP_1)
	v_subrev_nc_u32_e32 v16, 28, v15
	v_lshlrev_b64_e32 v[16:17], v16, v[54:55]
	s_delay_alu instid0(VALU_DEP_1)
	v_dual_sub_nc_u32 v15, 29, v15 :: v_dual_bitop2_b32 v54, 7, v16 bitop3:0x40
; %bb.17699:                            ;   in Loop: Header=BB6_16878 Depth=2
	s_or_b32 exec_lo, exec_lo, s27
	v_lshlrev_b32_e32 v14, 24, v14
	s_delay_alu instid0(VALU_DEP_2) | instskip(NEXT) | instid1(VALU_DEP_3)
	v_lshlrev_b32_e32 v16, 20, v54
	v_lshl_add_u32 v15, v15, 23, 0x3c000000
	s_delay_alu instid0(VALU_DEP_3) | instskip(NEXT) | instid1(VALU_DEP_1)
	v_and_b32_e32 v14, 0x80000000, v14
	v_or3_b32 v15, v16, v14, v15
.LBB6_17700:                            ;   in Loop: Header=BB6_16878 Depth=2
	s_or_b32 exec_lo, exec_lo, s26
.LBB6_17701:                            ;   in Loop: Header=BB6_16878 Depth=2
	s_delay_alu instid0(SALU_CYCLE_1)
	s_or_b32 exec_lo, exec_lo, s11
.LBB6_17702:                            ;   in Loop: Header=BB6_16878 Depth=2
	s_delay_alu instid0(SALU_CYCLE_1) | instskip(NEXT) | instid1(VALU_DEP_1)
	s_or_b32 exec_lo, exec_lo, s10
	v_mul_f32_e32 v14, s25, v15
                                        ; implicit-def: $vgpr64
	s_mov_b32 s10, exec_lo
	s_delay_alu instid0(VALU_DEP_1) | instskip(SKIP_1) | instid1(VALU_DEP_2)
	v_and_b32_e32 v54, 0x7f800000, v14
	v_lshrrev_b32_e32 v15, 24, v14
	v_cmpx_ne_u64_e32 0x7f800000, v[54:55]
	s_xor_b32 s11, exec_lo, s10
	s_cbranch_execz .LBB6_17720
; %bb.17703:                            ;   in Loop: Header=BB6_16878 Depth=2
	v_and_b32_e32 v54, 0x7fffffff, v14
	v_and_b32_e32 v65, 0x80, v15
                                        ; implicit-def: $vgpr64
	s_mov_b32 s10, exec_lo
	s_delay_alu instid0(VALU_DEP_2)
	v_cmpx_gt_u64_e32 0x43e00001, v[54:55]
	s_xor_b32 s26, exec_lo, s10
	s_cbranch_execz .LBB6_17717
; %bb.17704:                            ;   in Loop: Header=BB6_16878 Depth=2
	v_mov_b32_e32 v64, 0
	s_mov_b32 s27, exec_lo
	v_cmpx_ne_u32_e32 0, v14
	s_cbranch_execz .LBB6_17716
; %bb.17705:                            ;   in Loop: Header=BB6_16878 Depth=2
	v_bfe_u32 v64, v14, 23, 8
	v_and_b32_e32 v16, 0x7fffff, v14
	s_delay_alu instid0(VALU_DEP_2) | instskip(SKIP_1) | instid1(VALU_DEP_3)
	v_sub_nc_u32_e32 v15, 0x79, v64
	v_cmp_gt_u32_e32 vcc_lo, 0x7a, v64
	v_or_b32_e32 v17, 0x800000, v16
	s_delay_alu instid0(VALU_DEP_3) | instskip(SKIP_1) | instid1(VALU_DEP_2)
	v_cndmask_b32_e32 v15, 0, v15, vcc_lo
	v_cmp_eq_u32_e32 vcc_lo, 0, v64
	v_cndmask_b32_e64 v66, v15, 0x78, vcc_lo
	s_delay_alu instid0(VALU_DEP_1) | instskip(SKIP_1) | instid1(VALU_DEP_2)
	v_dual_cndmask_b32 v54, v17, v16 :: v_dual_add_nc_u32 v67, 19, v66
	v_add_nc_u32_e32 v14, 20, v66
	v_lshlrev_b64_e64 v[16:17], v67, 1
	s_delay_alu instid0(VALU_DEP_2) | instskip(NEXT) | instid1(VALU_DEP_1)
	v_lshlrev_b64_e64 v[14:15], v14, -1
	v_bfi_b32 v69, v15, 0, 0
	s_delay_alu instid0(VALU_DEP_2) | instskip(SKIP_1) | instid1(VALU_DEP_2)
	v_bfi_b32 v68, v14, 0, v54
	v_lshrrev_b64 v[14:15], v66, v[54:55]
	v_cmp_eq_u64_e64 s10, v[68:69], v[16:17]
	s_delay_alu instid0(VALU_DEP_2)
	v_mov_b64_e32 v[16:17], v[14:15]
	s_and_saveexec_b32 s28, s10
; %bb.17706:                            ;   in Loop: Header=BB6_16878 Depth=2
	v_bfe_u32 v54, v14, 20, 1
	s_delay_alu instid0(VALU_DEP_1) | instskip(NEXT) | instid1(VALU_DEP_1)
	v_add_nc_u64_e32 v[16:17], v[14:15], v[54:55]
	v_add_nc_u64_e32 v[16:17], -1, v[16:17]
; %bb.17707:                            ;   in Loop: Header=BB6_16878 Depth=2
	s_or_b32 exec_lo, exec_lo, s28
	v_add_nc_u32_e32 v15, 0xffffff81, v64
	v_lshrrev_b32_e32 v17, 23, v14
	s_mov_b32 s10, exec_lo
	s_delay_alu instid0(VALU_DEP_2) | instskip(NEXT) | instid1(VALU_DEP_1)
	v_cndmask_b32_e64 v15, v15, 0xffffff82, vcc_lo
	v_add3_u32 v17, v66, v15, v17
	v_and_b32_e32 v15, 0xfffff, v16
                                        ; implicit-def: $vgpr16
	s_delay_alu instid0(VALU_DEP_1) | instskip(NEXT) | instid1(VALU_DEP_1)
	v_dual_add_nc_u32 v64, 6, v17 :: v_dual_add_nc_u32 v54, v15, v14
                                        ; implicit-def: $vgpr14_vgpr15
	v_cmpx_ne_u32_e32 0, v64
	s_xor_b32 s10, exec_lo, s10
; %bb.17708:                            ;   in Loop: Header=BB6_16878 Depth=2
	s_delay_alu instid0(VALU_DEP_2) | instskip(SKIP_1) | instid1(VALU_DEP_1)
	v_cmp_lt_u64_e32 vcc_lo, 0xffffff, v[54:55]
	v_add_nc_u32_e32 v14, 7, v17
	v_cndmask_b32_e32 v16, v64, v14, vcc_lo
	v_cndmask_b32_e64 v14, 0, 1, vcc_lo
	s_delay_alu instid0(VALU_DEP_1)
	v_lshrrev_b64 v[14:15], v14, v[54:55]
; %bb.17709:                            ;   in Loop: Header=BB6_16878 Depth=2
	s_and_not1_saveexec_b32 s10, s10
; %bb.17710:                            ;   in Loop: Header=BB6_16878 Depth=2
	v_mov_b64_e32 v[14:15], v[54:55]
	v_bfe_u32 v16, v54, 23, 1
; %bb.17711:                            ;   in Loop: Header=BB6_16878 Depth=2
	s_or_b32 exec_lo, exec_lo, s10
	s_delay_alu instid0(VALU_DEP_2) | instskip(NEXT) | instid1(VALU_DEP_2)
	v_lshrrev_b64 v[14:15], 20, v[14:15]
	v_cmp_gt_i32_e32 vcc_lo, 16, v16
	v_cmp_ne_u32_e64 s10, 0, v16
                                        ; implicit-def: $vgpr64
	s_delay_alu instid0(VALU_DEP_3) | instskip(NEXT) | instid1(VALU_DEP_1)
	v_dual_cndmask_b32 v15, 0, v15 :: v_dual_cndmask_b32 v14, 7, v14
	v_cmp_ne_u64_e32 vcc_lo, 0, v[14:15]
	s_or_b32 s10, s10, vcc_lo
	s_delay_alu instid0(SALU_CYCLE_1) | instskip(NEXT) | instid1(SALU_CYCLE_1)
	s_and_saveexec_b32 s28, s10
	s_xor_b32 s10, exec_lo, s28
; %bb.17712:                            ;   in Loop: Header=BB6_16878 Depth=2
	v_min_i32_e32 v15, 15, v16
	s_delay_alu instid0(VALU_DEP_1) | instskip(NEXT) | instid1(VALU_DEP_1)
	v_lshl_or_b32 v15, v15, 3, v65
                                        ; implicit-def: $vgpr65
	v_and_or_b32 v64, v14, 7, v15
; %bb.17713:                            ;   in Loop: Header=BB6_16878 Depth=2
	s_and_not1_saveexec_b32 s10, s10
; %bb.17714:                            ;   in Loop: Header=BB6_16878 Depth=2
	v_mov_b32_e32 v64, v65
; %bb.17715:                            ;   in Loop: Header=BB6_16878 Depth=2
	s_or_b32 exec_lo, exec_lo, s10
.LBB6_17716:                            ;   in Loop: Header=BB6_16878 Depth=2
	s_delay_alu instid0(SALU_CYCLE_1)
	s_or_b32 exec_lo, exec_lo, s27
                                        ; implicit-def: $vgpr65
.LBB6_17717:                            ;   in Loop: Header=BB6_16878 Depth=2
	s_and_not1_saveexec_b32 s10, s26
; %bb.17718:                            ;   in Loop: Header=BB6_16878 Depth=2
	v_or_b32_e32 v64, 0x7e, v65
; %bb.17719:                            ;   in Loop: Header=BB6_16878 Depth=2
	s_or_b32 exec_lo, exec_lo, s10
                                        ; implicit-def: $vgpr15
.LBB6_17720:                            ;   in Loop: Header=BB6_16878 Depth=2
	s_and_not1_saveexec_b32 s10, s11
; %bb.17721:                            ;   in Loop: Header=BB6_16878 Depth=2
	v_or_b32_e32 v64, 0x7f, v15
; %bb.17722:                            ;   in Loop: Header=BB6_16878 Depth=2
	s_or_b32 exec_lo, exec_lo, s10
	flat_load_u8 v14, v[12:13] offset:960 th:TH_LOAD_NT
	v_mov_b32_e32 v15, 0
	s_mov_b32 s10, exec_lo
	s_wait_loadcnt_dscnt 0x0
	s_wait_xcnt 0x0
	v_cmpx_ne_u16_e32 0, v14
	s_cbranch_execz .LBB6_17730
; %bb.17723:                            ;   in Loop: Header=BB6_16878 Depth=2
	v_bfrev_b32_e32 v15, 1
	s_mov_b32 s11, exec_lo
	v_cmpx_ne_u16_e32 0x80, v14
	s_cbranch_execz .LBB6_17729
; %bb.17724:                            ;   in Loop: Header=BB6_16878 Depth=2
	v_and_b32_e32 v17, 0xffff, v14
	v_mov_b32_e32 v15, 0x7f800001
	s_mov_b32 s26, exec_lo
	s_delay_alu instid0(VALU_DEP_2) | instskip(NEXT) | instid1(VALU_DEP_1)
	v_and_b32_e32 v16, 0x7f, v17
	v_cmpx_ne_u32_e32 0x7f, v16
	s_cbranch_execz .LBB6_17728
; %bb.17725:                            ;   in Loop: Header=BB6_16878 Depth=2
	v_dual_lshrrev_b32 v15, 3, v16 :: v_dual_bitop2_b32 v54, 7, v17 bitop3:0x40
	s_mov_b32 s27, exec_lo
	v_cmpx_gt_u32_e32 8, v16
; %bb.17726:                            ;   in Loop: Header=BB6_16878 Depth=2
	s_delay_alu instid0(VALU_DEP_2) | instskip(NEXT) | instid1(VALU_DEP_1)
	v_clz_i32_u32_e32 v15, v54
	v_min_u32_e32 v15, 32, v15
	s_delay_alu instid0(VALU_DEP_1) | instskip(NEXT) | instid1(VALU_DEP_1)
	v_subrev_nc_u32_e32 v16, 28, v15
	v_lshlrev_b64_e32 v[16:17], v16, v[54:55]
	s_delay_alu instid0(VALU_DEP_1)
	v_dual_sub_nc_u32 v15, 29, v15 :: v_dual_bitop2_b32 v54, 7, v16 bitop3:0x40
; %bb.17727:                            ;   in Loop: Header=BB6_16878 Depth=2
	s_or_b32 exec_lo, exec_lo, s27
	v_lshlrev_b32_e32 v14, 24, v14
	s_delay_alu instid0(VALU_DEP_2) | instskip(NEXT) | instid1(VALU_DEP_3)
	v_lshlrev_b32_e32 v16, 20, v54
	v_lshl_add_u32 v15, v15, 23, 0x3c000000
	s_delay_alu instid0(VALU_DEP_3) | instskip(NEXT) | instid1(VALU_DEP_1)
	v_and_b32_e32 v14, 0x80000000, v14
	v_or3_b32 v15, v16, v14, v15
.LBB6_17728:                            ;   in Loop: Header=BB6_16878 Depth=2
	s_or_b32 exec_lo, exec_lo, s26
.LBB6_17729:                            ;   in Loop: Header=BB6_16878 Depth=2
	s_delay_alu instid0(SALU_CYCLE_1)
	s_or_b32 exec_lo, exec_lo, s11
.LBB6_17730:                            ;   in Loop: Header=BB6_16878 Depth=2
	s_delay_alu instid0(SALU_CYCLE_1) | instskip(NEXT) | instid1(VALU_DEP_1)
	s_or_b32 exec_lo, exec_lo, s10
	v_mul_f32_e32 v14, s25, v15
                                        ; implicit-def: $vgpr16
	s_mov_b32 s10, exec_lo
	s_delay_alu instid0(VALU_DEP_1) | instskip(SKIP_1) | instid1(VALU_DEP_2)
	v_and_b32_e32 v54, 0x7f800000, v14
	v_lshrrev_b32_e32 v15, 24, v14
	v_cmpx_ne_u64_e32 0x7f800000, v[54:55]
	s_xor_b32 s11, exec_lo, s10
	s_cbranch_execz .LBB6_17748
; %bb.17731:                            ;   in Loop: Header=BB6_16878 Depth=2
	v_and_b32_e32 v54, 0x7fffffff, v14
	v_and_b32_e32 v65, 0x80, v15
                                        ; implicit-def: $vgpr16
	s_mov_b32 s10, exec_lo
	s_delay_alu instid0(VALU_DEP_2)
	v_cmpx_gt_u64_e32 0x43e00001, v[54:55]
	s_xor_b32 s26, exec_lo, s10
	s_cbranch_execz .LBB6_17745
; %bb.17732:                            ;   in Loop: Header=BB6_16878 Depth=2
	v_mov_b32_e32 v16, 0
	s_mov_b32 s27, exec_lo
	v_cmpx_ne_u32_e32 0, v14
	s_cbranch_execz .LBB6_17744
; %bb.17733:                            ;   in Loop: Header=BB6_16878 Depth=2
	v_bfe_u32 v66, v14, 23, 8
	v_and_b32_e32 v16, 0x7fffff, v14
	s_delay_alu instid0(VALU_DEP_2) | instskip(NEXT) | instid1(VALU_DEP_2)
	v_cmp_gt_u32_e32 vcc_lo, 0x7a, v66
	v_or_b32_e32 v17, 0x800000, v16
	v_sub_nc_u32_e32 v15, 0x79, v66
	s_delay_alu instid0(VALU_DEP_1) | instskip(SKIP_1) | instid1(VALU_DEP_2)
	v_cndmask_b32_e32 v15, 0, v15, vcc_lo
	v_cmp_eq_u32_e32 vcc_lo, 0, v66
	v_cndmask_b32_e64 v67, v15, 0x78, vcc_lo
	s_delay_alu instid0(VALU_DEP_1) | instskip(SKIP_1) | instid1(VALU_DEP_2)
	v_dual_cndmask_b32 v54, v17, v16, vcc_lo :: v_dual_add_nc_u32 v14, 20, v67
	v_add_nc_u32_e32 v68, 19, v67
	v_lshlrev_b64_e64 v[14:15], v14, -1
	s_delay_alu instid0(VALU_DEP_2) | instskip(NEXT) | instid1(VALU_DEP_2)
	v_lshlrev_b64_e64 v[16:17], v68, 1
	v_bfi_b32 v69, v15, 0, 0
	s_delay_alu instid0(VALU_DEP_3) | instskip(SKIP_1) | instid1(VALU_DEP_2)
	v_bfi_b32 v68, v14, 0, v54
	v_lshrrev_b64 v[14:15], v67, v[54:55]
	v_cmp_eq_u64_e64 s10, v[68:69], v[16:17]
	s_delay_alu instid0(VALU_DEP_2)
	v_mov_b64_e32 v[16:17], v[14:15]
	s_and_saveexec_b32 s28, s10
; %bb.17734:                            ;   in Loop: Header=BB6_16878 Depth=2
	v_bfe_u32 v54, v14, 20, 1
	s_delay_alu instid0(VALU_DEP_1) | instskip(NEXT) | instid1(VALU_DEP_1)
	v_add_nc_u64_e32 v[16:17], v[14:15], v[54:55]
	v_add_nc_u64_e32 v[16:17], -1, v[16:17]
; %bb.17735:                            ;   in Loop: Header=BB6_16878 Depth=2
	s_or_b32 exec_lo, exec_lo, s28
	v_add_nc_u32_e32 v15, 0xffffff81, v66
	v_lshrrev_b32_e32 v17, 23, v14
	s_mov_b32 s10, exec_lo
	s_delay_alu instid0(VALU_DEP_2) | instskip(NEXT) | instid1(VALU_DEP_1)
	v_cndmask_b32_e64 v15, v15, 0xffffff82, vcc_lo
	v_add3_u32 v66, v67, v15, v17
	v_and_b32_e32 v15, 0xfffff, v16
                                        ; implicit-def: $vgpr17
	s_delay_alu instid0(VALU_DEP_2) | instskip(NEXT) | instid1(VALU_DEP_2)
	v_add_nc_u32_e32 v16, 6, v66
	v_add_nc_u32_e32 v54, v15, v14
                                        ; implicit-def: $vgpr14_vgpr15
	s_delay_alu instid0(VALU_DEP_2)
	v_cmpx_ne_u32_e32 0, v16
	s_xor_b32 s10, exec_lo, s10
; %bb.17736:                            ;   in Loop: Header=BB6_16878 Depth=2
	s_delay_alu instid0(VALU_DEP_2) | instskip(SKIP_1) | instid1(VALU_DEP_1)
	v_cmp_lt_u64_e32 vcc_lo, 0xffffff, v[54:55]
	v_add_nc_u32_e32 v14, 7, v66
	v_cndmask_b32_e32 v17, v16, v14, vcc_lo
	v_cndmask_b32_e64 v14, 0, 1, vcc_lo
	s_delay_alu instid0(VALU_DEP_1)
	v_lshrrev_b64 v[14:15], v14, v[54:55]
; %bb.17737:                            ;   in Loop: Header=BB6_16878 Depth=2
	s_and_not1_saveexec_b32 s10, s10
; %bb.17738:                            ;   in Loop: Header=BB6_16878 Depth=2
	v_mov_b64_e32 v[14:15], v[54:55]
	v_bfe_u32 v17, v54, 23, 1
; %bb.17739:                            ;   in Loop: Header=BB6_16878 Depth=2
	s_or_b32 exec_lo, exec_lo, s10
	s_delay_alu instid0(VALU_DEP_2) | instskip(NEXT) | instid1(VALU_DEP_2)
	v_lshrrev_b64 v[14:15], 20, v[14:15]
	v_cmp_gt_i32_e32 vcc_lo, 16, v17
	v_cmp_ne_u32_e64 s10, 0, v17
                                        ; implicit-def: $vgpr16
	s_delay_alu instid0(VALU_DEP_3) | instskip(NEXT) | instid1(VALU_DEP_1)
	v_dual_cndmask_b32 v15, 0, v15 :: v_dual_cndmask_b32 v14, 7, v14
	v_cmp_ne_u64_e32 vcc_lo, 0, v[14:15]
	s_or_b32 s10, s10, vcc_lo
	s_delay_alu instid0(SALU_CYCLE_1) | instskip(NEXT) | instid1(SALU_CYCLE_1)
	s_and_saveexec_b32 s28, s10
	s_xor_b32 s10, exec_lo, s28
; %bb.17740:                            ;   in Loop: Header=BB6_16878 Depth=2
	v_min_i32_e32 v15, 15, v17
	s_delay_alu instid0(VALU_DEP_1) | instskip(NEXT) | instid1(VALU_DEP_1)
	v_lshl_or_b32 v15, v15, 3, v65
                                        ; implicit-def: $vgpr65
	v_and_or_b32 v16, v14, 7, v15
; %bb.17741:                            ;   in Loop: Header=BB6_16878 Depth=2
	s_and_not1_saveexec_b32 s10, s10
; %bb.17742:                            ;   in Loop: Header=BB6_16878 Depth=2
	v_mov_b32_e32 v16, v65
; %bb.17743:                            ;   in Loop: Header=BB6_16878 Depth=2
	s_or_b32 exec_lo, exec_lo, s10
.LBB6_17744:                            ;   in Loop: Header=BB6_16878 Depth=2
	s_delay_alu instid0(SALU_CYCLE_1)
	s_or_b32 exec_lo, exec_lo, s27
                                        ; implicit-def: $vgpr65
.LBB6_17745:                            ;   in Loop: Header=BB6_16878 Depth=2
	s_and_not1_saveexec_b32 s10, s26
; %bb.17746:                            ;   in Loop: Header=BB6_16878 Depth=2
	v_or_b32_e32 v16, 0x7e, v65
; %bb.17747:                            ;   in Loop: Header=BB6_16878 Depth=2
	s_or_b32 exec_lo, exec_lo, s10
                                        ; implicit-def: $vgpr15
.LBB6_17748:                            ;   in Loop: Header=BB6_16878 Depth=2
	s_and_not1_saveexec_b32 s10, s11
; %bb.17749:                            ;   in Loop: Header=BB6_16878 Depth=2
	v_or_b32_e32 v16, 0x7f, v15
; %bb.17750:                            ;   in Loop: Header=BB6_16878 Depth=2
	s_or_b32 exec_lo, exec_lo, s10
	flat_load_u8 v12, v[12:13] offset:992 th:TH_LOAD_NT
	s_wait_xcnt 0x0
	v_mov_b32_e32 v13, 0
	s_mov_b32 s10, exec_lo
	s_wait_loadcnt_dscnt 0x0
	v_cmpx_ne_u16_e32 0, v12
	s_cbranch_execz .LBB6_17758
; %bb.17751:                            ;   in Loop: Header=BB6_16878 Depth=2
	v_bfrev_b32_e32 v13, 1
	s_mov_b32 s11, exec_lo
	v_cmpx_ne_u16_e32 0x80, v12
	s_cbranch_execz .LBB6_17757
; %bb.17752:                            ;   in Loop: Header=BB6_16878 Depth=2
	v_and_b32_e32 v15, 0xffff, v12
	v_mov_b32_e32 v13, 0x7f800001
	s_mov_b32 s26, exec_lo
	s_delay_alu instid0(VALU_DEP_2) | instskip(NEXT) | instid1(VALU_DEP_1)
	v_and_b32_e32 v14, 0x7f, v15
	v_cmpx_ne_u32_e32 0x7f, v14
	s_cbranch_execz .LBB6_17756
; %bb.17753:                            ;   in Loop: Header=BB6_16878 Depth=2
	v_dual_lshrrev_b32 v13, 3, v14 :: v_dual_bitop2_b32 v54, 7, v15 bitop3:0x40
	s_mov_b32 s27, exec_lo
	v_cmpx_gt_u32_e32 8, v14
; %bb.17754:                            ;   in Loop: Header=BB6_16878 Depth=2
	s_delay_alu instid0(VALU_DEP_2) | instskip(NEXT) | instid1(VALU_DEP_1)
	v_clz_i32_u32_e32 v13, v54
	v_min_u32_e32 v13, 32, v13
	s_delay_alu instid0(VALU_DEP_1) | instskip(NEXT) | instid1(VALU_DEP_1)
	v_subrev_nc_u32_e32 v14, 28, v13
	v_lshlrev_b64_e32 v[14:15], v14, v[54:55]
	s_delay_alu instid0(VALU_DEP_1)
	v_dual_sub_nc_u32 v13, 29, v13 :: v_dual_bitop2_b32 v54, 7, v14 bitop3:0x40
; %bb.17755:                            ;   in Loop: Header=BB6_16878 Depth=2
	s_or_b32 exec_lo, exec_lo, s27
	s_delay_alu instid0(VALU_DEP_1) | instskip(NEXT) | instid1(VALU_DEP_2)
	v_dual_lshlrev_b32 v12, 24, v12 :: v_dual_lshlrev_b32 v14, 20, v54
	v_lshl_add_u32 v13, v13, 23, 0x3c000000
	s_delay_alu instid0(VALU_DEP_2) | instskip(NEXT) | instid1(VALU_DEP_1)
	v_and_b32_e32 v12, 0x80000000, v12
	v_or3_b32 v13, v14, v12, v13
.LBB6_17756:                            ;   in Loop: Header=BB6_16878 Depth=2
	s_or_b32 exec_lo, exec_lo, s26
.LBB6_17757:                            ;   in Loop: Header=BB6_16878 Depth=2
	s_delay_alu instid0(SALU_CYCLE_1)
	s_or_b32 exec_lo, exec_lo, s11
.LBB6_17758:                            ;   in Loop: Header=BB6_16878 Depth=2
	s_delay_alu instid0(SALU_CYCLE_1) | instskip(NEXT) | instid1(VALU_DEP_1)
	s_or_b32 exec_lo, exec_lo, s10
	v_mul_f32_e32 v12, s25, v13
                                        ; implicit-def: $vgpr13
	s_mov_b32 s10, exec_lo
	s_delay_alu instid0(VALU_DEP_1) | instskip(SKIP_1) | instid1(VALU_DEP_2)
	v_and_b32_e32 v54, 0x7f800000, v12
	v_lshrrev_b32_e32 v14, 24, v12
	v_cmpx_ne_u64_e32 0x7f800000, v[54:55]
	s_xor_b32 s11, exec_lo, s10
	s_cbranch_execz .LBB6_17776
; %bb.17759:                            ;   in Loop: Header=BB6_16878 Depth=2
	v_and_b32_e32 v54, 0x7fffffff, v12
	v_and_b32_e32 v17, 0x80, v14
                                        ; implicit-def: $vgpr13
	s_mov_b32 s10, exec_lo
	s_delay_alu instid0(VALU_DEP_2)
	v_cmpx_gt_u64_e32 0x43e00001, v[54:55]
	s_xor_b32 s25, exec_lo, s10
	s_cbranch_execz .LBB6_17773
; %bb.17760:                            ;   in Loop: Header=BB6_16878 Depth=2
	v_mov_b32_e32 v13, 0
	s_mov_b32 s26, exec_lo
	v_cmpx_ne_u32_e32 0, v12
	s_cbranch_execz .LBB6_17772
; %bb.17761:                            ;   in Loop: Header=BB6_16878 Depth=2
	v_bfe_u32 v65, v12, 23, 8
	v_and_b32_e32 v14, 0x7fffff, v12
	s_delay_alu instid0(VALU_DEP_2) | instskip(NEXT) | instid1(VALU_DEP_2)
	v_cmp_gt_u32_e32 vcc_lo, 0x7a, v65
	v_or_b32_e32 v15, 0x800000, v14
	v_sub_nc_u32_e32 v13, 0x79, v65
	s_delay_alu instid0(VALU_DEP_1) | instskip(SKIP_1) | instid1(VALU_DEP_2)
	v_cndmask_b32_e32 v13, 0, v13, vcc_lo
	v_cmp_eq_u32_e32 vcc_lo, 0, v65
	v_cndmask_b32_e64 v66, v13, 0x78, vcc_lo
	v_cndmask_b32_e32 v54, v15, v14, vcc_lo
	s_delay_alu instid0(VALU_DEP_2) | instskip(NEXT) | instid1(VALU_DEP_1)
	v_dual_add_nc_u32 v12, 20, v66 :: v_dual_add_nc_u32 v67, 19, v66
	v_lshlrev_b64_e64 v[12:13], v12, -1
	s_delay_alu instid0(VALU_DEP_2) | instskip(NEXT) | instid1(VALU_DEP_2)
	v_lshlrev_b64_e64 v[14:15], v67, 1
	v_bfi_b32 v69, v13, 0, 0
	s_delay_alu instid0(VALU_DEP_3) | instskip(SKIP_1) | instid1(VALU_DEP_2)
	v_bfi_b32 v68, v12, 0, v54
	v_lshrrev_b64 v[12:13], v66, v[54:55]
	v_cmp_eq_u64_e64 s10, v[68:69], v[14:15]
	s_delay_alu instid0(VALU_DEP_2)
	v_mov_b64_e32 v[14:15], v[12:13]
	s_and_saveexec_b32 s27, s10
; %bb.17762:                            ;   in Loop: Header=BB6_16878 Depth=2
	v_bfe_u32 v54, v12, 20, 1
	s_delay_alu instid0(VALU_DEP_1) | instskip(NEXT) | instid1(VALU_DEP_1)
	v_add_nc_u64_e32 v[14:15], v[12:13], v[54:55]
	v_add_nc_u64_e32 v[14:15], -1, v[14:15]
; %bb.17763:                            ;   in Loop: Header=BB6_16878 Depth=2
	s_or_b32 exec_lo, exec_lo, s27
	v_add_nc_u32_e32 v13, 0xffffff81, v65
	v_lshrrev_b32_e32 v15, 23, v12
	s_mov_b32 s10, exec_lo
	s_delay_alu instid0(VALU_DEP_2) | instskip(NEXT) | instid1(VALU_DEP_1)
	v_cndmask_b32_e64 v13, v13, 0xffffff82, vcc_lo
	v_add3_u32 v15, v66, v13, v15
	v_and_b32_e32 v13, 0xfffff, v14
                                        ; implicit-def: $vgpr14
	s_delay_alu instid0(VALU_DEP_1) | instskip(NEXT) | instid1(VALU_DEP_1)
	v_dual_add_nc_u32 v65, 6, v15 :: v_dual_add_nc_u32 v54, v13, v12
                                        ; implicit-def: $vgpr12_vgpr13
	v_cmpx_ne_u32_e32 0, v65
	s_xor_b32 s10, exec_lo, s10
; %bb.17764:                            ;   in Loop: Header=BB6_16878 Depth=2
	s_delay_alu instid0(VALU_DEP_2) | instskip(SKIP_1) | instid1(VALU_DEP_1)
	v_cmp_lt_u64_e32 vcc_lo, 0xffffff, v[54:55]
	v_add_nc_u32_e32 v12, 7, v15
	v_cndmask_b32_e32 v14, v65, v12, vcc_lo
	v_cndmask_b32_e64 v12, 0, 1, vcc_lo
	s_delay_alu instid0(VALU_DEP_1)
	v_lshrrev_b64 v[12:13], v12, v[54:55]
; %bb.17765:                            ;   in Loop: Header=BB6_16878 Depth=2
	s_and_not1_saveexec_b32 s10, s10
; %bb.17766:                            ;   in Loop: Header=BB6_16878 Depth=2
	v_mov_b64_e32 v[12:13], v[54:55]
	v_bfe_u32 v14, v54, 23, 1
; %bb.17767:                            ;   in Loop: Header=BB6_16878 Depth=2
	s_or_b32 exec_lo, exec_lo, s10
	s_delay_alu instid0(VALU_DEP_2) | instskip(NEXT) | instid1(VALU_DEP_2)
	v_lshrrev_b64 v[12:13], 20, v[12:13]
	v_cmp_gt_i32_e32 vcc_lo, 16, v14
	v_cmp_ne_u32_e64 s10, 0, v14
	s_delay_alu instid0(VALU_DEP_3) | instskip(NEXT) | instid1(VALU_DEP_1)
	v_dual_cndmask_b32 v13, 0, v13 :: v_dual_cndmask_b32 v12, 7, v12
	v_cmp_ne_u64_e32 vcc_lo, 0, v[12:13]
                                        ; implicit-def: $vgpr13
	s_or_b32 s10, s10, vcc_lo
	s_delay_alu instid0(SALU_CYCLE_1) | instskip(NEXT) | instid1(SALU_CYCLE_1)
	s_and_saveexec_b32 s27, s10
	s_xor_b32 s10, exec_lo, s27
; %bb.17768:                            ;   in Loop: Header=BB6_16878 Depth=2
	v_min_i32_e32 v13, 15, v14
	s_delay_alu instid0(VALU_DEP_1) | instskip(NEXT) | instid1(VALU_DEP_1)
	v_lshl_or_b32 v13, v13, 3, v17
                                        ; implicit-def: $vgpr17
	v_and_or_b32 v13, v12, 7, v13
; %bb.17769:                            ;   in Loop: Header=BB6_16878 Depth=2
	s_and_not1_saveexec_b32 s10, s10
; %bb.17770:                            ;   in Loop: Header=BB6_16878 Depth=2
	v_mov_b32_e32 v13, v17
; %bb.17771:                            ;   in Loop: Header=BB6_16878 Depth=2
	s_or_b32 exec_lo, exec_lo, s10
.LBB6_17772:                            ;   in Loop: Header=BB6_16878 Depth=2
	s_delay_alu instid0(SALU_CYCLE_1)
	s_or_b32 exec_lo, exec_lo, s26
                                        ; implicit-def: $vgpr17
.LBB6_17773:                            ;   in Loop: Header=BB6_16878 Depth=2
	s_and_not1_saveexec_b32 s10, s25
; %bb.17774:                            ;   in Loop: Header=BB6_16878 Depth=2
	v_or_b32_e32 v13, 0x7e, v17
; %bb.17775:                            ;   in Loop: Header=BB6_16878 Depth=2
	s_or_b32 exec_lo, exec_lo, s10
                                        ; implicit-def: $vgpr14
.LBB6_17776:                            ;   in Loop: Header=BB6_16878 Depth=2
	s_and_not1_saveexec_b32 s10, s11
	s_cbranch_execz .LBB6_16877
; %bb.17777:                            ;   in Loop: Header=BB6_16878 Depth=2
	v_or_b32_e32 v13, 0x7f, v14
	s_branch .LBB6_16877
.LBB6_17778:                            ;   in Loop: Header=BB6_13392 Depth=1
	s_or_b32 exec_lo, exec_lo, s24
.LBB6_17779:                            ;   in Loop: Header=BB6_13392 Depth=1
	s_delay_alu instid0(SALU_CYCLE_1) | instskip(SKIP_1) | instid1(VALU_DEP_1)
	s_or_b32 exec_lo, exec_lo, s23
	v_and_b32_e32 v5, 0xfffffc00, v1
	v_cmp_ne_u32_e32 vcc_lo, v1, v5
	s_and_b32 exec_lo, exec_lo, vcc_lo
	s_cbranch_execz .LBB6_17815
; %bb.17780:                            ;   in Loop: Header=BB6_13392 Depth=1
	v_dual_lshlrev_b32 v3, 5, v3 :: v_dual_lshlrev_b32 v4, 5, v4
	v_and_b32_e32 v1, 0x3ff, v1
	s_delay_alu instid0(VALU_DEP_2) | instskip(NEXT) | instid1(VALU_DEP_1)
	v_sub_nc_u32_e32 v2, v2, v3
	v_sub_nc_u32_e32 v2, v2, v4
	s_delay_alu instid0(VALU_DEP_1) | instskip(NEXT) | instid1(VALU_DEP_1)
	v_sub_nc_u32_e32 v1, v1, v2
	v_cmp_lt_i32_e32 vcc_lo, 0, v1
	s_and_b32 exec_lo, exec_lo, vcc_lo
	s_cbranch_execz .LBB6_17815
; %bb.17781:                            ;   in Loop: Header=BB6_13392 Depth=1
	s_trap 2
	ds_load_b64 v[10:11], v0
	v_add3_u32 v12, v5, v0, v2
	s_mov_b32 s23, 0
	s_delay_alu instid0(VALU_DEP_1)
	v_ashrrev_i32_e32 v13, 31, v12
	s_branch .LBB6_17783
.LBB6_17782:                            ;   in Loop: Header=BB6_17783 Depth=2
	s_or_b32 exec_lo, exec_lo, s10
	v_sub_nc_u32_e32 v1, v1, v86
	v_add_nc_u64_e32 v[12:13], v[12:13], v[86:87]
	flat_store_b8 v[14:15], v2 th:TH_STORE_NT
	v_cmp_gt_i32_e32 vcc_lo, 1, v1
	s_or_b32 s23, vcc_lo, s23
	s_wait_xcnt 0x0
	s_and_not1_b32 exec_lo, exec_lo, s23
	s_cbranch_execz .LBB6_17815
.LBB6_17783:                            ;   Parent Loop BB6_13392 Depth=1
                                        ; =>  This Inner Loop Header: Depth=2
	s_trap 2
	ds_load_b64 v[2:3], v0
	s_mov_b32 s24, 0
	s_wait_dscnt 0x0
	v_and_b32_e32 v0, 0xff, v2
	v_readfirstlane_b32 s10, v2
	v_readfirstlane_b32 s11, v3
	s_delay_alu instid0(VALU_DEP_3)
	v_cmp_eq_u32_e32 vcc_lo, 0, v0
	s_cbranch_vccnz .LBB6_17787
; %bb.17784:                            ;   in Loop: Header=BB6_17783 Depth=2
	v_cmp_eq_u32_e32 vcc_lo, 0x80, v0
	s_brev_b32 s24, 1
	s_cbranch_vccnz .LBB6_17787
; %bb.17785:                            ;   in Loop: Header=BB6_17783 Depth=2
	s_and_b32 s25, s10, 0x7f
	s_mov_b32 s24, 0x7f800001
	s_cmp_eq_u32 s25, 0x7f
	s_cbranch_scc1 .LBB6_17787
; %bb.17786:                            ;   in Loop: Header=BB6_17783 Depth=2
	s_and_b32 s24, s10, 7
	s_lshr_b32 s26, s25, 3
	s_clz_i32_u32 s24, s24
	s_delay_alu instid0(SALU_CYCLE_1) | instskip(NEXT) | instid1(SALU_CYCLE_1)
	s_min_u32 s24, s24, 32
	s_sub_co_i32 s27, s24, 28
	s_sub_co_i32 s24, 29, s24
	s_cmp_lt_u32 s25, 8
	s_cselect_b32 s25, s27, 0
	s_cselect_b32 s26, s24, s26
	s_lshl_b64 s[24:25], s[10:11], s25
	s_lshl_b32 s10, s10, 24
	s_lshl_b32 s11, s24, 20
	;; [unrolled: 1-line block ×3, first 2 shown]
	s_and_b32 s11, s11, 0x700000
	s_and_b32 s10, s10, 0x80000000
	s_add_co_i32 s24, s24, 0x3c000000
	s_or_b32 s10, s11, s10
	s_delay_alu instid0(SALU_CYCLE_1)
	s_or_b32 s24, s24, s10
.LBB6_17787:                            ;   in Loop: Header=BB6_17783 Depth=2
	v_add_nc_u64_e32 v[14:15], v[10:11], v[12:13]
	v_mov_b32_e32 v2, 0
	s_mov_b32 s10, exec_lo
	flat_load_u8 v0, v[14:15] th:TH_LOAD_NT
	s_wait_loadcnt_dscnt 0x0
	s_wait_xcnt 0x0
	v_cmpx_ne_u16_e32 0, v0
	s_cbranch_execz .LBB6_17795
; %bb.17788:                            ;   in Loop: Header=BB6_17783 Depth=2
	v_bfrev_b32_e32 v2, 1
	s_mov_b32 s11, exec_lo
	v_cmpx_ne_u16_e32 0x80, v0
	s_cbranch_execz .LBB6_17794
; %bb.17789:                            ;   in Loop: Header=BB6_17783 Depth=2
	v_and_b32_e32 v4, 0xffff, v0
	v_mov_b32_e32 v2, 0x7f800001
	s_mov_b32 s25, exec_lo
	s_delay_alu instid0(VALU_DEP_2) | instskip(NEXT) | instid1(VALU_DEP_1)
	v_and_b32_e32 v3, 0x7f, v4
	v_cmpx_ne_u32_e32 0x7f, v3
	s_cbranch_execz .LBB6_17793
; %bb.17790:                            ;   in Loop: Header=BB6_17783 Depth=2
	v_dual_lshrrev_b32 v2, 3, v3 :: v_dual_bitop2_b32 v54, 7, v4 bitop3:0x40
	s_mov_b32 s26, exec_lo
	v_cmpx_gt_u32_e32 8, v3
; %bb.17791:                            ;   in Loop: Header=BB6_17783 Depth=2
	s_delay_alu instid0(VALU_DEP_2) | instskip(NEXT) | instid1(VALU_DEP_1)
	v_clz_i32_u32_e32 v2, v54
	v_min_u32_e32 v2, 32, v2
	s_delay_alu instid0(VALU_DEP_1) | instskip(NEXT) | instid1(VALU_DEP_1)
	v_subrev_nc_u32_e32 v3, 28, v2
	v_lshlrev_b64_e32 v[4:5], v3, v[54:55]
	s_delay_alu instid0(VALU_DEP_1)
	v_dual_sub_nc_u32 v2, 29, v2 :: v_dual_bitop2_b32 v54, 7, v4 bitop3:0x40
; %bb.17792:                            ;   in Loop: Header=BB6_17783 Depth=2
	s_or_b32 exec_lo, exec_lo, s26
	s_delay_alu instid0(VALU_DEP_1) | instskip(NEXT) | instid1(VALU_DEP_2)
	v_dual_lshlrev_b32 v0, 24, v0 :: v_dual_lshlrev_b32 v3, 20, v54
	v_lshl_add_u32 v2, v2, 23, 0x3c000000
	s_delay_alu instid0(VALU_DEP_2) | instskip(NEXT) | instid1(VALU_DEP_1)
	v_and_b32_e32 v0, 0x80000000, v0
	v_or3_b32 v2, v3, v0, v2
.LBB6_17793:                            ;   in Loop: Header=BB6_17783 Depth=2
	s_or_b32 exec_lo, exec_lo, s25
.LBB6_17794:                            ;   in Loop: Header=BB6_17783 Depth=2
	s_delay_alu instid0(SALU_CYCLE_1)
	s_or_b32 exec_lo, exec_lo, s11
.LBB6_17795:                            ;   in Loop: Header=BB6_17783 Depth=2
	s_delay_alu instid0(SALU_CYCLE_1) | instskip(NEXT) | instid1(VALU_DEP_1)
	s_or_b32 exec_lo, exec_lo, s10
	v_mul_f32_e32 v3, s24, v2
                                        ; implicit-def: $vgpr2
	s_mov_b32 s10, exec_lo
	s_delay_alu instid0(VALU_DEP_1) | instskip(SKIP_1) | instid1(VALU_DEP_2)
	v_and_b32_e32 v54, 0x7f800000, v3
	v_lshrrev_b32_e32 v0, 24, v3
	v_cmpx_ne_u64_e32 0x7f800000, v[54:55]
	s_xor_b32 s11, exec_lo, s10
	s_cbranch_execz .LBB6_17813
; %bb.17796:                            ;   in Loop: Header=BB6_17783 Depth=2
	v_and_b32_e32 v54, 0x7fffffff, v3
	v_and_b32_e32 v0, 0x80, v0
                                        ; implicit-def: $vgpr2
	s_mov_b32 s10, exec_lo
	s_delay_alu instid0(VALU_DEP_2)
	v_cmpx_gt_u64_e32 0x43e00001, v[54:55]
	s_xor_b32 s24, exec_lo, s10
	s_cbranch_execz .LBB6_17810
; %bb.17797:                            ;   in Loop: Header=BB6_17783 Depth=2
	v_mov_b32_e32 v2, 0
	s_mov_b32 s25, exec_lo
	v_cmpx_ne_u32_e32 0, v3
	s_cbranch_execz .LBB6_17809
; %bb.17798:                            ;   in Loop: Header=BB6_17783 Depth=2
	v_bfe_u32 v2, v3, 23, 8
	v_and_b32_e32 v3, 0x7fffff, v3
	s_mov_b32 s26, exec_lo
	s_delay_alu instid0(VALU_DEP_2) | instskip(SKIP_1) | instid1(VALU_DEP_3)
	v_sub_nc_u32_e32 v4, 0x79, v2
	v_cmp_gt_u32_e32 vcc_lo, 0x7a, v2
	v_or_b32_e32 v8, 0x800000, v3
	s_delay_alu instid0(VALU_DEP_3) | instskip(SKIP_1) | instid1(VALU_DEP_3)
	v_cndmask_b32_e32 v4, 0, v4, vcc_lo
	v_cmp_eq_u32_e32 vcc_lo, 0, v2
	v_cndmask_b32_e32 v54, v8, v3, vcc_lo
	s_delay_alu instid0(VALU_DEP_3) | instskip(NEXT) | instid1(VALU_DEP_1)
	v_cndmask_b32_e64 v4, v4, 0x78, vcc_lo
	v_add_nc_u32_e32 v5, 20, v4
	s_delay_alu instid0(VALU_DEP_3) | instskip(NEXT) | instid1(VALU_DEP_2)
	v_lshrrev_b64 v[16:17], v4, v[54:55]
	v_lshlrev_b64_e64 v[6:7], v5, -1
	v_add_nc_u32_e32 v5, 19, v4
	s_delay_alu instid0(VALU_DEP_3) | instskip(NEXT) | instid1(VALU_DEP_2)
	v_mov_b64_e32 v[18:19], v[16:17]
	v_lshlrev_b64_e64 v[8:9], v5, 1
	s_delay_alu instid0(VALU_DEP_4) | instskip(SKIP_1) | instid1(VALU_DEP_1)
	v_bfi_b32 v7, v7, 0, 0
	v_bfi_b32 v6, v6, 0, v54
	v_cmpx_eq_u64_e64 v[6:7], v[8:9]
; %bb.17799:                            ;   in Loop: Header=BB6_17783 Depth=2
	v_bfe_u32 v54, v16, 20, 1
	s_delay_alu instid0(VALU_DEP_1) | instskip(NEXT) | instid1(VALU_DEP_1)
	v_add_nc_u64_e32 v[6:7], v[16:17], v[54:55]
	v_add_nc_u64_e32 v[18:19], -1, v[6:7]
; %bb.17800:                            ;   in Loop: Header=BB6_17783 Depth=2
	s_or_b32 exec_lo, exec_lo, s26
	v_add_nc_u32_e32 v2, 0xffffff81, v2
	v_lshrrev_b32_e32 v3, 23, v16
	s_mov_b32 s10, exec_lo
	s_delay_alu instid0(VALU_DEP_2) | instskip(NEXT) | instid1(VALU_DEP_1)
	v_cndmask_b32_e64 v2, v2, 0xffffff82, vcc_lo
	v_add3_u32 v2, v4, v2, v3
	v_and_b32_e32 v3, 0xfffff, v18
	s_delay_alu instid0(VALU_DEP_1) | instskip(NEXT) | instid1(VALU_DEP_1)
	v_dual_add_nc_u32 v4, 6, v2 :: v_dual_add_nc_u32 v54, v3, v16
                                        ; implicit-def: $vgpr16_vgpr17
                                        ; implicit-def: $vgpr3
	v_cmpx_ne_u32_e32 0, v4
	s_xor_b32 s10, exec_lo, s10
; %bb.17801:                            ;   in Loop: Header=BB6_17783 Depth=2
	s_delay_alu instid0(VALU_DEP_2) | instskip(SKIP_1) | instid1(VALU_DEP_1)
	v_cmp_lt_u64_e32 vcc_lo, 0xffffff, v[54:55]
	v_add_nc_u32_e32 v2, 7, v2
	v_cndmask_b32_e32 v3, v4, v2, vcc_lo
	v_cndmask_b32_e64 v2, 0, 1, vcc_lo
	s_delay_alu instid0(VALU_DEP_1)
	v_lshrrev_b64 v[16:17], v2, v[54:55]
; %bb.17802:                            ;   in Loop: Header=BB6_17783 Depth=2
	s_and_not1_saveexec_b32 s10, s10
; %bb.17803:                            ;   in Loop: Header=BB6_17783 Depth=2
	v_mov_b64_e32 v[16:17], v[54:55]
	v_bfe_u32 v3, v54, 23, 1
; %bb.17804:                            ;   in Loop: Header=BB6_17783 Depth=2
	s_or_b32 exec_lo, exec_lo, s10
	s_delay_alu instid0(VALU_DEP_2) | instskip(NEXT) | instid1(VALU_DEP_2)
	v_lshrrev_b64 v[4:5], 20, v[16:17]
	v_cmp_gt_i32_e32 vcc_lo, 16, v3
	v_cmp_ne_u32_e64 s10, 0, v3
                                        ; implicit-def: $vgpr2
	s_delay_alu instid0(VALU_DEP_3) | instskip(NEXT) | instid1(VALU_DEP_1)
	v_dual_cndmask_b32 v17, 0, v5 :: v_dual_cndmask_b32 v16, 7, v4
	v_cmp_ne_u64_e32 vcc_lo, 0, v[16:17]
	s_or_b32 s10, s10, vcc_lo
	s_delay_alu instid0(SALU_CYCLE_1) | instskip(NEXT) | instid1(SALU_CYCLE_1)
	s_and_saveexec_b32 s26, s10
	s_xor_b32 s10, exec_lo, s26
; %bb.17805:                            ;   in Loop: Header=BB6_17783 Depth=2
	v_min_i32_e32 v2, 15, v3
	s_delay_alu instid0(VALU_DEP_1) | instskip(NEXT) | instid1(VALU_DEP_1)
	v_lshl_or_b32 v0, v2, 3, v0
	v_and_or_b32 v2, v16, 7, v0
                                        ; implicit-def: $vgpr0
; %bb.17806:                            ;   in Loop: Header=BB6_17783 Depth=2
	s_and_not1_saveexec_b32 s10, s10
; %bb.17807:                            ;   in Loop: Header=BB6_17783 Depth=2
	v_mov_b32_e32 v2, v0
; %bb.17808:                            ;   in Loop: Header=BB6_17783 Depth=2
	s_or_b32 exec_lo, exec_lo, s10
.LBB6_17809:                            ;   in Loop: Header=BB6_17783 Depth=2
	s_delay_alu instid0(SALU_CYCLE_1)
	s_or_b32 exec_lo, exec_lo, s25
                                        ; implicit-def: $vgpr0
.LBB6_17810:                            ;   in Loop: Header=BB6_17783 Depth=2
	s_and_not1_saveexec_b32 s10, s24
; %bb.17811:                            ;   in Loop: Header=BB6_17783 Depth=2
	v_or_b32_e32 v2, 0x7e, v0
; %bb.17812:                            ;   in Loop: Header=BB6_17783 Depth=2
	s_or_b32 exec_lo, exec_lo, s10
                                        ; implicit-def: $vgpr0
.LBB6_17813:                            ;   in Loop: Header=BB6_17783 Depth=2
	s_and_not1_saveexec_b32 s10, s11
	s_cbranch_execz .LBB6_17782
; %bb.17814:                            ;   in Loop: Header=BB6_17783 Depth=2
	v_or_b32_e32 v2, 0x7f, v0
	s_branch .LBB6_17782
.LBB6_17815:                            ;   in Loop: Header=BB6_13392 Depth=1
	s_or_b32 exec_lo, exec_lo, s22
	scratch_load_b32 v4, off, s33 offset:396 ; 4-byte Folded Reload
	v_cmp_ne_u32_e64 s10, 0, v88
	s_wait_xcnt 0x0
	s_and_saveexec_b32 s11, s2
	s_cbranch_execz .LBB6_17834
.LBB6_17816:                            ;   in Loop: Header=BB6_13392 Depth=1
	s_and_saveexec_b32 s22, s3
	s_delay_alu instid0(SALU_CYCLE_1)
	s_xor_b32 s22, exec_lo, s22
	s_cbranch_execz .LBB6_17831
; %bb.17817:                            ;   in Loop: Header=BB6_13392 Depth=1
	s_and_saveexec_b32 s23, s4
	s_cbranch_execz .LBB6_17830
; %bb.17818:                            ;   in Loop: Header=BB6_13392 Depth=1
	s_mov_b32 s25, exec_lo
	s_mov_b32 s24, exec_lo
	v_mbcnt_lo_u32_b32 v0, s25, 0
	global_wb scope:SCOPE_DEV
	s_wait_storecnt 0x0
	s_wait_loadcnt_dscnt 0x0
	global_inv scope:SCOPE_DEV
	v_cmpx_eq_u32_e32 0, v0
	s_cbranch_execz .LBB6_17820
; %bb.17819:                            ;   in Loop: Header=BB6_13392 Depth=1
	s_bcnt1_i32_b32 s25, s25
	s_delay_alu instid0(SALU_CYCLE_1)
	v_mov_b32_e32 v54, s25
	s_wait_loadcnt 0x0
	ds_add_u64 v0, v[54:55]
	s_trap 2
.LBB6_17820:                            ;   in Loop: Header=BB6_13392 Depth=1
	s_or_b32 exec_lo, exec_lo, s24
	s_trap 2
	ds_load_b64 v[0:1], v0
	s_wait_dscnt 0x0
	scratch_load_b64 v[2:3], off, s33 offset:204 th:TH_LOAD_LU ; 8-byte Folded Reload
	s_mov_b32 s24, exec_lo
	s_wait_loadcnt 0x0
	v_add_nc_u64_e32 v[2:3], v[2:3], v[70:71]
	scratch_store_b64 off, v[2:3], s33 offset:204 ; 8-byte Folded Spill
	s_wait_xcnt 0x0
	v_cmpx_lt_u64_e64 v[0:1], v[2:3]
	s_cbranch_execz .LBB6_17829
; %bb.17821:                            ;   in Loop: Header=BB6_13392 Depth=1
	s_mov_b32 s25, 0
	s_mov_b32 s28, 0
                                        ; implicit-def: $sgpr26
                                        ; implicit-def: $sgpr27
	s_branch .LBB6_17823
.LBB6_17822:                            ;   in Loop: Header=BB6_17823 Depth=2
	s_wait_xcnt 0x0
	s_or_b32 exec_lo, exec_lo, s40
	s_delay_alu instid0(SALU_CYCLE_1) | instskip(NEXT) | instid1(SALU_CYCLE_1)
	s_and_b32 s29, exec_lo, s41
	s_or_b32 s25, s29, s25
	s_and_not1_b32 s26, s26, exec_lo
	s_and_b32 s29, s27, exec_lo
	s_delay_alu instid0(SALU_CYCLE_1)
	s_or_b32 s26, s26, s29
	s_and_not1_b32 exec_lo, exec_lo, s25
	s_cbranch_execz .LBB6_17827
.LBB6_17823:                            ;   Parent Loop BB6_13392 Depth=1
                                        ; =>  This Inner Loop Header: Depth=2
	s_add_co_i32 s28, s28, 1
	s_delay_alu instid0(SALU_CYCLE_1) | instskip(SKIP_1) | instid1(SALU_CYCLE_1)
	s_cmp_lg_u32 s28, 0x2710
	s_cselect_b32 s29, -1, 0
	s_and_b32 vcc_lo, exec_lo, s29
	s_cbranch_vccz .LBB6_17825
; %bb.17824:                            ;   in Loop: Header=BB6_17823 Depth=2
	s_mov_b32 s41, -1
	s_or_b32 s27, s27, exec_lo
	s_and_saveexec_b32 s40, s29
	s_cbranch_execz .LBB6_17822
	s_branch .LBB6_17826
.LBB6_17825:                            ;   in Loop: Header=BB6_17823 Depth=2
	s_trap 2
	ds_load_b64 v[0:1], v0
	s_and_not1_b32 s29, s29, exec_lo
	s_mov_b32 s28, 0
	s_wait_storecnt_dscnt 0x0
	flat_load_b32 v0, v[0:1] scope:SCOPE_SYS
	s_wait_loadcnt_dscnt 0x0
	global_inv scope:SCOPE_SYS
	v_cmp_eq_u32_e32 vcc_lo, 0, v0
	s_and_b32 s40, vcc_lo, exec_lo
	s_delay_alu instid0(SALU_CYCLE_1)
	s_or_b32 s29, s29, s40
	s_mov_b32 s41, -1
	s_or_b32 s27, s27, exec_lo
	s_wait_xcnt 0x0
	s_and_saveexec_b32 s40, s29
	s_cbranch_execz .LBB6_17822
.LBB6_17826:                            ;   in Loop: Header=BB6_17823 Depth=2
	s_sleep 1
	s_trap 2
	ds_load_b64 v[0:1], v0
	s_wait_dscnt 0x0
	scratch_load_b64 v[2:3], off, s33 offset:204 ; 8-byte Folded Reload
	s_and_not1_b32 s27, s27, exec_lo
	s_wait_loadcnt 0x0
	v_cmp_ge_u64_e32 vcc_lo, v[0:1], v[2:3]
	s_or_not1_b32 s41, vcc_lo, exec_lo
	s_branch .LBB6_17822
.LBB6_17827:                            ;   in Loop: Header=BB6_13392 Depth=1
	s_or_b32 exec_lo, exec_lo, s25
	s_and_saveexec_b32 s25, s26
	s_delay_alu instid0(SALU_CYCLE_1)
	s_xor_b32 s25, exec_lo, s25
	s_cbranch_execz .LBB6_17829
; %bb.17828:                            ;   in Loop: Header=BB6_13392 Depth=1
	ds_store_b32 v0, v81
	s_trap 2
.LBB6_17829:                            ;   in Loop: Header=BB6_13392 Depth=1
	s_or_b32 exec_lo, exec_lo, s24
	;;#ASMSTART
	s_wakeup
	;;#ASMEND
.LBB6_17830:                            ;   in Loop: Header=BB6_13392 Depth=1
	s_or_b32 exec_lo, exec_lo, s23
.LBB6_17831:                            ;   in Loop: Header=BB6_13392 Depth=1
	s_and_not1_saveexec_b32 s22, s22
	s_cbranch_execz .LBB6_17833
; %bb.17832:                            ;   in Loop: Header=BB6_13392 Depth=1
	global_wb scope:SCOPE_DEV
	s_wait_storecnt 0x0
	s_wait_loadcnt_dscnt 0x0
	global_inv scope:SCOPE_DEV
	s_barrier_signal -1
	s_barrier_wait -1
.LBB6_17833:                            ;   in Loop: Header=BB6_13392 Depth=1
	s_or_b32 exec_lo, exec_lo, s22
.LBB6_17834:                            ;   in Loop: Header=BB6_13392 Depth=1
	s_delay_alu instid0(SALU_CYCLE_1) | instskip(SKIP_2) | instid1(VALU_DEP_1)
	s_or_b32 exec_lo, exec_lo, s11
	s_wait_loadcnt 0x0
	v_and_b32_e32 v0, 16, v4
	v_cmp_ne_u32_e32 vcc_lo, 0, v0
	s_and_b32 s11, vcc_lo, s10
	s_delay_alu instid0(SALU_CYCLE_1)
	s_and_saveexec_b32 s10, s11
	s_cbranch_execz .LBB6_17836
; %bb.17835:                            ;   in Loop: Header=BB6_13392 Depth=1
	global_wb scope:SCOPE_SYS
	s_wait_storecnt_dscnt 0x0
	global_inv scope:SCOPE_SYS
.LBB6_17836:                            ;   in Loop: Header=BB6_13392 Depth=1
	s_or_b32 exec_lo, exec_lo, s10
	s_delay_alu instid0(SALU_CYCLE_1)
	s_mov_b32 s10, exec_lo
	v_cmpx_ne_u32_e32 0, v0
	s_cbranch_execz .LBB6_17840
; %bb.17837:                            ;   in Loop: Header=BB6_13392 Depth=1
	s_and_saveexec_b32 s11, s7
	s_cbranch_execz .LBB6_17839
; %bb.17838:                            ;   in Loop: Header=BB6_13392 Depth=1
	scratch_load_b64 v[0:1], off, s33 offset:400 ; 8-byte Folded Reload
	global_wb scope:SCOPE_SYS
	s_wait_storecnt 0x0
	s_wait_xcnt 0x0
	s_wait_loadcnt_dscnt 0x0
	flat_store_b32 v[0:1], v81 scope:SCOPE_SYS
.LBB6_17839:                            ;   in Loop: Header=BB6_13392 Depth=1
	s_wait_xcnt 0x0
	s_or_b32 exec_lo, exec_lo, s11
	scratch_load_b128 v[0:3], off, s33 offset:188 th:TH_LOAD_LU ; 16-byte Folded Reload
	s_wait_loadcnt 0x0
	v_add_nc_u64_e32 v[2:3], 1, v[2:3]
	scratch_store_b128 off, v[0:3], s33 offset:188 ; 16-byte Folded Spill
	global_wb scope:SCOPE_SYS
	s_wait_xcnt 0x0
	s_wait_storecnt_dscnt 0x0
	flat_store_b64 v[32:33], v[2:3] scope:SCOPE_SYS
.LBB6_17840:                            ;   in Loop: Header=BB6_13392 Depth=1
	s_wait_xcnt 0x0
	s_or_b32 exec_lo, exec_lo, s10
	v_mov_b32_e32 v0, v112
.LBB6_17841:                            ;   in Loop: Header=BB6_13392 Depth=1
	s_or_b32 exec_lo, exec_lo, s21
	s_and_saveexec_b32 s11, s20
	s_cbranch_execnz .LBB6_17842
; %bb.17995:                            ;   in Loop: Header=BB6_13392 Depth=1
	s_add_pc_i64 .LBB6_13391-.Lpost_addpc38
.Lpost_addpc38:
.LBB6_17842:                            ;   in Loop: Header=BB6_13392 Depth=1
	s_delay_alu instid0(VALU_DEP_1) | instskip(SKIP_2) | instid1(VALU_DEP_2)
	v_sub_nc_u32_e32 v0, v102, v0
	v_and_b32_e32 v1, 8, v4
	s_mov_b32 s20, exec_lo
	v_min_i32_e32 v10, v112, v0
	s_delay_alu instid0(VALU_DEP_2)
	v_cmpx_ne_u32_e32 0, v1
	s_cbranch_execz .LBB6_17864
; %bb.17843:                            ;   in Loop: Header=BB6_13392 Depth=1
	scratch_load_b128 v[6:9], off, s33 offset:188 ; 16-byte Folded Reload
	v_add_nc_u64_e32 v[0:1], 8, v[48:49]
	s_mov_b32 s21, exec_lo
	s_wait_loadcnt 0x0
	v_add_nc_u64_e32 v[12:13], 1, v[8:9]
	s_wait_xcnt 0x0
	s_delay_alu instid0(VALU_DEP_1)
	v_cmpx_lt_u64_e64 v[0:1], v[12:13]
	s_cbranch_execz .LBB6_17855
; %bb.17844:                            ;   in Loop: Header=BB6_13392 Depth=1
	v_and_b32_e32 v0, 64, v4
	s_mov_b32 s22, 0
	s_mov_b32 s26, 0
                                        ; implicit-def: $sgpr23
                                        ; implicit-def: $sgpr24
                                        ; implicit-def: $sgpr25
	s_delay_alu instid0(VALU_DEP_1)
	v_cmp_eq_u32_e32 vcc_lo, 0, v0
	s_branch .LBB6_17847
.LBB6_17845:                            ;   in Loop: Header=BB6_17847 Depth=2
	s_or_b32 exec_lo, exec_lo, s41
	s_delay_alu instid0(SALU_CYCLE_1)
	s_and_not1_b32 s10, s25, exec_lo
	s_and_b32 s25, s29, exec_lo
	s_and_not1_b32 s24, s24, exec_lo
	s_and_b32 s28, s28, exec_lo
	s_or_b32 s25, s10, s25
	s_or_b32 s24, s24, s28
.LBB6_17846:                            ;   in Loop: Header=BB6_17847 Depth=2
	s_or_b32 exec_lo, exec_lo, s27
	s_delay_alu instid0(SALU_CYCLE_1) | instskip(NEXT) | instid1(SALU_CYCLE_1)
	s_and_b32 s10, exec_lo, s24
	s_or_b32 s22, s10, s22
	s_and_not1_b32 s10, s23, exec_lo
	s_and_b32 s23, s25, exec_lo
	s_delay_alu instid0(SALU_CYCLE_1)
	s_or_b32 s23, s10, s23
	s_and_not1_b32 exec_lo, exec_lo, s22
	s_cbranch_execz .LBB6_17852
.LBB6_17847:                            ;   Parent Loop BB6_13392 Depth=1
                                        ; =>  This Inner Loop Header: Depth=2
	s_sleep 1
	s_wait_loadcnt_dscnt 0x0
	flat_load_b64 v[48:49], v[32:33] scope:SCOPE_SYS
	s_or_b32 s25, s25, exec_lo
	s_or_b32 s24, s24, exec_lo
                                        ; implicit-def: $vgpr0
	s_wait_xcnt 0x0
	s_and_saveexec_b32 s27, vcc_lo
	s_cbranch_execz .LBB6_17846
; %bb.17848:                            ;   in Loop: Header=BB6_17847 Depth=2
	s_cmp_lt_i32 s26, 0x270f
	s_mov_b32 s28, -1
	s_cselect_b32 s40, -1, 0
	s_cmp_gt_i32 s26, 0x270e
	s_cbranch_scc0 .LBB6_17850
; %bb.17849:                            ;   in Loop: Header=BB6_17847 Depth=2
	s_trap 2
	ds_load_b64 v[0:1], v0
	s_and_not1_b32 s26, s40, exec_lo
	s_mov_b32 s29, 0
	s_wait_storecnt 0x0
	s_wait_loadcnt_dscnt 0x0
	flat_load_b32 v0, v[0:1] scope:SCOPE_SYS
	s_wait_loadcnt_dscnt 0x0
	global_inv scope:SCOPE_SYS
	v_cmp_eq_u32_e64 s10, 0, v0
	s_and_b32 s10, s10, exec_lo
	s_delay_alu instid0(SALU_CYCLE_1)
	s_or_b32 s40, s26, s10
	s_mov_b32 s26, 0
	s_wait_xcnt 0x0
	s_and_saveexec_b32 s41, s40
	s_cbranch_execz .LBB6_17845
	s_branch .LBB6_17851
.LBB6_17850:                            ;   in Loop: Header=BB6_17847 Depth=2
	s_add_co_i32 s26, s26, 1
	s_mov_b32 s29, -1
                                        ; implicit-def: $vgpr0
	s_and_saveexec_b32 s41, s40
	s_cbranch_execz .LBB6_17845
.LBB6_17851:                            ;   in Loop: Header=BB6_17847 Depth=2
	s_wait_loadcnt_dscnt 0x0
	v_add_nc_u64_e32 v[2:3], 8, v[48:49]
	s_or_b32 s29, s29, exec_lo
	s_delay_alu instid0(VALU_DEP_1)
	v_cmp_ge_u64_e64 s10, v[2:3], v[12:13]
	s_or_not1_b32 s28, s10, exec_lo
	s_branch .LBB6_17845
.LBB6_17852:                            ;   in Loop: Header=BB6_13392 Depth=1
	s_or_b32 exec_lo, exec_lo, s22
	s_xor_b32 s10, s23, -1
	s_delay_alu instid0(SALU_CYCLE_1) | instskip(NEXT) | instid1(SALU_CYCLE_1)
	s_and_saveexec_b32 s22, s10
	s_xor_b32 s10, exec_lo, s22
	s_cbranch_execz .LBB6_17854
; %bb.17853:                            ;   in Loop: Header=BB6_13392 Depth=1
	v_or_b32_e32 v4, 64, v4
	s_wait_storecnt 0x0
	s_wait_loadcnt_dscnt 0x0
	ds_store_b32 v0, v0
	s_trap 2
.LBB6_17854:                            ;   in Loop: Header=BB6_13392 Depth=1
	s_or_b32 exec_lo, exec_lo, s10
.LBB6_17855:                            ;   in Loop: Header=BB6_13392 Depth=1
	s_delay_alu instid0(SALU_CYCLE_1) | instskip(SKIP_2) | instid1(VALU_DEP_1)
	s_or_b32 exec_lo, exec_lo, s21
	v_and_b32_e32 v0, 0x100, v4
	s_mov_b32 s10, -1
                                        ; implicit-def: $vgpr8_vgpr9
	v_cmp_ne_u32_e32 vcc_lo, 0, v0
	scratch_load_b128 v[0:3], off, s33 offset:188 ; 16-byte Folded Reload
	;;#ASMSTART
	s_wakeup
	;;#ASMEND
	s_wait_loadcnt 0x0
	v_and_b32_e32 v54, 7, v2
	s_wait_xcnt 0x0
	s_and_saveexec_b32 s21, vcc_lo
	s_cbranch_execz .LBB6_17859
; %bb.17856:                            ;   in Loop: Header=BB6_13392 Depth=1
	scratch_load_b128 v[0:3], off, s33 offset:188 ; 16-byte Folded Reload
	v_ashrrev_i32_e32 v11, 31, v10
	s_mov_b32 s22, exec_lo
                                        ; implicit-def: $vgpr8_vgpr9
	s_wait_loadcnt 0x0
	v_mad_nc_u64_u32 v[14:15], v54, 24, v[0:1]
	s_clause 0x1
	flat_load_b32 v0, v[14:15]
	flat_store_b64 v[14:15], v[10:11] offset:8
	s_wait_loadcnt_dscnt 0x1
	v_cmp_ne_u32_e32 vcc_lo, 1, v0
	s_wait_xcnt 0x0
	v_cmpx_eq_u32_e32 1, v0
	s_cbranch_execz .LBB6_17858
; %bb.17857:                            ;   in Loop: Header=BB6_13392 Depth=1
	flat_load_b32 v8, v[14:15] offset:4 scope:SCOPE_SYS
	s_wait_loadcnt_dscnt 0x0
	v_ashrrev_i32_e32 v9, 31, v8
.LBB6_17858:                            ;   in Loop: Header=BB6_13392 Depth=1
	s_wait_xcnt 0x0
	s_or_b32 exec_lo, exec_lo, s22
	s_delay_alu instid0(SALU_CYCLE_1)
	s_or_not1_b32 s10, vcc_lo, exec_lo
.LBB6_17859:                            ;   in Loop: Header=BB6_13392 Depth=1
	s_or_b32 exec_lo, exec_lo, s21
	s_and_saveexec_b32 s21, s10
	s_cbranch_execz .LBB6_17861
; %bb.17860:                            ;   in Loop: Header=BB6_13392 Depth=1
	scratch_load_b64 v[0:1], off, s33 offset:388 ; 8-byte Folded Reload
	s_wait_loadcnt 0x0
	v_mul_u64_e32 v[8:9], v[54:55], v[0:1]
.LBB6_17861:                            ;   in Loop: Header=BB6_13392 Depth=1
	s_wait_xcnt 0x0
	s_or_b32 exec_lo, exec_lo, s21
	scratch_load_b64 v[0:1], off, s33 offset:380 ; 8-byte Folded Reload
	v_and_b32_e32 v2, 0x2000, v4
	s_mov_b32 s10, exec_lo
	s_wait_loadcnt 0x0
	v_add_nc_u64_e32 v[0:1], v[0:1], v[8:9]
	ds_store_b64 v0, v[0:1] offset:784
	s_wait_xcnt 0x0
	v_cmpx_ne_u32_e32 0, v2
	s_cbranch_execz .LBB6_17863
; %bb.17862:                            ;   in Loop: Header=BB6_13392 Depth=1
	ds_load_b64 v[0:1], v0 offset:872
	s_wait_dscnt 0x0
	v_add_nc_u64_e32 v[0:1], 1, v[0:1]
	ds_store_b64 v0, v[0:1] offset:872
.LBB6_17863:                            ;   in Loop: Header=BB6_13392 Depth=1
	s_or_b32 exec_lo, exec_lo, s10
	scratch_load_b128 v[0:3], off, s33 offset:188 ; 16-byte Folded Reload
	s_wait_loadcnt 0x0
	v_mov_b64_e32 v[2:3], v[12:13]
	scratch_store_b128 off, v[0:3], s33 offset:188 ; 16-byte Folded Spill
.LBB6_17864:                            ;   in Loop: Header=BB6_13392 Depth=1
	s_wait_xcnt 0x0
	s_or_b32 exec_lo, exec_lo, s20
	s_and_saveexec_b32 s10, s2
	s_cbranch_execz .LBB6_17883
; %bb.17865:                            ;   in Loop: Header=BB6_13392 Depth=1
	s_and_saveexec_b32 s20, s3
	s_delay_alu instid0(SALU_CYCLE_1)
	s_xor_b32 s20, exec_lo, s20
	s_cbranch_execz .LBB6_17880
; %bb.17866:                            ;   in Loop: Header=BB6_13392 Depth=1
	s_and_saveexec_b32 s21, s4
	s_cbranch_execz .LBB6_17879
; %bb.17867:                            ;   in Loop: Header=BB6_13392 Depth=1
	s_mov_b32 s23, exec_lo
	s_mov_b32 s22, exec_lo
	v_mbcnt_lo_u32_b32 v0, s23, 0
	global_wb scope:SCOPE_DEV
	s_wait_storecnt 0x0
	s_wait_loadcnt_dscnt 0x0
	global_inv scope:SCOPE_DEV
	v_cmpx_eq_u32_e32 0, v0
	s_cbranch_execz .LBB6_17869
; %bb.17868:                            ;   in Loop: Header=BB6_13392 Depth=1
	s_bcnt1_i32_b32 s23, s23
	s_delay_alu instid0(SALU_CYCLE_1)
	v_mov_b32_e32 v54, s23
	s_wait_loadcnt 0x0
	ds_add_u64 v0, v[54:55]
	s_trap 2
.LBB6_17869:                            ;   in Loop: Header=BB6_13392 Depth=1
	s_or_b32 exec_lo, exec_lo, s22
	s_trap 2
	ds_load_b64 v[0:1], v0
	s_wait_dscnt 0x0
	scratch_load_b64 v[2:3], off, s33 offset:204 th:TH_LOAD_LU ; 8-byte Folded Reload
	s_mov_b32 s22, exec_lo
	s_wait_loadcnt 0x0
	v_add_nc_u64_e32 v[2:3], v[2:3], v[70:71]
	scratch_store_b64 off, v[2:3], s33 offset:204 ; 8-byte Folded Spill
	s_wait_xcnt 0x0
	v_cmpx_lt_u64_e64 v[0:1], v[2:3]
	s_cbranch_execz .LBB6_17878
; %bb.17870:                            ;   in Loop: Header=BB6_13392 Depth=1
	s_mov_b32 s23, 0
	s_mov_b32 s26, 0
                                        ; implicit-def: $sgpr24
                                        ; implicit-def: $sgpr25
	s_branch .LBB6_17872
.LBB6_17871:                            ;   in Loop: Header=BB6_17872 Depth=2
	s_wait_xcnt 0x0
	s_or_b32 exec_lo, exec_lo, s28
	s_delay_alu instid0(SALU_CYCLE_1) | instskip(NEXT) | instid1(SALU_CYCLE_1)
	s_and_b32 s27, exec_lo, s29
	s_or_b32 s23, s27, s23
	s_and_not1_b32 s24, s24, exec_lo
	s_and_b32 s27, s25, exec_lo
	s_delay_alu instid0(SALU_CYCLE_1)
	s_or_b32 s24, s24, s27
	s_and_not1_b32 exec_lo, exec_lo, s23
	s_cbranch_execz .LBB6_17876
.LBB6_17872:                            ;   Parent Loop BB6_13392 Depth=1
                                        ; =>  This Inner Loop Header: Depth=2
	s_add_co_i32 s26, s26, 1
	s_delay_alu instid0(SALU_CYCLE_1) | instskip(SKIP_1) | instid1(SALU_CYCLE_1)
	s_cmp_lg_u32 s26, 0x2710
	s_cselect_b32 s27, -1, 0
	s_and_b32 vcc_lo, exec_lo, s27
	s_cbranch_vccz .LBB6_17874
; %bb.17873:                            ;   in Loop: Header=BB6_17872 Depth=2
	s_mov_b32 s29, -1
	s_or_b32 s25, s25, exec_lo
	s_and_saveexec_b32 s28, s27
	s_cbranch_execz .LBB6_17871
	s_branch .LBB6_17875
.LBB6_17874:                            ;   in Loop: Header=BB6_17872 Depth=2
	s_trap 2
	ds_load_b64 v[0:1], v0
	s_and_not1_b32 s27, s27, exec_lo
	s_mov_b32 s26, 0
	s_wait_storecnt_dscnt 0x0
	flat_load_b32 v0, v[0:1] scope:SCOPE_SYS
	s_wait_loadcnt_dscnt 0x0
	global_inv scope:SCOPE_SYS
	v_cmp_eq_u32_e32 vcc_lo, 0, v0
	s_and_b32 s28, vcc_lo, exec_lo
	s_delay_alu instid0(SALU_CYCLE_1)
	s_or_b32 s27, s27, s28
	s_mov_b32 s29, -1
	s_or_b32 s25, s25, exec_lo
	s_wait_xcnt 0x0
	s_and_saveexec_b32 s28, s27
	s_cbranch_execz .LBB6_17871
.LBB6_17875:                            ;   in Loop: Header=BB6_17872 Depth=2
	s_sleep 1
	s_trap 2
	ds_load_b64 v[0:1], v0
	s_wait_dscnt 0x0
	scratch_load_b64 v[2:3], off, s33 offset:204 ; 8-byte Folded Reload
	s_and_not1_b32 s25, s25, exec_lo
	s_wait_loadcnt 0x0
	v_cmp_ge_u64_e32 vcc_lo, v[0:1], v[2:3]
	s_or_not1_b32 s29, vcc_lo, exec_lo
	s_branch .LBB6_17871
.LBB6_17876:                            ;   in Loop: Header=BB6_13392 Depth=1
	s_or_b32 exec_lo, exec_lo, s23
	s_and_saveexec_b32 s23, s24
	s_delay_alu instid0(SALU_CYCLE_1)
	s_xor_b32 s23, exec_lo, s23
	s_cbranch_execz .LBB6_17878
; %bb.17877:                            ;   in Loop: Header=BB6_13392 Depth=1
	ds_store_b32 v0, v81
	s_trap 2
.LBB6_17878:                            ;   in Loop: Header=BB6_13392 Depth=1
	s_or_b32 exec_lo, exec_lo, s22
	;;#ASMSTART
	s_wakeup
	;;#ASMEND
.LBB6_17879:                            ;   in Loop: Header=BB6_13392 Depth=1
	s_or_b32 exec_lo, exec_lo, s21
.LBB6_17880:                            ;   in Loop: Header=BB6_13392 Depth=1
	s_and_not1_saveexec_b32 s20, s20
	s_cbranch_execz .LBB6_17882
; %bb.17881:                            ;   in Loop: Header=BB6_13392 Depth=1
	global_wb scope:SCOPE_DEV
	s_wait_storecnt 0x0
	s_wait_loadcnt_dscnt 0x0
	global_inv scope:SCOPE_DEV
	s_barrier_signal -1
	s_barrier_wait -1
.LBB6_17882:                            ;   in Loop: Header=BB6_13392 Depth=1
	s_or_b32 exec_lo, exec_lo, s20
.LBB6_17883:                            ;   in Loop: Header=BB6_13392 Depth=1
	s_delay_alu instid0(SALU_CYCLE_1)
	s_or_b32 exec_lo, exec_lo, s10
	s_trap 2
	ds_load_b32 v0, v0
	v_cmp_lt_i32_e32 vcc_lo, 0, v10
	s_wait_dscnt 0x0
	v_readfirstlane_b32 s10, v0
	v_and_b32_e32 v0, 16, v4
	s_cmp_eq_u32 s10, 0
	s_delay_alu instid0(VALU_DEP_1) | instskip(SKIP_1) | instid1(SALU_CYCLE_1)
	v_cmp_ne_u32_e64 s10, 0, v0
	s_cselect_b32 s20, -1, 0
	s_and_b32 s20, vcc_lo, s20
	s_delay_alu instid0(SALU_CYCLE_1) | instskip(NEXT) | instid1(SALU_CYCLE_1)
	s_and_b32 s20, s10, s20
	s_and_saveexec_b32 s10, s20
	s_cbranch_execz .LBB6_17885
; %bb.17884:                            ;   in Loop: Header=BB6_13392 Depth=1
	global_wb scope:SCOPE_SYS
	s_wait_loadcnt 0x0
	s_wait_storecnt 0x0
	global_inv scope:SCOPE_SYS
.LBB6_17885:                            ;   in Loop: Header=BB6_13392 Depth=1
	s_or_b32 exec_lo, exec_lo, s10
	s_delay_alu instid0(SALU_CYCLE_1)
	s_mov_b32 s10, exec_lo
	v_cmpx_ne_u32_e32 0, v0
	s_cbranch_execnz .LBB6_17886
; %bb.17997:                            ;   in Loop: Header=BB6_13392 Depth=1
	s_add_pc_i64 .LBB6_13390-.Lpost_addpc39
.Lpost_addpc39:
.LBB6_17886:                            ;   in Loop: Header=BB6_13392 Depth=1
	s_and_saveexec_b32 s20, s7
	s_cbranch_execnz .LBB6_17887
; %bb.17999:                            ;   in Loop: Header=BB6_13392 Depth=1
	s_add_pc_i64 .LBB6_13389-.Lpost_addpc40
.Lpost_addpc40:
.LBB6_17887:                            ;   in Loop: Header=BB6_13392 Depth=1
	scratch_load_b64 v[0:1], off, s33 offset:400 ; 8-byte Folded Reload
	global_wb scope:SCOPE_SYS
	s_wait_loadcnt 0x0
	s_wait_storecnt 0x0
	s_wait_xcnt 0x0
	flat_store_b32 v[0:1], v81 scope:SCOPE_SYS
; %bb.17945:                            ;   in Loop: Header=BB6_13392 Depth=1
	s_add_pc_i64 .LBB6_13389-.Lpost_addpc13
.Lpost_addpc13:
.LBB6_17888:
	s_or_b32 exec_lo, exec_lo, s16
	s_clause 0x4
	scratch_load_b32 v24, off, s33 offset:420
	scratch_load_b32 v31, off, s33 offset:424
	scratch_load_b128 v[34:37], off, s33 offset:188
	scratch_load_b64 v[28:29], off, s33 offset:428
	scratch_load_b32 v7, off, s33 offset:436
.LBB6_17889:
	s_wait_xcnt 0x0
	s_or_b32 exec_lo, exec_lo, s15
.LBB6_17890:
	s_delay_alu instid0(SALU_CYCLE_1) | instskip(SKIP_2) | instid1(VALU_DEP_1)
	s_or_b32 exec_lo, exec_lo, s14
	v_and_b32_e32 v0, 0x800, v4
	s_mov_b32 s1, exec_lo
	v_cmpx_eq_u32_e32 0, v0
	s_cbranch_execz .LBB6_17923
; %bb.17891:
	v_and_b32_e32 v0, 48, v4
	s_mov_b32 s0, exec_lo
	s_delay_alu instid0(VALU_DEP_1)
	v_cmpx_ne_u32_e32 0, v0
	s_cbranch_execz .LBB6_17893
; %bb.17892:
	s_wait_loadcnt 0x1
	flat_store_b64 v[28:29], v[36:37] offset:104
.LBB6_17893:
	s_wait_xcnt 0x0
	s_or_b32 exec_lo, exec_lo, s0
	v_and_b32_e32 v0, 0x88, v4
	s_delay_alu instid0(VALU_DEP_1) | instskip(SKIP_3) | instid1(SALU_CYCLE_1)
	v_cmp_eq_u32_e32 vcc_lo, 0x88, v0
	s_mov_b32 s2, exec_lo
	v_mov_b32_e32 v6, v4
	s_and_b32 s0, s2, vcc_lo
	s_mov_b32 exec_lo, s0
	s_cbranch_execz .LBB6_17903
; %bb.17894:
	s_wait_loadcnt 0x2
	v_dual_add_nc_u32 v0, -1, v36 :: v_dual_bitop2_b32 v2, 64, v6 bitop3:0x40
	s_mov_b32 s3, 0
	s_delay_alu instid0(VALU_DEP_1) | instskip(NEXT) | instid1(VALU_DEP_2)
	v_and_b32_e32 v0, 7, v0
	v_cmp_eq_u32_e64 s0, 0, v2
	s_delay_alu instid0(VALU_DEP_2)
	v_mad_nc_u64_u32 v[4:5], v0, 24, v[34:35]
	flat_load_b64 v[0:1], v[4:5] offset:8 scope:SCOPE_SYS
	s_wait_loadcnt_dscnt 0x0
	v_cmp_ne_u64_e32 vcc_lo, -1, v[0:1]
	s_and_b32 s0, vcc_lo, s0
	s_wait_xcnt 0x0
	s_and_b32 exec_lo, exec_lo, s0
	s_cbranch_execz .LBB6_17903
; %bb.17895:
	s_mov_b32 s5, 0
                                        ; implicit-def: $sgpr0
                                        ; implicit-def: $sgpr4
	s_branch .LBB6_17897
.LBB6_17896:                            ;   in Loop: Header=BB6_17897 Depth=1
	s_wait_xcnt 0x0
	s_or_b32 exec_lo, exec_lo, s10
	s_delay_alu instid0(SALU_CYCLE_1) | instskip(NEXT) | instid1(SALU_CYCLE_1)
	s_and_b32 s6, exec_lo, s7
	s_or_b32 s3, s6, s3
	s_and_not1_b32 s0, s0, exec_lo
	s_and_b32 s6, s4, exec_lo
	s_delay_alu instid0(SALU_CYCLE_1)
	s_or_b32 s0, s0, s6
	s_and_not1_b32 exec_lo, exec_lo, s3
	s_cbranch_execz .LBB6_17901
.LBB6_17897:                            ; =>This Inner Loop Header: Depth=1
	s_cmp_lt_i32 s5, 0x270f
	s_cselect_b32 s6, -1, 0
	s_delay_alu instid0(SALU_CYCLE_1)
	s_and_b32 vcc_lo, exec_lo, s6
	s_cbranch_vccnz .LBB6_17899
; %bb.17898:                            ;   in Loop: Header=BB6_17897 Depth=1
	s_trap 2
	ds_load_b64 v[0:1], v0
	s_and_not1_b32 s6, s6, exec_lo
	s_mov_b32 s5, 0
	s_wait_storecnt_dscnt 0x0
	flat_load_b32 v0, v[0:1] scope:SCOPE_SYS
	s_wait_loadcnt_dscnt 0x0
	global_inv scope:SCOPE_SYS
	v_cmp_eq_u32_e32 vcc_lo, 0, v0
	s_and_b32 s7, vcc_lo, exec_lo
	s_delay_alu instid0(SALU_CYCLE_1)
	s_or_b32 s6, s6, s7
	s_mov_b32 s7, -1
	s_or_b32 s4, s4, exec_lo
	s_wait_xcnt 0x0
	s_and_saveexec_b32 s10, s6
	s_cbranch_execz .LBB6_17896
	s_branch .LBB6_17900
.LBB6_17899:                            ;   in Loop: Header=BB6_17897 Depth=1
	s_add_co_i32 s5, s5, 1
                                        ; implicit-def: $vgpr0
	s_mov_b32 s7, -1
	s_or_b32 s4, s4, exec_lo
	s_and_saveexec_b32 s10, s6
	s_cbranch_execz .LBB6_17896
.LBB6_17900:                            ;   in Loop: Header=BB6_17897 Depth=1
	flat_load_b64 v[2:3], v[4:5] offset:8 scope:SCOPE_SYS
	s_wait_loadcnt 0x0
	s_and_not1_b32 s4, s4, exec_lo
	s_wait_dscnt 0x0
	v_cmp_eq_u64_e32 vcc_lo, -1, v[2:3]
	s_or_not1_b32 s7, vcc_lo, exec_lo
	s_branch .LBB6_17896
.LBB6_17901:
	s_or_b32 exec_lo, exec_lo, s3
	s_and_saveexec_b32 s3, s0
	s_delay_alu instid0(SALU_CYCLE_1)
	s_xor_b32 s3, exec_lo, s3
	s_cbranch_execz .LBB6_17903
; %bb.17902:
	s_wait_loadcnt 0x0
	s_wait_storecnt 0x0
	ds_store_b32 v0, v0
	s_trap 2
.LBB6_17903:
	s_or_b32 exec_lo, exec_lo, s2
	v_and_b32_e32 v0, 0x2000, v6
	s_mov_b32 s0, exec_lo
	s_delay_alu instid0(VALU_DEP_1)
	v_cmpx_ne_u32_e32 0, v0
	s_cbranch_execz .LBB6_17905
; %bb.17904:
	s_trap 2
	scratch_load_b64 v[2:3], off, s33 offset:480 th:TH_LOAD_LU ; 8-byte Folded Reload
	ds_load_b64 v[0:1], v0
	s_wait_loadcnt_dscnt 0x0
	flat_store_b64 v[2:3], v[0:1] offset:16
.LBB6_17905:
	s_wait_xcnt 0x0
	s_or_b32 exec_lo, exec_lo, s0
	s_wait_loadcnt 0x4
	v_cmp_ne_u32_e32 vcc_lo, 32, v24
	s_and_b32 exec_lo, exec_lo, vcc_lo
	s_cbranch_execz .LBB6_17923
; %bb.17906:
	s_mov_b32 s0, exec_lo
	s_wait_loadcnt 0x0
	v_cmpx_ne_u32_e64 v24, v7
	s_xor_b32 s0, exec_lo, s0
	s_cbranch_execz .LBB6_17921
; %bb.17907:
	v_and_b32_e32 v0, 31, v31
	s_mov_b32 s2, exec_lo
	s_delay_alu instid0(VALU_DEP_1)
	v_cmpx_eq_u32_e32 0, v0
	s_cbranch_execz .LBB6_17920
; %bb.17908:
	s_mov_b32 s4, exec_lo
	s_mov_b32 s3, exec_lo
	v_mbcnt_lo_u32_b32 v0, s4, 0
	global_wb scope:SCOPE_DEV
	s_wait_storecnt_dscnt 0x0
	global_inv scope:SCOPE_DEV
	v_cmpx_eq_u32_e32 0, v0
	s_cbranch_execz .LBB6_17910
; %bb.17909:
	s_bcnt1_i32_b32 s4, s4
	s_delay_alu instid0(SALU_CYCLE_1)
	v_dual_mov_b32 v1, 0 :: v_dual_mov_b32 v0, s4
	s_wait_loadcnt 0x0
	ds_add_u64 v0, v[0:1]
	s_trap 2
.LBB6_17910:
	s_or_b32 exec_lo, exec_lo, s3
	s_trap 2
	ds_load_b64 v[2:3], v0
	s_wait_dscnt 0x0
	scratch_load_b64 v[4:5], off, s33 offset:204 th:TH_LOAD_LU ; 8-byte Folded Reload
	v_dual_mov_b32 v1, 0 :: v_dual_lshrrev_b32 v0, 5, v24
	s_mov_b32 s3, exec_lo
	s_wait_loadcnt 0x0
	s_delay_alu instid0(VALU_DEP_1) | instskip(NEXT) | instid1(VALU_DEP_1)
	v_add_nc_u64_e32 v[0:1], v[4:5], v[0:1]
	v_cmpx_lt_u64_e64 v[2:3], v[0:1]
	s_cbranch_execz .LBB6_17919
; %bb.17911:
	s_mov_b32 s4, 0
	s_mov_b32 s7, 0
                                        ; implicit-def: $sgpr5
                                        ; implicit-def: $sgpr6
	s_branch .LBB6_17913
.LBB6_17912:                            ;   in Loop: Header=BB6_17913 Depth=1
	s_or_b32 exec_lo, exec_lo, s11
	s_delay_alu instid0(SALU_CYCLE_1) | instskip(NEXT) | instid1(SALU_CYCLE_1)
	s_and_b32 s10, exec_lo, s12
	s_or_b32 s4, s10, s4
	s_and_not1_b32 s5, s5, exec_lo
	s_and_b32 s10, s6, exec_lo
	s_delay_alu instid0(SALU_CYCLE_1)
	s_or_b32 s5, s5, s10
	s_and_not1_b32 exec_lo, exec_lo, s4
	s_cbranch_execz .LBB6_17917
.LBB6_17913:                            ; =>This Inner Loop Header: Depth=1
	s_add_co_i32 s7, s7, 1
	s_delay_alu instid0(SALU_CYCLE_1) | instskip(SKIP_1) | instid1(SALU_CYCLE_1)
	s_cmp_lg_u32 s7, 0x2710
	s_cselect_b32 s10, -1, 0
	s_and_b32 vcc_lo, exec_lo, s10
	s_cbranch_vccz .LBB6_17915
; %bb.17914:                            ;   in Loop: Header=BB6_17913 Depth=1
	s_mov_b32 s12, -1
	s_or_b32 s6, s6, exec_lo
	s_and_saveexec_b32 s11, s10
	s_cbranch_execz .LBB6_17912
	s_branch .LBB6_17916
.LBB6_17915:                            ;   in Loop: Header=BB6_17913 Depth=1
	s_trap 2
	ds_load_b64 v[2:3], v0
	s_and_not1_b32 s10, s10, exec_lo
	s_mov_b32 s7, 0
	s_wait_dscnt 0x0
	flat_load_b32 v2, v[2:3] scope:SCOPE_SYS
	s_wait_loadcnt_dscnt 0x0
	global_inv scope:SCOPE_SYS
	v_cmp_eq_u32_e32 vcc_lo, 0, v2
	s_and_b32 s11, vcc_lo, exec_lo
	s_delay_alu instid0(SALU_CYCLE_1)
	s_or_b32 s10, s10, s11
	s_mov_b32 s12, -1
	s_or_b32 s6, s6, exec_lo
	s_wait_xcnt 0x0
	s_and_saveexec_b32 s11, s10
	s_cbranch_execz .LBB6_17912
.LBB6_17916:                            ;   in Loop: Header=BB6_17913 Depth=1
	s_sleep 1
	s_trap 2
	ds_load_b64 v[2:3], v0
	s_wait_dscnt 0x0
	s_and_not1_b32 s6, s6, exec_lo
	v_cmp_ge_u64_e32 vcc_lo, v[2:3], v[0:1]
	s_or_not1_b32 s12, vcc_lo, exec_lo
	s_branch .LBB6_17912
.LBB6_17917:
	s_or_b32 exec_lo, exec_lo, s4
	s_and_saveexec_b32 s4, s5
	s_delay_alu instid0(SALU_CYCLE_1)
	s_xor_b32 s4, exec_lo, s4
	s_cbranch_execz .LBB6_17919
; %bb.17918:
	v_mov_b32_e32 v0, 1
	ds_store_b32 v0, v0
	s_trap 2
.LBB6_17919:
	s_or_b32 exec_lo, exec_lo, s3
	;;#ASMSTART
	s_wakeup
	;;#ASMEND
.LBB6_17920:
	s_or_b32 exec_lo, exec_lo, s2
.LBB6_17921:
	s_and_not1_saveexec_b32 s0, s0
	s_cbranch_execz .LBB6_17923
; %bb.17922:
	global_wb scope:SCOPE_DEV
	s_wait_storecnt 0x0
	s_wait_loadcnt_dscnt 0x0
	global_inv scope:SCOPE_DEV
	s_barrier_signal -1
	s_barrier_wait -1
.LBB6_17923:
	s_or_b32 exec_lo, exec_lo, s1
.LBB6_17924:
	s_and_not1_saveexec_b32 s21, s18
	s_cbranch_execz .LBB6_17926
; %bb.17925:
	s_get_pc_i64 s[0:1]
	s_add_nc_u64 s[0:1], s[0:1], __PRETTY_FUNCTION__._ZN10PrimitivesI14__hip_fp8_e4m313FuncPreMulSumIS0_E12FanSymmetricILi1EELi0E11ProtoSimpleILi1ELi1ELi0ELi4ELi0ELi0EELi0ELb0ELi0ELi0ELi0EEC2EiiPKiS9_PKvPvmhhhP15ncclDevWorkCollP14ncclDevWorkP2pii@rel64+4
	s_get_pc_i64 s[2:3]
	s_add_nc_u64 s[2:3], s[2:3], __assert_fail@rel64+4
	s_wait_loadcnt 0x0
	v_dual_mov_b32 v0, s0 :: v_dual_mov_b32 v1, s1
	s_swap_pc_i64 s[30:31], s[2:3]
	; divergent unreachable
.LBB6_17926:
	s_or_b32 exec_lo, exec_lo, s21
	s_clause 0x2e
	scratch_load_b32 v126, off, s33
	scratch_load_b32 v125, off, s33 offset:4
	scratch_load_b32 v124, off, s33 offset:8
	;; [unrolled: 1-line block ×46, first 2 shown]
	v_readlane_b32 s30, v127, 0
	v_readlane_b32 s31, v127, 1
	s_mov_b32 s32, s33
	s_wait_xcnt 0x0
	s_or_saveexec_b32 s0, -1
	scratch_load_b32 v127, off, s33 offset:496 ; 4-byte Folded Reload
	s_wait_xcnt 0x0
	s_mov_b32 exec_lo, s0
	s_mov_b32 s33, s47
	s_wait_loadcnt_dscnt 0x0
	s_set_pc_i64 s[30:31]
.Lfunc_end6:
	.size	_ZN12_GLOBAL__N_17runRingI14__hip_fp8_e4m313FuncPreMulSumIS1_E11ProtoSimpleILi1ELi1ELi0ELi4ELi0ELi0EELi0ELi4ELi0EEEviiP15ncclDevWorkColl, .Lfunc_end6-_ZN12_GLOBAL__N_17runRingI14__hip_fp8_e4m313FuncPreMulSumIS1_E11ProtoSimpleILi1ELi1ELi0ELi4ELi0ELi0EELi0ELi4ELi0EEEviiP15ncclDevWorkColl
                                        ; -- End function
	.set .L_ZN12_GLOBAL__N_17runRingI14__hip_fp8_e4m313FuncPreMulSumIS1_E11ProtoSimpleILi1ELi1ELi0ELi4ELi0ELi0EELi0ELi4ELi0EEEviiP15ncclDevWorkColl.num_vgpr, max(128, .L__assert_fail.num_vgpr)
	.set .L_ZN12_GLOBAL__N_17runRingI14__hip_fp8_e4m313FuncPreMulSumIS1_E11ProtoSimpleILi1ELi1ELi0ELi4ELi0ELi0EELi0ELi4ELi0EEEviiP15ncclDevWorkColl.num_agpr, max(0, .L__assert_fail.num_agpr)
	.set .L_ZN12_GLOBAL__N_17runRingI14__hip_fp8_e4m313FuncPreMulSumIS1_E11ProtoSimpleILi1ELi1ELi0ELi4ELi0ELi0EELi0ELi4ELi0EEEviiP15ncclDevWorkColl.numbered_sgpr, max(48, .L__assert_fail.numbered_sgpr)
	.set .L_ZN12_GLOBAL__N_17runRingI14__hip_fp8_e4m313FuncPreMulSumIS1_E11ProtoSimpleILi1ELi1ELi0ELi4ELi0ELi0EELi0ELi4ELi0EEEviiP15ncclDevWorkColl.num_named_barrier, max(0, .L__assert_fail.num_named_barrier)
	.set .L_ZN12_GLOBAL__N_17runRingI14__hip_fp8_e4m313FuncPreMulSumIS1_E11ProtoSimpleILi1ELi1ELi0ELi4ELi0ELi0EELi0ELi4ELi0EEEviiP15ncclDevWorkColl.private_seg_size, 512+max(.L__assert_fail.private_seg_size)
	.set .L_ZN12_GLOBAL__N_17runRingI14__hip_fp8_e4m313FuncPreMulSumIS1_E11ProtoSimpleILi1ELi1ELi0ELi4ELi0ELi0EELi0ELi4ELi0EEEviiP15ncclDevWorkColl.uses_vcc, or(1, .L__assert_fail.uses_vcc)
	.set .L_ZN12_GLOBAL__N_17runRingI14__hip_fp8_e4m313FuncPreMulSumIS1_E11ProtoSimpleILi1ELi1ELi0ELi4ELi0ELi0EELi0ELi4ELi0EEEviiP15ncclDevWorkColl.uses_flat_scratch, or(1, .L__assert_fail.uses_flat_scratch)
	.set .L_ZN12_GLOBAL__N_17runRingI14__hip_fp8_e4m313FuncPreMulSumIS1_E11ProtoSimpleILi1ELi1ELi0ELi4ELi0ELi0EELi0ELi4ELi0EEEviiP15ncclDevWorkColl.has_dyn_sized_stack, or(0, .L__assert_fail.has_dyn_sized_stack)
	.set .L_ZN12_GLOBAL__N_17runRingI14__hip_fp8_e4m313FuncPreMulSumIS1_E11ProtoSimpleILi1ELi1ELi0ELi4ELi0ELi0EELi0ELi4ELi0EEEviiP15ncclDevWorkColl.has_recursion, or(1, .L__assert_fail.has_recursion)
	.set .L_ZN12_GLOBAL__N_17runRingI14__hip_fp8_e4m313FuncPreMulSumIS1_E11ProtoSimpleILi1ELi1ELi0ELi4ELi0ELi0EELi0ELi4ELi0EEEviiP15ncclDevWorkColl.has_indirect_call, or(0, .L__assert_fail.has_indirect_call)
	.section	.AMDGPU.csdata,"",@progbits
; Function info:
; codeLenInByte = 568880
; TotalNumSgprs: 50
; NumVgprs: 128
; ScratchSize: 576
; MemoryBound: 1
	.text
	.p2align	2                               ; -- Begin function _Z53ncclDevFunc_Reduce_RING_SIMPLE_PreMulSum_f8e4m3_0_0_4v
	.type	_Z53ncclDevFunc_Reduce_RING_SIMPLE_PreMulSum_f8e4m3_0_0_4v,@function
_Z53ncclDevFunc_Reduce_RING_SIMPLE_PreMulSum_f8e4m3_0_0_4v: ; @_Z53ncclDevFunc_Reduce_RING_SIMPLE_PreMulSum_f8e4m3_0_0_4v
; %bb.0:
	s_wait_loadcnt_dscnt 0x0
	s_wait_kmcnt 0x0
	s_mov_b32 s63, s33
	s_mov_b32 s33, s32
	s_or_saveexec_b32 s0, -1
	scratch_store_b32 off, v42, s33 offset:12 ; 4-byte Folded Spill
	s_wait_xcnt 0x0
	s_mov_b32 exec_lo, s0
	s_add_co_i32 s32, s32, 32
	s_clause 0x2
	scratch_store_b32 off, v40, s33 offset:8
	; meta instruction
	scratch_store_b32 off, v41, s33 offset:4
	; meta instruction
	scratch_store_b32 off, v127, s33
	v_writelane_b32 v42, s30, 0
	v_writelane_b32 v42, s31, 1
	s_trap 2
	ds_load_b32 v0, v0
	s_wait_xcnt 0x2
	v_mov_b32_e32 v40, v31
	s_mov_b32 s58, s12
	s_mov_b64 s[56:57], s[8:9]
	s_mov_b32 s2, exec_lo
	s_wait_xcnt 0x1
	v_and_b32_e32 v41, 0x3ff, v40
	s_wait_dscnt 0x0
	s_wait_xcnt 0x0
	s_delay_alu instid0(VALU_DEP_1)
	v_cmpx_lt_i32_e64 v41, v0
	s_cbranch_execz .LBB7_5
; %bb.1:
	s_load_b32 s0, s[56:57], 0x0
	s_bfe_u32 s1, ttmp6, 0x4000c
	s_and_b32 s3, ttmp6, 15
	s_add_co_i32 s1, s1, 1
	s_getreg_b32 s4, hwreg(HW_REG_IB_STS2, 6, 4)
	s_mul_i32 s1, ttmp9, s1
	v_mov_b32_e32 v2, v41
	s_add_co_i32 s3, s3, s1
	s_cmp_eq_u32 s4, 0
                                        ; implicit-def: $vgpr3
	s_cselect_b32 s1, ttmp9, s3
	s_mov_b32 s3, 0
	s_wait_kmcnt 0x0
	s_cmp_lt_u32 s1, s0
	s_mov_b32 s1, 0
	s_cselect_b32 s0, 12, 18
	s_delay_alu instid0(SALU_CYCLE_1)
	s_add_nc_u64 s[4:5], s[56:57], s[0:1]
	s_load_u16 s0, s[4:5], 0x0
	s_trap 2
	ds_load_b32 v1, v0
	s_wait_dscnt 0x0
	s_wait_kmcnt 0x0
	v_mul_lo_u32 v1, v1, s0
	s_branch .LBB7_3
.LBB7_2:                                ;   in Loop: Header=BB7_3 Depth=1
	s_or_b32 exec_lo, exec_lo, s4
	v_dual_add_nc_u32 v2, s0, v2 :: v_dual_add_nc_u32 v3, v3, v1
	s_delay_alu instid0(VALU_DEP_1) | instskip(SKIP_1) | instid1(SALU_CYCLE_1)
	v_cmp_ge_i32_e32 vcc_lo, v2, v0
	s_or_b32 s3, vcc_lo, s3
	s_and_not1_b32 exec_lo, exec_lo, s3
	s_cbranch_execz .LBB7_5
.LBB7_3:                                ; =>This Inner Loop Header: Depth=1
	ds_load_b32 v4, v3
	s_mov_b32 s4, exec_lo
	s_wait_dscnt 0x0
	v_and_b32_e32 v4, 0x1000000, v4
	s_delay_alu instid0(VALU_DEP_1)
	v_cmpx_ne_u32_e32 0, v4
	s_cbranch_execz .LBB7_2
; %bb.4:                                ;   in Loop: Header=BB7_3 Depth=1
	ds_load_b64 v[4:5], v3 offset:104
	s_wait_dscnt 0x0
	flat_load_u8 v4, v[4:5]
	s_wait_xcnt 0x0
	v_mov_b32_e32 v5, s1
	s_wait_loadcnt_dscnt 0x0
	v_and_b32_e32 v4, 0xffff, v4
	ds_store_b64 v3, v[4:5] offset:104
	s_branch .LBB7_2
.LBB7_5:
	s_or_b32 exec_lo, exec_lo, s2
	s_wait_storecnt_dscnt 0x0
	s_barrier_signal -1
	s_barrier_wait -1
	s_trap 2
	ds_load_b32 v0, v0
	s_wait_dscnt 0x0
	v_cmp_gt_i32_e32 vcc_lo, 1, v0
	s_cbranch_vccnz .LBB7_13
; %bb.6:
	s_mov_b32 s59, 0
	s_get_pc_i64 s[60:61]
	s_add_nc_u64 s[60:61], s[60:61], _ZN12_GLOBAL__N_17runRingI14__hip_fp8_e4m313FuncPreMulSumIS1_E11ProtoSimpleILi1ELi1ELi0ELi4ELi0ELi0EELi0ELi4ELi0EEEviiP15ncclDevWorkColl@rel64+4
	s_branch .LBB7_8
.LBB7_7:                                ;   in Loop: Header=BB7_8 Depth=1
	s_or_b32 exec_lo, exec_lo, s62
	s_trap 2
	ds_load_b32 v0, v0
	s_add_co_i32 s59, s59, 1
	s_wait_dscnt 0x0
	v_cmp_lt_i32_e32 vcc_lo, s59, v0
	s_cbranch_vccz .LBB7_13
.LBB7_8:                                ; =>This Inner Loop Header: Depth=1
	s_trap 2
	ds_load_b32 v0, v0
	s_cmp_eq_u32 s59, 0
	s_cbranch_scc1 .LBB7_11
; %bb.9:                                ;   in Loop: Header=BB7_8 Depth=1
	s_trap 2
	s_wait_dscnt 0x0
	ds_load_b32 v1, v0
	s_wait_dscnt 0x0
	v_xor_b32_e32 v1, v1, v0
	s_delay_alu instid0(VALU_DEP_1) | instskip(NEXT) | instid1(VALU_DEP_1)
	v_and_b32_e32 v1, 0xff0000, v1
	v_cmp_eq_u32_e32 vcc_lo, 0, v1
	s_cbranch_vccnz .LBB7_11
; %bb.10:                               ;   in Loop: Header=BB7_8 Depth=1
	s_barrier_signal -1
	s_barrier_wait -1
	ds_load_b32 v0, v0
.LBB7_11:                               ;   in Loop: Header=BB7_8 Depth=1
	s_wait_dscnt 0x0
	v_lshrrev_b32_e32 v0, 11, v0
	s_mov_b32 s62, exec_lo
	s_delay_alu instid0(VALU_DEP_1) | instskip(NEXT) | instid1(VALU_DEP_1)
	v_and_b32_e32 v1, 0x1fe0, v0
	v_cmpx_lt_u32_e64 v41, v1
	s_cbranch_execz .LBB7_7
; %bb.12:                               ;   in Loop: Header=BB7_8 Depth=1
	s_mov_b64 s[0:1], src_shared_base
	v_dual_mov_b32 v31, v40 :: v_dual_mov_b32 v0, v41
	v_mov_b32_e32 v3, s1
	s_mov_b64 s[8:9], s[56:57]
	s_mov_b32 s12, s58
	s_swap_pc_i64 s[30:31], s[60:61]
	s_branch .LBB7_7
.LBB7_13:
	s_clause 0x2
	scratch_load_b32 v127, off, s33
	scratch_load_b32 v41, off, s33 offset:4
	scratch_load_b32 v40, off, s33 offset:8
	v_readlane_b32 s30, v42, 0
	v_readlane_b32 s31, v42, 1
	s_mov_b32 s32, s33
	s_wait_xcnt 0x0
	s_or_saveexec_b32 s0, -1
	scratch_load_b32 v42, off, s33 offset:12 ; 4-byte Folded Reload
	s_wait_xcnt 0x0
	s_mov_b32 exec_lo, s0
	s_mov_b32 s33, s63
	s_wait_loadcnt 0x0
	s_set_pc_i64 s[30:31]
.Lfunc_end7:
	.size	_Z53ncclDevFunc_Reduce_RING_SIMPLE_PreMulSum_f8e4m3_0_0_4v, .Lfunc_end7-_Z53ncclDevFunc_Reduce_RING_SIMPLE_PreMulSum_f8e4m3_0_0_4v
                                        ; -- End function
	.set .L_Z53ncclDevFunc_Reduce_RING_SIMPLE_PreMulSum_f8e4m3_0_0_4v.num_vgpr, max(128, .L_ZN12_GLOBAL__N_17runRingI14__hip_fp8_e4m313FuncPreMulSumIS1_E11ProtoSimpleILi1ELi1ELi0ELi4ELi0ELi0EELi0ELi4ELi0EEEviiP15ncclDevWorkColl.num_vgpr)
	.set .L_Z53ncclDevFunc_Reduce_RING_SIMPLE_PreMulSum_f8e4m3_0_0_4v.num_agpr, max(0, .L_ZN12_GLOBAL__N_17runRingI14__hip_fp8_e4m313FuncPreMulSumIS1_E11ProtoSimpleILi1ELi1ELi0ELi4ELi0ELi0EELi0ELi4ELi0EEEviiP15ncclDevWorkColl.num_agpr)
	.set .L_Z53ncclDevFunc_Reduce_RING_SIMPLE_PreMulSum_f8e4m3_0_0_4v.numbered_sgpr, max(64, .L_ZN12_GLOBAL__N_17runRingI14__hip_fp8_e4m313FuncPreMulSumIS1_E11ProtoSimpleILi1ELi1ELi0ELi4ELi0ELi0EELi0ELi4ELi0EEEviiP15ncclDevWorkColl.numbered_sgpr)
	.set .L_Z53ncclDevFunc_Reduce_RING_SIMPLE_PreMulSum_f8e4m3_0_0_4v.num_named_barrier, max(0, .L_ZN12_GLOBAL__N_17runRingI14__hip_fp8_e4m313FuncPreMulSumIS1_E11ProtoSimpleILi1ELi1ELi0ELi4ELi0ELi0EELi0ELi4ELi0EEEviiP15ncclDevWorkColl.num_named_barrier)
	.set .L_Z53ncclDevFunc_Reduce_RING_SIMPLE_PreMulSum_f8e4m3_0_0_4v.private_seg_size, 32+max(.L_ZN12_GLOBAL__N_17runRingI14__hip_fp8_e4m313FuncPreMulSumIS1_E11ProtoSimpleILi1ELi1ELi0ELi4ELi0ELi0EELi0ELi4ELi0EEEviiP15ncclDevWorkColl.private_seg_size)
	.set .L_Z53ncclDevFunc_Reduce_RING_SIMPLE_PreMulSum_f8e4m3_0_0_4v.uses_vcc, or(1, .L_ZN12_GLOBAL__N_17runRingI14__hip_fp8_e4m313FuncPreMulSumIS1_E11ProtoSimpleILi1ELi1ELi0ELi4ELi0ELi0EELi0ELi4ELi0EEEviiP15ncclDevWorkColl.uses_vcc)
	.set .L_Z53ncclDevFunc_Reduce_RING_SIMPLE_PreMulSum_f8e4m3_0_0_4v.uses_flat_scratch, or(1, .L_ZN12_GLOBAL__N_17runRingI14__hip_fp8_e4m313FuncPreMulSumIS1_E11ProtoSimpleILi1ELi1ELi0ELi4ELi0ELi0EELi0ELi4ELi0EEEviiP15ncclDevWorkColl.uses_flat_scratch)
	.set .L_Z53ncclDevFunc_Reduce_RING_SIMPLE_PreMulSum_f8e4m3_0_0_4v.has_dyn_sized_stack, or(0, .L_ZN12_GLOBAL__N_17runRingI14__hip_fp8_e4m313FuncPreMulSumIS1_E11ProtoSimpleILi1ELi1ELi0ELi4ELi0ELi0EELi0ELi4ELi0EEEviiP15ncclDevWorkColl.has_dyn_sized_stack)
	.set .L_Z53ncclDevFunc_Reduce_RING_SIMPLE_PreMulSum_f8e4m3_0_0_4v.has_recursion, or(1, .L_ZN12_GLOBAL__N_17runRingI14__hip_fp8_e4m313FuncPreMulSumIS1_E11ProtoSimpleILi1ELi1ELi0ELi4ELi0ELi0EELi0ELi4ELi0EEEviiP15ncclDevWorkColl.has_recursion)
	.set .L_Z53ncclDevFunc_Reduce_RING_SIMPLE_PreMulSum_f8e4m3_0_0_4v.has_indirect_call, or(0, .L_ZN12_GLOBAL__N_17runRingI14__hip_fp8_e4m313FuncPreMulSumIS1_E11ProtoSimpleILi1ELi1ELi0ELi4ELi0ELi0EELi0ELi4ELi0EEEviiP15ncclDevWorkColl.has_indirect_call)
	.section	.AMDGPU.csdata,"",@progbits
; Function info:
; codeLenInByte = 756
; TotalNumSgprs: 66
; NumVgprs: 128
; ScratchSize: 608
; MemoryBound: 0
	.text
	.p2alignl 7, 3214868480
	.fill 96, 4, 3214868480
	.section	.AMDGPU.gpr_maximums,"",@progbits
	.set amdgpu.max_num_vgpr, 128
	.set amdgpu.max_num_agpr, 0
	.set amdgpu.max_num_sgpr, 64
	.text
	.type	__const.__assert_fail.fmt,@object ; @__const.__assert_fail.fmt
	.section	.rodata.str1.16,"aMS",@progbits,1
	.p2align	4, 0x0
__const.__assert_fail.fmt:
	.asciz	"%s:%u: %s: Device-side assertion `%s' failed.\n"
	.size	__const.__assert_fail.fmt, 47

	.type	.str.3,@object                  ; @.str.3
	.section	.rodata.str1.1,"aMS",@progbits,1
.str.3:
	.asciz	"2*(nrecv+nsend) <= nthreads"
	.size	.str.3, 28

	.type	.str.4,@object                  ; @.str.4
.str.4:
	.asciz	"/root/src/amdgpu-assembly/repos/ROCm__rccl/hipify/src/device/prims_simple.h"
	.size	.str.4, 76

	.type	__PRETTY_FUNCTION__._ZN10PrimitivesI14__hip_fp8_e4m313FuncPreMulSumIS0_E12FanSymmetricILi1EELi0E11ProtoSimpleILi1ELi1ELi0ELi1ELi0ELi0EELi0ELb0ELi0ELi0ELi0EEC2EiiPKiS9_PKvPvmhhhP15ncclDevWorkCollP14ncclDevWorkP2pii,@object ; @__PRETTY_FUNCTION__._ZN10PrimitivesI14__hip_fp8_e4m313FuncPreMulSumIS0_E12FanSymmetricILi1EELi0E11ProtoSimpleILi1ELi1ELi0ELi1ELi0ELi0EELi0ELb0ELi0ELi0ELi0EEC2EiiPKiS9_PKvPvmhhhP15ncclDevWorkCollP14ncclDevWorkP2pii
__PRETTY_FUNCTION__._ZN10PrimitivesI14__hip_fp8_e4m313FuncPreMulSumIS0_E12FanSymmetricILi1EELi0E11ProtoSimpleILi1ELi1ELi0ELi1ELi0ELi0EELi0ELb0ELi0ELi0ELi0EEC2EiiPKiS9_PKvPvmhhhP15ncclDevWorkCollP14ncclDevWorkP2pii:
	.asciz	"Primitives<__hip_fp8_e4m3, FuncPreMulSum<rccl_float8>, FanSymmetric<1>, 0, ProtoSimple<1, 1, 0, 1>, 0>::Primitives(int, int, const int *, const int *, const void *, void *, uint64_t, uint8_t, uint8_t, uint8_t, struct ncclDevWorkColl *, struct ncclDevWorkP2p *, int, int) [T = __hip_fp8_e4m3, RedOp = FuncPreMulSum<rccl_float8>, Fan = FanSymmetric<1>, Direct = 0, Proto = ProtoSimple<1, 1, 0, 1>, P2p = 0, isNetOffload = false, Metadata = 0, Pipeline = 0, useAcc = 0]"
	.size	__PRETTY_FUNCTION__._ZN10PrimitivesI14__hip_fp8_e4m313FuncPreMulSumIS0_E12FanSymmetricILi1EELi0E11ProtoSimpleILi1ELi1ELi0ELi1ELi0ELi0EELi0ELb0ELi0ELi0ELi0EEC2EiiPKiS9_PKvPvmhhhP15ncclDevWorkCollP14ncclDevWorkP2pii, 467

	.type	__PRETTY_FUNCTION__._ZN10PrimitivesI14__hip_fp8_e4m313FuncPreMulSumIS0_E12FanSymmetricILi1EELi0E11ProtoSimpleILi1ELi1ELi0ELi2ELi0ELi0EELi0ELb0ELi0ELi0ELi0EEC2EiiPKiS9_PKvPvmhhhP15ncclDevWorkCollP14ncclDevWorkP2pii,@object ; @__PRETTY_FUNCTION__._ZN10PrimitivesI14__hip_fp8_e4m313FuncPreMulSumIS0_E12FanSymmetricILi1EELi0E11ProtoSimpleILi1ELi1ELi0ELi2ELi0ELi0EELi0ELb0ELi0ELi0ELi0EEC2EiiPKiS9_PKvPvmhhhP15ncclDevWorkCollP14ncclDevWorkP2pii
__PRETTY_FUNCTION__._ZN10PrimitivesI14__hip_fp8_e4m313FuncPreMulSumIS0_E12FanSymmetricILi1EELi0E11ProtoSimpleILi1ELi1ELi0ELi2ELi0ELi0EELi0ELb0ELi0ELi0ELi0EEC2EiiPKiS9_PKvPvmhhhP15ncclDevWorkCollP14ncclDevWorkP2pii:
	.asciz	"Primitives<__hip_fp8_e4m3, FuncPreMulSum<rccl_float8>, FanSymmetric<1>, 0, ProtoSimple<1, 1, 0, 2>, 0>::Primitives(int, int, const int *, const int *, const void *, void *, uint64_t, uint8_t, uint8_t, uint8_t, struct ncclDevWorkColl *, struct ncclDevWorkP2p *, int, int) [T = __hip_fp8_e4m3, RedOp = FuncPreMulSum<rccl_float8>, Fan = FanSymmetric<1>, Direct = 0, Proto = ProtoSimple<1, 1, 0, 2>, P2p = 0, isNetOffload = false, Metadata = 0, Pipeline = 0, useAcc = 0]"
	.size	__PRETTY_FUNCTION__._ZN10PrimitivesI14__hip_fp8_e4m313FuncPreMulSumIS0_E12FanSymmetricILi1EELi0E11ProtoSimpleILi1ELi1ELi0ELi2ELi0ELi0EELi0ELb0ELi0ELi0ELi0EEC2EiiPKiS9_PKvPvmhhhP15ncclDevWorkCollP14ncclDevWorkP2pii, 467

	.type	__PRETTY_FUNCTION__._ZN10PrimitivesI14__hip_fp8_e4m313FuncPreMulSumIS0_E12FanSymmetricILi1EELi0E11ProtoSimpleILi1ELi1ELi0ELi4ELi0ELi0EELi0ELb0ELi0ELi0ELi0EEC2EiiPKiS9_PKvPvmhhhP15ncclDevWorkCollP14ncclDevWorkP2pii,@object ; @__PRETTY_FUNCTION__._ZN10PrimitivesI14__hip_fp8_e4m313FuncPreMulSumIS0_E12FanSymmetricILi1EELi0E11ProtoSimpleILi1ELi1ELi0ELi4ELi0ELi0EELi0ELb0ELi0ELi0ELi0EEC2EiiPKiS9_PKvPvmhhhP15ncclDevWorkCollP14ncclDevWorkP2pii
__PRETTY_FUNCTION__._ZN10PrimitivesI14__hip_fp8_e4m313FuncPreMulSumIS0_E12FanSymmetricILi1EELi0E11ProtoSimpleILi1ELi1ELi0ELi4ELi0ELi0EELi0ELb0ELi0ELi0ELi0EEC2EiiPKiS9_PKvPvmhhhP15ncclDevWorkCollP14ncclDevWorkP2pii:
	.asciz	"Primitives<__hip_fp8_e4m3, FuncPreMulSum<rccl_float8>, FanSymmetric<1>, 0, ProtoSimple<1, 1, 0, 4>, 0>::Primitives(int, int, const int *, const int *, const void *, void *, uint64_t, uint8_t, uint8_t, uint8_t, struct ncclDevWorkColl *, struct ncclDevWorkP2p *, int, int) [T = __hip_fp8_e4m3, RedOp = FuncPreMulSum<rccl_float8>, Fan = FanSymmetric<1>, Direct = 0, Proto = ProtoSimple<1, 1, 0, 4>, P2p = 0, isNetOffload = false, Metadata = 0, Pipeline = 0, useAcc = 0]"
	.size	__PRETTY_FUNCTION__._ZN10PrimitivesI14__hip_fp8_e4m313FuncPreMulSumIS0_E12FanSymmetricILi1EELi0E11ProtoSimpleILi1ELi1ELi0ELi4ELi0ELi0EELi0ELb0ELi0ELi0ELi0EEC2EiiPKiS9_PKvPvmhhhP15ncclDevWorkCollP14ncclDevWorkP2pii, 467

	.type	__hip_cuid_3c1c536060e3548f,@object ; @__hip_cuid_3c1c536060e3548f
	.section	.bss,"aw",@nobits
	.globl	__hip_cuid_3c1c536060e3548f
__hip_cuid_3c1c536060e3548f:
	.byte	0                               ; 0x0
	.size	__hip_cuid_3c1c536060e3548f, 1

	.ident	"AMD clang version 22.0.0git (https://github.com/RadeonOpenCompute/llvm-project roc-7.2.4 26084 f58b06dce1f9c15707c5f808fd002e18c2accf7e)"
	.section	".note.GNU-stack","",@progbits
	.addrsig
	.addrsig_sym _Z53ncclDevFunc_Reduce_RING_SIMPLE_PreMulSum_f8e4m3_0_0_1v
	.addrsig_sym _Z53ncclDevFunc_Reduce_RING_SIMPLE_PreMulSum_f8e4m3_0_0_2v
	.addrsig_sym _Z53ncclDevFunc_Reduce_RING_SIMPLE_PreMulSum_f8e4m3_0_0_4v
	.addrsig_sym ncclShmem
	.addrsig_sym __hip_cuid_3c1c536060e3548f
	.amdgpu_metadata
---
amdhsa.kernels:  []
amdhsa.target:   amdgcn-amd-amdhsa--gfx1250
amdhsa.version:
  - 1
  - 2
...

	.end_amdgpu_metadata
